;; amdgpu-corpus repo=ggml-org/llama.cpp kind=compiled arch=gfx90a opt=O3
	.text
	.amdgcn_target "amdgcn-amd-amdhsa--gfx90a"
	.amdhsa_code_object_version 6
	.section	.text._ZL18flash_attn_ext_f16ILi64ELi64ELi16ELi2ELb0ELb0EEvPKcS1_S1_S1_S1_PKiPfP15HIP_vector_typeIfLj2EEffffjfiS5_IjLj3EEiiiiiiiiiiiliiliiiiil,"axG",@progbits,_ZL18flash_attn_ext_f16ILi64ELi64ELi16ELi2ELb0ELb0EEvPKcS1_S1_S1_S1_PKiPfP15HIP_vector_typeIfLj2EEffffjfiS5_IjLj3EEiiiiiiiiiiiliiliiiiil,comdat
	.globl	_ZL18flash_attn_ext_f16ILi64ELi64ELi16ELi2ELb0ELb0EEvPKcS1_S1_S1_S1_PKiPfP15HIP_vector_typeIfLj2EEffffjfiS5_IjLj3EEiiiiiiiiiiiliiliiiiil ; -- Begin function _ZL18flash_attn_ext_f16ILi64ELi64ELi16ELi2ELb0ELb0EEvPKcS1_S1_S1_S1_PKiPfP15HIP_vector_typeIfLj2EEffffjfiS5_IjLj3EEiiiiiiiiiiiliiliiiiil
	.p2align	8
	.type	_ZL18flash_attn_ext_f16ILi64ELi64ELi16ELi2ELb0ELb0EEvPKcS1_S1_S1_S1_PKiPfP15HIP_vector_typeIfLj2EEffffjfiS5_IjLj3EEiiiiiiiiiiiliiliiiiil,@function
_ZL18flash_attn_ext_f16ILi64ELi64ELi16ELi2ELb0ELb0EEvPKcS1_S1_S1_S1_PKiPfP15HIP_vector_typeIfLj2EEffffjfiS5_IjLj3EEiiiiiiiiiiiliiliiiiil: ; @_ZL18flash_attn_ext_f16ILi64ELi64ELi16ELi2ELb0ELb0EEvPKcS1_S1_S1_S1_PKiPfP15HIP_vector_typeIfLj2EEffffjfiS5_IjLj3EEiiiiiiiiiiiliiliiiiil
; %bb.0:
	s_load_dwordx2 s[2:3], s[4:5], 0x80
	s_load_dwordx4 s[28:31], s[4:5], 0x64
	s_mov_b32 s49, s6
                                        ; implicit-def: $vgpr160 : SGPR spill to VGPR lane
	s_load_dword s43, s[4:5], 0xd0
	s_mov_b32 s0, 0
	s_waitcnt lgkmcnt(0)
	s_abs_i32 s1, s3
	v_cvt_f32_u32_e32 v1, s1
	s_sub_i32 s8, 0, s1
	s_abs_i32 s7, s29
	s_xor_b32 s6, s29, s3
	v_rcp_iflag_f32_e32 v1, v1
	s_ashr_i32 s6, s6, 31
	v_cvt_f32_ubyte0_e32 v3, 0
	v_mul_f32_e32 v1, 0x4f7ffffe, v1
	v_cvt_u32_f32_e32 v1, v1
	v_readfirstlane_b32 s9, v1
	s_mul_i32 s8, s8, s9
	s_mul_hi_u32 s8, s9, s8
	s_add_i32 s9, s9, s8
	s_mul_hi_u32 s8, s7, s9
	s_mul_i32 s9, s8, s1
	s_sub_i32 s7, s7, s9
	s_add_i32 s10, s8, 1
	s_sub_i32 s9, s7, s1
	s_cmp_ge_u32 s7, s1
	s_cselect_b32 s8, s10, s8
	s_cselect_b32 s7, s9, s7
	s_add_i32 s9, s8, 1
	s_cmp_ge_u32 s7, s1
	s_cselect_b32 s1, s9, s8
	s_add_i32 s2, s2, 63
	s_xor_b32 s1, s1, s6
	s_ashr_i32 s7, s2, 31
	s_sub_i32 s33, s1, s6
	s_lshr_b32 s1, s7, 26
	s_add_i32 s2, s2, s1
	s_add_i32 s1, s28, 15
	s_lshr_b32 s6, s1, 4
	s_add_i32 s1, s33, 1
	s_ashr_i32 s82, s2, 6
	s_lshr_b32 s2, s1, 31
	s_add_i32 s1, s1, s2
	s_ashr_i32 s1, s1, 1
	v_writelane_b32 v160, s6, 0
	s_mul_i32 s2, s6, s82
	v_writelane_b32 v160, s2, 1
	s_mul_i32 s1, s2, s1
	;; [unrolled: 2-line block ×3, first 2 shown]
	s_mul_i32 s6, s1, s30
	s_ashr_i32 s7, s6, 31
	v_cvt_f32_u32_e32 v1, s43
	v_writelane_b32 v160, s1, 3
	s_mul_i32 s1, s7, s49
	s_mul_hi_u32 s2, s6, s49
	s_add_i32 s1, s2, s1
	s_mul_i32 s8, s6, s49
	s_cmp_lg_u64 s[0:1], 0
	s_cbranch_scc0 .LBB0_2
; %bb.1:
	v_madmk_f32 v2, v3, 0x4f800000, v1
	v_rcp_f32_e32 v2, v2
	s_sub_u32 s0, 0, s43
	s_subb_u32 s9, 0, 0
	s_mov_b64 s[2:3], 0
	v_mul_f32_e32 v2, 0x5f7ffffc, v2
	v_mul_f32_e32 v4, 0x2f800000, v2
	v_trunc_f32_e32 v4, v4
	v_madmk_f32 v2, v4, 0xcf800000, v2
	v_cvt_u32_f32_e32 v4, v4
	v_cvt_u32_f32_e32 v2, v2
	v_readfirstlane_b32 s10, v4
	v_readfirstlane_b32 s11, v2
	s_mul_hi_u32 s13, s0, s11
	s_mul_i32 s14, s0, s10
	s_mul_i32 s12, s9, s11
	s_add_i32 s13, s13, s14
	s_add_i32 s13, s13, s12
	s_mul_i32 s15, s0, s11
	s_mul_hi_u32 s12, s11, s13
	s_mul_i32 s14, s11, s13
	s_mul_hi_u32 s11, s11, s15
	s_add_u32 s11, s11, s14
	s_addc_u32 s12, 0, s12
	s_mul_hi_u32 s16, s10, s15
	s_mul_i32 s15, s10, s15
	s_add_u32 s11, s11, s15
	s_mul_hi_u32 s14, s10, s13
	s_addc_u32 s11, s12, s16
	s_addc_u32 s12, s14, 0
	s_mul_i32 s13, s10, s13
	s_add_u32 s11, s11, s13
	s_addc_u32 s12, 0, s12
	v_add_co_u32_e32 v2, vcc, s11, v2
	s_cmp_lg_u64 vcc, 0
	s_addc_u32 s10, s10, s12
	v_readfirstlane_b32 s12, v2
	s_mul_i32 s11, s0, s10
	s_mul_hi_u32 s13, s0, s12
	s_add_i32 s11, s13, s11
	s_mul_i32 s9, s9, s12
	s_add_i32 s11, s11, s9
	s_mul_i32 s0, s0, s12
	s_mul_hi_u32 s13, s10, s0
	s_mul_i32 s14, s10, s0
	s_mul_i32 s16, s12, s11
	s_mul_hi_u32 s0, s12, s0
	s_mul_hi_u32 s15, s12, s11
	s_add_u32 s0, s0, s16
	s_addc_u32 s12, 0, s15
	s_add_u32 s0, s0, s14
	s_mul_hi_u32 s9, s10, s11
	s_addc_u32 s0, s12, s13
	s_addc_u32 s9, s9, 0
	s_mul_i32 s11, s10, s11
	s_add_u32 s0, s0, s11
	s_addc_u32 s9, 0, s9
	v_add_co_u32_e32 v2, vcc, s0, v2
	s_cmp_lg_u64 vcc, 0
	s_addc_u32 s9, s10, s9
	s_ashr_i32 s10, s1, 31
	s_add_u32 s0, s8, s10
	s_mov_b32 s11, s10
	s_addc_u32 s1, s1, s10
	s_xor_b64 s[0:1], s[0:1], s[10:11]
	v_readfirstlane_b32 s14, v2
	s_mul_i32 s13, s0, s9
	s_mul_hi_u32 s15, s0, s14
	s_mul_hi_u32 s12, s0, s9
	s_add_u32 s13, s15, s13
	s_addc_u32 s12, 0, s12
	s_mul_hi_u32 s16, s1, s14
	s_mul_i32 s14, s1, s14
	s_add_u32 s13, s13, s14
	s_mul_hi_u32 s15, s1, s9
	s_addc_u32 s12, s12, s16
	s_addc_u32 s13, s15, 0
	s_mul_i32 s9, s1, s9
	s_add_u32 s9, s12, s9
	s_addc_u32 s12, 0, s13
	s_add_u32 s13, s9, 1
	s_addc_u32 s14, s12, 0
	s_add_u32 s15, s9, 2
	s_mul_i32 s17, s43, s12
	s_mul_hi_u32 s18, s43, s9
	s_addc_u32 s16, s12, 0
	s_add_i32 s18, s18, s17
	s_mul_i32 s17, s43, s9
	v_mov_b32_e32 v2, s17
	v_sub_co_u32_e32 v2, vcc, s0, v2
	s_cmp_lg_u64 vcc, 0
	s_subb_u32 s0, s1, s18
	v_subrev_co_u32_e32 v4, vcc, s43, v2
	s_cmp_lg_u64 vcc, 0
	s_subb_u32 s1, s0, 0
	v_readfirstlane_b32 s17, v4
	s_cmp_ge_u32 s17, s43
	s_cselect_b32 s17, -1, 0
	s_cmp_eq_u32 s1, 0
	s_cselect_b32 s1, s17, -1
	s_cmp_lg_u32 s1, 0
	s_cselect_b32 s1, s16, s14
	v_readfirstlane_b32 s14, v2
	s_cselect_b32 s13, s15, s13
	s_cmp_ge_u32 s14, s43
	s_cselect_b32 s14, -1, 0
	s_cmp_eq_u32 s0, 0
	s_cselect_b32 s0, s14, -1
	s_cmp_lg_u32 s0, 0
	s_cselect_b32 s1, s1, s12
	s_cselect_b32 s0, s13, s9
	s_xor_b64 s[0:1], s[0:1], s[10:11]
	s_sub_u32 s52, s0, s10
	s_branch .LBB0_3
.LBB0_2:
	s_mov_b64 s[2:3], -1
                                        ; implicit-def: $sgpr52_sgpr53
.LBB0_3:
	s_load_dwordx2 s[0:1], s[4:5], 0x74
	v_cvt_f32_u32_e32 v2, s43
	s_andn2_b64 vcc, exec, s[2:3]
	s_waitcnt lgkmcnt(0)
	v_writelane_b32 v160, s0, 4
	v_writelane_b32 v160, s1, 5
	s_cbranch_vccnz .LBB0_5
; %bb.4:
	v_rcp_iflag_f32_e32 v4, v2
	s_sub_i32 s0, 0, s43
	v_mul_f32_e32 v4, 0x4f7ffffe, v4
	v_cvt_u32_f32_e32 v4, v4
	v_readfirstlane_b32 s1, v4
	s_mul_i32 s0, s0, s1
	s_mul_hi_u32 s0, s1, s0
	s_add_i32 s1, s1, s0
	s_mul_hi_u32 s0, s8, s1
	s_mul_i32 s2, s0, s43
	s_sub_i32 s2, s8, s2
	s_add_i32 s1, s0, 1
	s_sub_i32 s3, s2, s43
	s_cmp_ge_u32 s2, s43
	s_cselect_b32 s0, s1, s0
	s_cselect_b32 s2, s3, s2
	s_add_i32 s1, s0, 1
	s_cmp_ge_u32 s2, s43
	s_cselect_b32 s52, s1, s0
.LBB0_5:
	s_add_i32 s0, s49, 1
	s_mul_i32 s1, s7, s0
	s_mul_hi_u32 s2, s6, s0
	s_add_i32 s3, s2, s1
	s_mov_b32 s2, 0
	s_cmp_lg_u64 s[2:3], 0
	s_mul_i32 s2, s6, s0
	s_cbranch_scc0 .LBB0_182
; %bb.6:
	v_madmk_f32 v1, v3, 0x4f800000, v1
	v_rcp_f32_e32 v1, v1
	s_sub_u32 s6, 0, s43
	s_subb_u32 s7, 0, 0
	v_mul_f32_e32 v1, 0x5f7ffffc, v1
	v_mul_f32_e32 v3, 0x2f800000, v1
	v_trunc_f32_e32 v3, v3
	v_madmk_f32 v1, v3, 0xcf800000, v1
	v_cvt_u32_f32_e32 v3, v3
	v_cvt_u32_f32_e32 v1, v1
	v_readfirstlane_b32 s8, v3
	v_readfirstlane_b32 s9, v1
	s_mul_hi_u32 s11, s6, s9
	s_mul_i32 s12, s6, s8
	s_mul_i32 s10, s7, s9
	s_add_i32 s11, s11, s12
	s_add_i32 s11, s11, s10
	s_mul_i32 s13, s6, s9
	s_mul_hi_u32 s10, s9, s11
	s_mul_i32 s12, s9, s11
	s_mul_hi_u32 s9, s9, s13
	s_add_u32 s9, s9, s12
	s_addc_u32 s10, 0, s10
	s_mul_hi_u32 s14, s8, s13
	s_mul_i32 s13, s8, s13
	s_add_u32 s9, s9, s13
	s_mul_hi_u32 s12, s8, s11
	s_addc_u32 s9, s10, s14
	s_addc_u32 s10, s12, 0
	s_mul_i32 s11, s8, s11
	s_add_u32 s9, s9, s11
	s_addc_u32 s10, 0, s10
	v_add_co_u32_e32 v1, vcc, s9, v1
	s_cmp_lg_u64 vcc, 0
	s_addc_u32 s8, s8, s10
	v_readfirstlane_b32 s10, v1
	s_mul_i32 s9, s6, s8
	s_mul_hi_u32 s11, s6, s10
	s_add_i32 s9, s11, s9
	s_mul_i32 s7, s7, s10
	s_add_i32 s9, s9, s7
	s_mul_i32 s6, s6, s10
	s_mul_hi_u32 s11, s8, s6
	s_mul_i32 s12, s8, s6
	s_mul_i32 s14, s10, s9
	s_mul_hi_u32 s6, s10, s6
	s_mul_hi_u32 s13, s10, s9
	s_add_u32 s6, s6, s14
	s_addc_u32 s10, 0, s13
	s_add_u32 s6, s6, s12
	s_mul_hi_u32 s7, s8, s9
	s_addc_u32 s6, s10, s11
	s_addc_u32 s7, s7, 0
	s_mul_i32 s9, s8, s9
	s_add_u32 s6, s6, s9
	s_addc_u32 s7, 0, s7
	v_add_co_u32_e32 v1, vcc, s6, v1
	s_cmp_lg_u64 vcc, 0
	s_addc_u32 s10, s8, s7
	s_ashr_i32 s6, s3, 31
	s_add_u32 s8, s2, s6
	s_mov_b32 s7, s6
	s_addc_u32 s9, s3, s6
	s_xor_b64 s[8:9], s[8:9], s[6:7]
	v_readfirstlane_b32 s12, v1
	s_mul_i32 s11, s8, s10
	s_mul_hi_u32 s13, s8, s12
	s_mul_hi_u32 s3, s8, s10
	s_add_u32 s11, s13, s11
	s_addc_u32 s3, 0, s3
	s_mul_hi_u32 s14, s9, s12
	s_mul_i32 s12, s9, s12
	s_add_u32 s11, s11, s12
	s_mul_hi_u32 s13, s9, s10
	s_addc_u32 s3, s3, s14
	s_addc_u32 s11, s13, 0
	s_mul_i32 s10, s9, s10
	s_add_u32 s3, s3, s10
	s_addc_u32 s10, 0, s11
	s_add_u32 s11, s3, 1
	s_addc_u32 s12, s10, 0
	s_add_u32 s13, s3, 2
	s_mul_i32 s15, s43, s10
	s_mul_hi_u32 s16, s43, s3
	s_addc_u32 s14, s10, 0
	s_add_i32 s16, s16, s15
	s_mul_i32 s15, s43, s3
	v_mov_b32_e32 v1, s15
	v_sub_co_u32_e32 v1, vcc, s8, v1
	s_cmp_lg_u64 vcc, 0
	s_subb_u32 s8, s9, s16
	v_subrev_co_u32_e32 v3, vcc, s43, v1
	s_cmp_lg_u64 vcc, 0
	s_subb_u32 s9, s8, 0
	v_readfirstlane_b32 s15, v3
	s_cmp_ge_u32 s15, s43
	s_cselect_b32 s15, -1, 0
	s_cmp_eq_u32 s9, 0
	s_cselect_b32 s9, s15, -1
	s_cmp_lg_u32 s9, 0
	s_cselect_b32 s9, s14, s12
	v_readfirstlane_b32 s12, v1
	s_cselect_b32 s11, s13, s11
	s_cmp_ge_u32 s12, s43
	s_cselect_b32 s12, -1, 0
	s_cmp_eq_u32 s8, 0
	s_cselect_b32 s8, s12, -1
	s_cmp_lg_u32 s8, 0
	s_cselect_b32 s9, s9, s10
	s_cselect_b32 s8, s11, s3
	s_xor_b64 s[8:9], s[8:9], s[6:7]
	s_sub_u32 s56, s8, s6
	s_load_dwordx2 s[40:41], s[4:5], 0x5c
	s_cbranch_execnz .LBB0_8
.LBB0_7:
	v_rcp_iflag_f32_e32 v1, v2
	s_sub_i32 s0, 0, s43
	v_mul_f32_e32 v1, 0x4f7ffffe, v1
	v_cvt_u32_f32_e32 v1, v1
	v_readfirstlane_b32 s1, v1
	s_mul_i32 s0, s0, s1
	s_mul_hi_u32 s0, s1, s0
	s_add_i32 s1, s1, s0
	s_mul_hi_u32 s0, s2, s1
	s_mul_i32 s3, s0, s43
	s_sub_i32 s2, s2, s3
	s_add_i32 s1, s0, 1
	s_sub_i32 s3, s2, s43
	s_cmp_ge_u32 s2, s43
	s_cselect_b32 s0, s1, s0
	s_cselect_b32 s2, s3, s2
	s_add_i32 s1, s0, 1
	s_cmp_ge_u32 s2, s43
	s_cselect_b32 s56, s1, s0
.LBB0_8:
	s_abs_i32 s83, s82
	v_cvt_f32_u32_e32 v1, s83
	v_readlane_b32 s2, v160, 4
	s_ashr_i32 s50, s2, 3
	s_sub_i32 s2, 0, s83
	v_rcp_iflag_f32_e32 v1, v1
	s_load_dwordx16 s[12:27], s[4:5], 0x0
	s_load_dword s6, s[4:5], 0x40
	s_load_dwordx2 s[0:1], s[4:5], 0x8c
	s_load_dwordx4 s[36:39], s[4:5], 0x98
	s_load_dwordx2 s[44:45], s[4:5], 0xa8
	s_load_dwordx2 s[54:55], s[4:5], 0xb8
	;; [unrolled: 1-line block ×3, first 2 shown]
	v_readlane_b32 s3, v160, 5
	s_waitcnt lgkmcnt(0)
	v_writelane_b32 v160, s0, 6
	v_mul_f32_e32 v1, 0x4f7ffffe, v1
	v_cvt_u32_f32_e32 v1, v1
	v_writelane_b32 v160, s1, 7
	s_abs_i32 s1, s52
	s_ashr_i32 s53, s31, 3
	v_readfirstlane_b32 s48, v1
	s_mul_i32 s2, s2, s48
	s_mul_hi_u32 s2, s48, s2
	s_add_i32 s48, s48, s2
	s_mul_hi_u32 s2, s1, s48
	s_mul_i32 s2, s2, s83
	s_sub_i32 s1, s1, s2
	s_ashr_i32 s34, s0, 2
	s_ashr_i32 s42, s55, 1
	;; [unrolled: 1-line block ×5, first 2 shown]
	s_sub_i32 s2, s1, s83
	s_cmp_ge_u32 s1, s83
	s_cselect_b32 s1, s2, s1
	s_sub_i32 s2, s1, s83
	s_cmp_ge_u32 s1, s83
	s_cselect_b32 s1, s2, s1
	s_xor_b32 s1, s1, s0
	s_sub_i32 s74, s1, s0
	s_sub_i32 s0, s56, s52
	s_add_i32 s2, s0, s74
	s_min_i32 s81, s82, s2
	s_cmp_gt_i32 s56, s52
	s_cselect_b64 s[8:9], -1, 0
	s_cmp_le_i32 s56, s52
	v_cvt_f16_f32_e32 v1, s6
	s_cselect_b64 s[0:1], -1, 0
	s_cmp_gt_i32 s82, s2
	s_cselect_b64 s[2:3], -1, 0
	s_or_b64 s[0:1], s[2:3], s[0:1]
	v_bfe_u32 v35, v0, 10, 10
	s_mov_b32 s59, 0
	s_and_b64 vcc, exec, s[0:1]
	v_pack_b32_f16 v27, v1, v1
	v_lshlrev_b32_e32 v29, 1, v35
	v_lshlrev_b32_e32 v45, 3, v35
	v_and_b32_e32 v47, 1, v35
	s_cbranch_vccz .LBB0_11
; %bb.9:
	s_andn2_b64 vcc, exec, s[8:9]
	s_cbranch_vccz .LBB0_162
.LBB0_10:
	s_endpgm
.LBB0_11:
	s_cmp_eq_u64 s[20:21], 0
	v_and_b32_e32 v1, 0x3ff, v0
	v_writelane_b32 v160, s43, 8
	s_cselect_b64 s[0:1], -1, 0
	v_lshrrev_b32_e32 v3, 3, v1
	v_writelane_b32 v160, s0, 9
	s_cmp_lg_u64 s[22:23], 0
	v_and_b32_e32 v11, 15, v1
	v_and_b32_e32 v14, 30, v3
	v_writelane_b32 v160, s1, 10
	s_cselect_b64 s[0:1], -1, 0
	v_mul_u32_u24_e32 v2, 0x90, v11
	v_lshlrev_b32_e32 v4, 2, v14
	v_writelane_b32 v160, s0, 11
	v_add3_u32 v54, 0, v2, v4
	v_lshlrev_b32_e32 v2, 1, v1
	v_writelane_b32 v160, s1, 12
	v_and_b32_e32 v6, 0x7f0, v45
	s_movk_i32 s0, 0x90
	v_and_b32_e32 v10, 62, v2
	v_lshlrev_b32_e32 v2, 2, v1
	v_lshlrev_b32_e32 v15, 4, v35
	v_lshrrev_b32_e32 v16, 2, v1
	v_mad_u32_u24 v55, v6, s0, v54
	v_add_u32_e32 v7, v3, v45
	v_and_b32_e32 v8, 28, v2
	v_and_b32_e32 v13, 16, v15
	;; [unrolled: 1-line block ×3, first 2 shown]
	v_and_or_b32 v6, v1, 14, v6
	v_mul_u32_u24_e32 v12, 0x90, v7
	v_lshrrev_b32_e32 v19, 1, v6
	v_add_u16_e32 v6, v17, v13
	v_mul_u32_u24_e32 v21, 0x48, v17
	v_lshlrev_b32_e32 v24, 2, v8
	v_mul_u32_u24_e32 v56, 0x90, v13
	v_add_u32_e32 v18, v17, v13
	v_lshrrev_b16_e32 v13, 1, v6
	v_and_b32_e32 v20, 8, v45
	v_or_b32_e32 v21, v21, v11
	v_or_b32_e32 v16, 3, v16
	s_movk_i32 s1, 0x120
	v_add3_u32 v57, 0, v12, v24
	v_mad_u32_u24 v12, v19, s0, 0
	v_mul_u32_u24_e32 v22, 0x90, v17
	v_mul_u32_u24_e32 v16, 0x90, v16
	;; [unrolled: 1-line block ×3, first 2 shown]
	v_lshl_add_u32 v58, v13, 2, v12
	v_lshl_add_u32 v24, v18, 1, v12
	v_mad_u32_u24 v12, v20, s1, 0
	v_lshlrev_b32_e32 v13, 1, v21
	v_lshlrev_b32_e32 v18, 1, v11
	v_add_u32_e32 v59, v12, v13
	v_add3_u32 v60, v12, v22, v18
	v_add3_u32 v61, v12, v16, v18
	;; [unrolled: 1-line block ×3, first 2 shown]
	s_movk_i32 s2, 0x1200
	v_add_u32_e32 v62, v12, v13
	v_mad_u32_u24 v19, v17, s0, v12
	v_add3_u32 v64, v12, v16, v18
	v_add3_u32 v12, 0, 64, v23
	s_add_i32 s3, 0, 0x60
	v_add3_u32 v63, v19, v18, s2
	v_add_u32_e32 v65, v12, v13
	v_mad_u32_u24 v19, v17, s0, v12
	v_add3_u32 v67, v12, v16, v18
	v_mov_b32_e32 v12, s3
	v_mad_u32_u24 v12, v20, s1, v12
	s_lshl_b32 s58, s49, 5
	v_lshrrev_b32_e32 v9, 5, v1
	s_ashr_i32 s43, s42, 31
	s_ashr_i32 s35, s34, 31
	;; [unrolled: 1-line block ×3, first 2 shown]
	v_add_u32_e32 v68, v12, v13
	v_mad_u32_u24 v13, v17, s0, v12
	v_add3_u32 v70, v12, v16, v18
	s_lshl_b64 s[0:1], s[58:59], 3
	v_or_b32_e32 v12, v45, v1
	s_add_u32 s0, s26, s0
	v_lshlrev_b32_e32 v12, 3, v12
	v_add_u32_e32 v25, v9, v35
	v_or_b32_e32 v11, v15, v11
	v_add_co_u32_e32 v12, vcc, s0, v12
	v_mad_u32_u24 v11, v11, 36, v14
	v_lshlrev_b32_e32 v14, 1, v25
	v_and_b32_e32 v16, 15, v25
	s_movk_i32 s0, 0x3e0
	v_add_u32_e32 v20, 4, v25
	v_add3_u32 v66, v19, v18, s2
	v_add3_u32 v69, v13, v18, s2
	v_and_or_b32 v17, v14, s0, v16
	v_lshlrev_b32_e32 v14, 1, v20
	v_and_b32_e32 v18, 15, v20
	s_movk_i32 s0, 0x7e0
	v_add_u32_e32 v22, 8, v25
	v_and_or_b32 v21, v14, s0, v18
	v_lshlrev_b32_e32 v14, 1, v22
	v_and_b32_e32 v18, 15, v22
	v_add_u32_e32 v26, 12, v25
	v_and_or_b32 v23, v14, s0, v18
	v_lshlrev_b32_e32 v14, 1, v26
	v_and_b32_e32 v18, 15, v26
	v_add_u32_e32 v30, 16, v25
	v_writelane_b32 v160, s49, 13
	v_and_or_b32 v28, v14, s0, v18
	v_lshlrev_b32_e32 v14, 1, v30
	v_add_u32_e32 v31, 20, v25
	v_and_or_b32 v16, v14, s0, v16
	v_lshlrev_b32_e32 v14, 1, v31
	v_and_b32_e32 v18, 15, v31
	v_add_u32_e32 v33, 24, v25
	v_readlane_b32 s9, v160, 3
	s_addc_u32 s1, s27, s1
	v_and_or_b32 v32, v14, s0, v18
	v_lshlrev_b32_e32 v14, 1, v33
	v_and_b32_e32 v18, 15, v33
	s_abs_i32 s84, s9
	v_and_or_b32 v34, v14, s0, v18
	v_cvt_f32_u32_e32 v14, s84
	v_add_u32_e32 v36, 28, v25
	v_readlane_b32 s10, v160, 1
	v_lshlrev_b32_e32 v19, 1, v36
	v_rcp_iflag_f32_e32 v14, v14
	v_and_b32_e32 v37, 15, v36
	s_abs_i32 s86, s10
	s_abs_i32 s87, s54
	v_mul_f32_e32 v14, 0x4f7ffffe, v14
	v_and_or_b32 v37, v19, s0, v37
	v_cvt_u32_f32_e32 v14, v14
	v_cvt_f32_u32_e32 v19, s86
	v_cvt_f32_u32_e32 v38, s87
	s_mov_b32 s0, s54
	v_readfirstlane_b32 s6, v14
	v_rcp_iflag_f32_e32 v14, v19
	v_rcp_iflag_f32_e32 v19, v38
	v_add_u32_e32 v49, v9, v29
	v_mov_b32_e32 v13, s1
	v_mul_f32_e32 v14, 0x4f7ffffe, v14
	v_mul_f32_e32 v19, 0x4f7ffffe, v19
	v_cvt_u32_f32_e32 v14, v14
	v_cvt_u32_f32_e32 v38, v19
	v_readlane_b32 s11, v160, 2
	v_writelane_b32 v160, s0, 14
	v_lshlrev_b32_e32 v74, 2, v8
	v_add_u16_e32 v8, v9, v29
	v_writelane_b32 v160, s1, 15
	s_sub_i32 s0, 0, s87
	v_lshrrev_b16_e32 v75, 1, v8
	v_lshl_add_u32 v76, v10, 1, 0
	v_mul_u32_u24_e32 v8, 36, v49
	v_readfirstlane_b32 s8, v14
	v_mul_lo_u32 v14, s0, v38
	v_lshl_add_u32 v77, v8, 2, v76
	v_add_u32_e32 v8, 16, v49
	s_abs_i32 s85, s11
	v_mul_hi_u32 v14, v38, v14
	v_lshrrev_b32_e32 v78, 1, v8
	v_add_u32_e32 v8, 24, v49
	v_cvt_f32_u32_e32 v18, s85
	v_add_u32_e32 v71, v38, v14
	v_lshrrev_b32_e32 v79, 1, v8
	v_or_b32_e32 v8, v15, v1
	v_and_b32_e32 v14, 31, v1
	v_mul_u32_u24_e32 v80, 0x90, v8
	v_or_b32_e32 v8, v15, v14
	v_mul_u32_u24_e32 v81, 0x90, v8
	v_add_u16_e32 v8, v9, v35
	v_lshrrev_b16_e32 v83, 1, v8
	v_mul_u32_u24_e32 v8, 36, v17
	v_rcp_iflag_f32_e32 v18, v18
	v_lshl_add_u32 v85, v8, 2, v76
	v_mul_u32_u24_e32 v8, 36, v21
	v_lshl_add_u32 v88, v8, 2, v76
	v_mul_u32_u24_e32 v8, 36, v23
	;; [unrolled: 2-line block ×3, first 2 shown]
	v_cmp_gt_u32_e64 s[54:55], 32, v1
	v_lshl_add_u32 v94, v8, 2, v76
	v_mul_u32_u24_e32 v8, 36, v16
	v_mul_f32_e32 v18, 0x4f7ffffe, v18
	v_writelane_b32 v160, s54, 16
	v_lshl_add_u32 v97, v8, 2, v76
	v_mul_u32_u24_e32 v8, 36, v32
	v_cvt_u32_f32_e32 v18, v18
	v_writelane_b32 v160, s55, 17
	v_lshl_add_u32 v100, v8, 2, v76
	v_mul_u32_u24_e32 v8, 36, v34
	s_ashr_i32 s9, s9, 31
	v_lshl_add_u32 v103, v8, 2, v76
	v_mul_u32_u24_e32 v8, 36, v37
	v_writelane_b32 v160, s9, 18
	s_sub_i32 s9, 0, s84
	v_mul_lo_u32 v6, s30, v7
	v_addc_co_u32_e32 v13, vcc, 0, v13, vcc
	v_lshl_add_u32 v106, v8, 2, v76
	s_mul_i32 s9, s9, s6
	v_lshlrev_b32_e32 v8, 2, v14
	v_mul_lo_u32 v4, s34, v7
	v_ashrrev_i32_e32 v7, 31, v6
	s_mul_hi_u32 s9, s6, s9
	v_mov_b32_e32 v9, s19
	v_add_co_u32_e32 v107, vcc, s18, v8
	v_readfirstlane_b32 s7, v18
	v_lshl_add_u32 v18, s30, 5, v6
	v_mul_u32_u24_e32 v84, 0x90, v17
	v_mul_u32_u24_e32 v96, 0x90, v16
	s_add_i32 s6, s6, s9
	v_addc_co_u32_e32 v108, vcc, 0, v9, vcc
	v_lshlrev_b64 v[16:17], 2, v[6:7]
	v_ashrrev_i32_e32 v19, 31, v18
	v_writelane_b32 v160, s6, 19
	s_sub_i32 s6, 0, s85
	v_mov_b32_e32 v6, s17
	v_add_co_u32_e32 v109, vcc, s16, v16
	s_mul_i32 s6, s6, s7
	v_addc_co_u32_e32 v110, vcc, v6, v17, vcc
	v_lshlrev_b64 v[18:19], 2, v[18:19]
	v_ashrrev_i32_e32 v5, 31, v4
	s_mul_hi_u32 s6, s7, s6
	v_add_co_u32_e32 v111, vcc, s16, v18
	v_lshl_add_u32 v2, s34, 5, v4
	v_lshrrev_b32_e32 v86, 1, v20
	v_mul_u32_u24_e32 v87, 0x90, v21
	s_add_i32 s91, s7, s6
	s_sub_i32 s6, 0, s86
	v_addc_co_u32_e32 v112, vcc, v6, v19, vcc
	v_lshlrev_b64 v[20:21], 2, v[4:5]
	v_ashrrev_i32_e32 v3, 31, v2
	s_mul_i32 s6, s6, s8
	v_mov_b32_e32 v4, s15
	v_add_co_u32_e32 v113, vcc, s14, v20
	v_lshrrev_b32_e32 v89, 1, v22
	v_mul_u32_u24_e32 v90, 0x90, v23
	s_mul_hi_u32 s6, s8, s6
	v_addc_co_u32_e32 v114, vcc, v4, v21, vcc
	v_lshlrev_b64 v[22:23], 2, v[2:3]
	s_add_i32 s93, s8, s6
	s_lshl_b64 s[6:7], s[42:43], 1
	v_mov_b32_e32 v2, s15
	v_add_co_u32_e32 v115, vcc, s14, v22
	v_writelane_b32 v160, s6, 20
	v_addc_co_u32_e32 v116, vcc, v2, v23, vcc
	v_add_u32_e32 v119, 8, v49
	v_bfe_u32 v128, v1, 5, 1
	v_and_b32_e32 v2, 7, v1
	v_mbcnt_lo_u32_b32 v130, -1, 0
	v_add_u32_e32 v72, 64, v24
	v_add_u32_e32 v73, 0x44, v24
	v_cmp_eq_u32_e64 s[0:1], 0, v47
	v_cmp_eq_u32_e64 s[2:3], 1, v47
	v_cmp_gt_u32_e64 s[4:5], 16, v1
	v_lshl_add_u32 v82, v11, 2, 0
	v_lshrrev_b32_e32 v92, 1, v26
	v_mul_u32_u24_e32 v93, 0x90, v28
	v_lshrrev_b32_e32 v95, 1, v30
	v_lshrrev_b32_e32 v98, 1, v31
	v_mul_u32_u24_e32 v99, 0x90, v32
	v_lshrrev_b32_e32 v101, 1, v33
	v_mul_u32_u24_e32 v102, 0x90, v34
	;; [unrolled: 2-line block ×3, first 2 shown]
	s_ashr_i32 s90, s11, 31
	s_ashr_i32 s92, s10, 31
	v_writelane_b32 v160, s7, 21
	s_lshl_b64 s[66:67], s[30:31], 8
	s_lshl_b64 s[68:69], s[34:35], 8
	s_mov_b32 s43, 0x3fb8aa3b
	s_mov_b32 s65, 0xc2ce8ed0
	;; [unrolled: 1-line block ×5, first 2 shown]
	s_movk_i32 s7, 0x80
	v_mov_b32_e32 v117, 0
	v_mul_u32_u24_e32 v118, 0x90, v49
	v_add_u32_e32 v120, 0x1200, v57
	v_add_u32_e32 v121, 0x1200, v60
	;; [unrolled: 1-line block ×8, first 2 shown]
	v_and_b32_e32 v24, 1, v1
	v_and_b32_e32 v26, 1, v25
	v_lshrrev_b32_e32 v129, 1, v119
	v_lshlrev_b32_e32 v28, 4, v2
	v_mbcnt_hi_u32_b32 v131, -1, v130
	v_mov_b32_e32 v132, 0x7f800000
	v_mad_u64_u32 v[30:31], s[8:9], v128, s50, v[14:15]
	v_writelane_b32 v160, s50, 22
	s_branch .LBB0_14
.LBB0_12:                               ;   in Loop: Header=BB0_14 Depth=1
	s_or_b64 exec, exec, s[70:71]
	s_barrier
.LBB0_13:                               ;   in Loop: Header=BB0_14 Depth=1
	s_add_i32 s6, s52, s82
	s_abs_i32 s9, s6
	s_mul_hi_u32 s10, s9, s48
	s_mul_i32 s10, s10, s83
	s_sub_i32 s9, s9, s10
	s_ashr_i32 s8, s6, 31
	s_sub_i32 s10, s9, s83
	s_cmp_ge_u32 s9, s83
	s_cselect_b32 s9, s10, s9
	s_sub_i32 s10, s9, s83
	s_cmp_ge_u32 s9, s83
	s_cselect_b32 s9, s10, s9
	s_xor_b32 s9, s9, s8
	s_sub_i32 s8, s8, s9
	s_add_i32 s52, s6, s8
	s_sub_i32 s6, s56, s52
	s_min_i32 s81, s82, s6
	s_cmp_gt_i32 s56, s52
	s_cselect_b64 s[8:9], -1, 0
	s_cmp_le_i32 s82, s6
	s_cselect_b64 s[10:11], -1, 0
	s_and_b64 s[10:11], s[10:11], s[8:9]
	s_mov_b32 s74, 0
	s_and_b64 vcc, exec, s[10:11]
	s_cbranch_vccz .LBB0_161
.LBB0_14:                               ; =>This Loop Header: Depth=1
                                        ;     Child Loop BB0_112 Depth 2
                                        ;     Child Loop BB0_39 Depth 2
	s_ashr_i32 s6, s52, 31
	v_readlane_b32 s8, v160, 18
	s_xor_b32 s6, s6, s8
	s_abs_i32 s8, s52
	v_readlane_b32 s9, v160, 19
	s_mul_hi_u32 s9, s8, s9
	s_mul_i32 s10, s9, s84
	s_sub_i32 s8, s8, s10
	s_add_i32 s10, s9, 1
	s_sub_i32 s11, s8, s84
	s_cmp_ge_u32 s8, s84
	s_cselect_b32 s9, s10, s9
	s_cselect_b32 s8, s11, s8
	s_add_i32 s10, s9, 1
	s_cmp_ge_u32 s8, s84
	s_cselect_b32 s8, s10, s9
	s_xor_b32 s8, s8, s6
	s_sub_i32 s8, s8, s6
	v_readlane_b32 s6, v160, 3
	s_mul_i32 s6, s8, s6
	s_sub_i32 s6, s52, s6
	s_abs_i32 s10, s6
	s_mul_hi_u32 s11, s10, s91
	s_mul_i32 s49, s11, s85
	s_ashr_i32 s9, s6, 31
	s_sub_i32 s10, s10, s49
	s_xor_b32 s9, s9, s90
	s_add_i32 s49, s11, 1
	s_sub_i32 s50, s10, s85
	s_cmp_ge_u32 s10, s85
	s_cselect_b32 s11, s49, s11
	s_cselect_b32 s10, s50, s10
	s_add_i32 s49, s11, 1
	s_cmp_ge_u32 s10, s85
	s_cselect_b32 s10, s49, s11
	s_xor_b32 s10, s10, s9
	s_sub_i32 s9, s10, s9
	v_readlane_b32 s10, v160, 2
	s_mul_i32 s10, s9, s10
	s_sub_i32 s10, s6, s10
	s_abs_i32 s11, s10
	s_mul_hi_u32 s49, s11, s93
	s_mul_i32 s50, s49, s86
	s_ashr_i32 s6, s10, 31
	s_sub_i32 s11, s11, s50
	s_xor_b32 s6, s6, s92
	s_add_i32 s50, s49, 1
	s_sub_i32 s51, s11, s86
	s_cmp_ge_u32 s11, s86
	s_cselect_b32 s49, s50, s49
	s_cselect_b32 s11, s51, s11
	s_add_i32 s50, s49, 1
	s_cmp_ge_u32 s11, s86
	s_cselect_b32 s11, s50, s49
	s_xor_b32 s11, s11, s6
	s_sub_i32 s6, s11, s6
	v_readlane_b32 s11, v160, 1
	s_mul_i32 s11, s6, s11
	s_sub_i32 s10, s10, s11
	s_ashr_i32 s11, s10, 31
	s_abs_i32 s10, s10
	s_mul_hi_u32 s49, s10, s48
	s_mul_i32 s50, s49, s83
	s_sub_i32 s10, s10, s50
	s_xor_b32 s11, s11, s38
	s_add_i32 s50, s49, 1
	s_sub_i32 s51, s10, s83
	s_cmp_ge_u32 s10, s83
	s_cselect_b32 s49, s50, s49
	s_cselect_b32 s10, s51, s10
	s_add_i32 s50, s49, 1
	s_cmp_ge_u32 s10, s83
	s_cselect_b32 s10, s50, s49
	v_readlane_b32 s50, v160, 11
	s_xor_b32 s10, s10, s11
	v_readlane_b32 s51, v160, 12
	s_andn2_b64 vcc, exec, s[50:51]
	s_sub_i32 s88, s10, s11
	s_cbranch_vccnz .LBB0_16
; %bb.15:                               ;   in Loop: Header=BB0_14 Depth=1
	v_readlane_b32 s10, v160, 0
	s_mul_i32 s10, s8, s10
	s_add_i32 s10, s88, s10
	s_ashr_i32 s11, s10, 31
	s_lshl_b64 s[10:11], s[10:11], 2
	s_add_u32 s10, s22, s10
	s_addc_u32 s11, s23, s11
	global_load_dword v1, v117, s[10:11]
	s_waitcnt vmcnt(0)
	v_readfirstlane_b32 s10, v1
	s_ashr_i32 s11, s10, 31
	s_lshr_b32 s11, s11, 26
	s_add_i32 s10, s10, s11
	s_ashr_i32 s10, s10, 6
	s_min_i32 s81, s81, s10
.LBB0_16:                               ;   in Loop: Header=BB0_14 Depth=1
	v_readlane_b32 s50, v160, 4
	v_readlane_b32 s51, v160, 5
	s_mul_i32 s10, s9, s33
	s_lshl_b32 s64, s6, 1
	s_mul_i32 s6, s8, s51
	s_add_i32 s70, s64, s10
	s_ashr_i32 s10, s6, 31
	s_add_u32 s6, s12, s6
	s_mul_i32 s11, s70, s50
	s_addc_u32 s10, s13, s10
	s_ashr_i32 s49, s11, 31
	s_add_u32 s50, s6, s11
	s_addc_u32 s51, s10, s49
	s_ashr_i32 s49, s8, 31
	s_mul_i32 s6, s8, s37
	s_mul_hi_u32 s10, s8, s36
	s_add_i32 s6, s10, s6
	s_mul_i32 s10, s49, s36
	v_readlane_b32 s60, v160, 6
	s_add_i32 s10, s6, s10
	s_mul_i32 s11, s8, s36
	v_readlane_b32 s61, v160, 7
	s_add_u32 s6, s14, s11
	s_mul_i32 s78, s9, s61
	s_addc_u32 s55, s15, s10
	s_ashr_i32 s60, s78, 31
	s_add_u32 s79, s6, s78
	s_addc_u32 s80, s55, s60
	s_abs_i32 s6, s8
	v_mul_hi_u32 v1, s6, v71
	v_mul_lo_u32 v1, v1, s87
	v_sub_u32_e32 v1, s6, v1
	s_mul_i32 s6, s28, s29
	v_subrev_u32_e32 v2, s87, v1
	v_cmp_le_u32_e32 vcc, s87, v1
	s_mul_i32 s6, s6, s8
	v_cndmask_b32_e32 v1, v1, v2, vcc
	s_add_i32 s6, s70, s6
	v_subrev_u32_e32 v2, s87, v1
	v_cmp_le_u32_e32 vcc, s87, v1
	s_lshl_b32 s58, s6, 5
	v_cndmask_b32_e32 v1, v1, v2, vcc
	s_lshl_b64 s[62:63], s[58:59], 3
	v_xor_b32_e32 v1, s49, v1
	s_add_u32 s6, s24, s62
	s_mul_i32 s57, s8, s45
	s_mul_hi_u32 s58, s8, s44
	v_subrev_u32_e32 v1, s49, v1
	s_addc_u32 s55, s25, s63
	s_add_i32 s57, s58, s57
	s_mul_i32 s49, s49, s44
	s_add_i32 s58, s57, s49
	s_mul_i32 s61, s8, s44
	s_add_u32 s8, s16, s61
	s_mul_i32 s62, s9, s39
	s_addc_u32 s57, s17, s58
	s_ashr_i32 s63, s62, 31
	s_add_u32 s49, s8, s62
	s_addc_u32 s57, s57, s63
	s_ashr_i32 s71, s70, 31
	s_lshl_b64 s[8:9], s[70:71], 2
	v_ashrrev_i32_e32 v2, 31, v1
	v_mul_lo_u32 v3, v1, s47
	v_mul_hi_u32 v4, v1, s46
	s_add_u32 s70, s20, s8
	v_add_u32_e32 v3, v4, v3
	v_mul_lo_u32 v2, v2, s46
	v_mul_lo_u32 v32, v1, s46
	s_addc_u32 s71, s21, s9
	v_readlane_b32 s8, v160, 9
	v_add_u32_e32 v33, v3, v2
	v_mov_b32_e32 v1, s19
	v_add_co_u32_e32 v31, vcc, s18, v32
	v_readlane_b32 s9, v160, 10
	v_addc_co_u32_e32 v133, vcc, v1, v33, vcc
	s_and_b64 s[8:9], s[8:9], exec
	v_or_b32_e32 v11, s64, v128
	s_cselect_b32 s71, 0, s71
	s_cselect_b32 s70, 0, s70
	s_cmp_lg_u32 s74, 0
	v_cmp_gt_i32_e32 vcc, s33, v11
	s_cbranch_scc0 .LBB0_35
; %bb.17:                               ;   in Loop: Header=BB0_14 Depth=1
	s_lshl_b32 s89, s88, 4
	v_add_u32_e32 v1, s89, v75
	v_cmp_le_i32_e64 s[8:9], s28, v1
	s_xor_b64 s[72:73], vcc, -1
	s_or_b64 s[8:9], s[8:9], s[72:73]
	s_and_saveexec_b64 s[76:77], s[8:9]
	s_xor_b64 s[8:9], exec, s[76:77]
	s_cbranch_execz .LBB0_19
; %bb.18:                               ;   in Loop: Header=BB0_14 Depth=1
	ds_write_b32 v77, v117
                                        ; implicit-def: $vgpr1
.LBB0_19:                               ;   in Loop: Header=BB0_14 Depth=1
	s_andn2_saveexec_b64 s[8:9], s[8:9]
	s_cbranch_execz .LBB0_21
; %bb.20:                               ;   in Loop: Header=BB0_14 Depth=1
	v_mad_u64_u32 v[2:3], s[76:77], v1, s53, v[30:31]
	v_ashrrev_i32_e32 v3, 31, v2
	v_lshlrev_b64 v[2:3], 3, v[2:3]
	v_mov_b32_e32 v1, s51
	v_add_co_u32_e32 v2, vcc, s50, v2
	v_addc_co_u32_e32 v3, vcc, v1, v3, vcc
	global_load_dwordx2 v[2:3], v[2:3], off
	s_waitcnt vmcnt(0)
	v_cvt_f16_f32_e32 v1, v2
	v_cvt_f16_f32_e32 v2, v3
	v_pack_b32_f16 v1, v1, v2
	v_pk_mul_f16 v1, v27, v1
	ds_write_b32 v77, v1
.LBB0_21:                               ;   in Loop: Header=BB0_14 Depth=1
	s_or_b64 exec, exec, s[8:9]
	v_add_u32_e32 v1, s89, v129
	v_cmp_le_i32_e32 vcc, s28, v1
	s_or_b64 s[8:9], vcc, s[72:73]
	s_and_saveexec_b64 s[76:77], s[8:9]
	s_xor_b64 s[8:9], exec, s[76:77]
	s_cbranch_execz .LBB0_23
; %bb.22:                               ;   in Loop: Header=BB0_14 Depth=1
	ds_write_b32 v77, v117 offset:1152
                                        ; implicit-def: $vgpr1
.LBB0_23:                               ;   in Loop: Header=BB0_14 Depth=1
	s_andn2_saveexec_b64 s[8:9], s[8:9]
	s_cbranch_execz .LBB0_25
; %bb.24:                               ;   in Loop: Header=BB0_14 Depth=1
	v_mad_u64_u32 v[2:3], s[76:77], v1, s53, v[30:31]
	v_ashrrev_i32_e32 v3, 31, v2
	v_lshlrev_b64 v[2:3], 3, v[2:3]
	v_mov_b32_e32 v1, s51
	v_add_co_u32_e32 v2, vcc, s50, v2
	v_addc_co_u32_e32 v3, vcc, v1, v3, vcc
	global_load_dwordx2 v[2:3], v[2:3], off
	s_waitcnt vmcnt(0)
	v_cvt_f16_f32_e32 v1, v2
	v_cvt_f16_f32_e32 v2, v3
	v_pack_b32_f16 v1, v1, v2
	v_pk_mul_f16 v1, v27, v1
	ds_write_b32 v77, v1 offset:1152
.LBB0_25:                               ;   in Loop: Header=BB0_14 Depth=1
	s_or_b64 exec, exec, s[8:9]
	v_add_u32_e32 v1, s89, v78
	v_cmp_le_i32_e32 vcc, s28, v1
	s_or_b64 s[8:9], vcc, s[72:73]
	s_and_saveexec_b64 s[76:77], s[8:9]
	s_xor_b64 s[8:9], exec, s[76:77]
	s_cbranch_execz .LBB0_27
; %bb.26:                               ;   in Loop: Header=BB0_14 Depth=1
	ds_write_b32 v77, v117 offset:2304
                                        ; implicit-def: $vgpr1
.LBB0_27:                               ;   in Loop: Header=BB0_14 Depth=1
	s_andn2_saveexec_b64 s[8:9], s[8:9]
	s_cbranch_execz .LBB0_29
; %bb.28:                               ;   in Loop: Header=BB0_14 Depth=1
	v_mad_u64_u32 v[2:3], s[76:77], v1, s53, v[30:31]
	v_ashrrev_i32_e32 v3, 31, v2
	v_lshlrev_b64 v[2:3], 3, v[2:3]
	v_mov_b32_e32 v1, s51
	v_add_co_u32_e32 v2, vcc, s50, v2
	v_addc_co_u32_e32 v3, vcc, v1, v3, vcc
	global_load_dwordx2 v[2:3], v[2:3], off
	s_waitcnt vmcnt(0)
	v_cvt_f16_f32_e32 v1, v2
	v_cvt_f16_f32_e32 v2, v3
	v_pack_b32_f16 v1, v1, v2
	v_pk_mul_f16 v1, v27, v1
	ds_write_b32 v77, v1 offset:2304
.LBB0_29:                               ;   in Loop: Header=BB0_14 Depth=1
	;; [unrolled: 28-line block ×3, first 2 shown]
	s_or_b64 exec, exec, s[8:9]
	s_waitcnt lgkmcnt(0)
	s_barrier
	ds_read2_b64 v[6:9], v55 offset1:4
	ds_read2_b64 v[2:5], v55 offset0:8 offset1:12
	s_add_i32 s72, s81, -1
	v_add_u32_e32 v51, s89, v49
	v_add_u32_e32 v42, s89, v119
	s_cmp_gt_i32 s72, s74
	v_mul_hi_u32 v52, s40, v51
	v_mul_hi_u32 v43, s40, v42
	s_waitcnt lgkmcnt(0)
	s_barrier
	s_cbranch_scc1 .LBB0_36
; %bb.34:                               ;   in Loop: Header=BB0_14 Depth=1
	v_add_u32_e32 v1, v51, v52
	v_lshrrev_b32_e32 v1, s41, v1
	v_mul_lo_u32 v1, v1, s28
	v_sub_u32_e32 v1, v51, v1
	v_mad_i64_i32 v[36:37], s[8:9], v1, s42, 0
	v_add_u32_e32 v1, v42, v43
	v_lshrrev_b32_e32 v1, s41, v1
	v_mul_lo_u32 v1, v1, s28
	v_sub_u32_e32 v1, v42, v1
	v_mad_i64_i32 v[38:39], s[8:9], v1, s42, 0
	v_and_b32_e32 v1, 64, v131
	s_mov_b32 s73, 0
	v_add_u32_e32 v1, 64, v1
	v_xor_b32_e32 v44, 32, v131
	v_xor_b32_e32 v15, 16, v131
	s_mov_b64 s[8:9], 0
	s_mov_b32 s75, 0xfeffffff
	s_branch .LBB0_37
.LBB0_35:                               ;   in Loop: Header=BB0_14 Depth=1
	s_cbranch_execz .LBB0_13
	s_branch .LBB0_91
.LBB0_36:                               ;   in Loop: Header=BB0_14 Depth=1
	s_mov_b64 s[8:9], -1
                                        ; implicit-def: $sgpr73
                                        ; implicit-def: $sgpr75
                                        ; implicit-def: $vgpr36_vgpr37
                                        ; implicit-def: $vgpr38_vgpr39
                                        ; implicit-def: $vgpr1
                                        ; implicit-def: $vgpr44
                                        ; implicit-def: $vgpr15
.LBB0_37:                               ;   in Loop: Header=BB0_14 Depth=1
	s_andn2_b64 vcc, exec, s[8:9]
	v_mov_b32_e32 v40, s73
	v_mov_b32_e32 v46, s73
	;; [unrolled: 1-line block ×11, first 2 shown]
	s_cbranch_vccnz .LBB0_40
; %bb.38:                               ;   in Loop: Header=BB0_14 Depth=1
	v_lshlrev_b32_e32 v1, 1, v10
	v_add_co_u32_e32 v48, vcc, v31, v1
	v_add_u32_e32 v1, v51, v52
	v_lshrrev_b32_e32 v1, s41, v1
	v_mul_lo_u32 v1, v1, s28
	v_sub_u32_e32 v1, v51, v1
	v_mad_i64_i32 v[36:37], s[8:9], v1, s42, 0
	v_add_u32_e32 v1, v42, v43
	v_lshrrev_b32_e32 v1, s41, v1
	v_mul_lo_u32 v1, v1, s28
	v_sub_u32_e32 v1, v42, v1
	v_mbcnt_hi_u32_b32 v25, -1, v130
	v_mad_i64_i32 v[38:39], s[8:9], v1, s42, 0
	v_and_b32_e32 v1, 64, v25
	v_addc_co_u32_e32 v50, vcc, 0, v133, vcc
	v_add_u32_e32 v1, 64, v1
	v_xor_b32_e32 v44, 32, v25
	v_cmp_lt_i32_e32 vcc, v44, v1
	v_cndmask_b32_e32 v15, v25, v44, vcc
	v_lshlrev_b32_e32 v51, 2, v15
	v_xor_b32_e32 v15, 16, v25
	v_cmp_lt_i32_e32 vcc, v15, v1
	v_cndmask_b32_e32 v34, v25, v15, vcc
	v_mov_b32_e32 v53, 0
	v_lshlrev_b32_e32 v52, 2, v34
	s_lshl_b32 s8, s74, 6
	v_mov_b32_e32 v46, 0
	v_mov_b32_e32 v34, 0xfeffffff
	;; [unrolled: 1-line block ×9, first 2 shown]
.LBB0_39:                               ;   Parent Loop BB0_14 Depth=1
                                        ; =>  This Inner Loop Header: Depth=2
	s_ashr_i32 s9, s8, 31
	s_lshl_b64 s[76:77], s[8:9], 1
	v_mov_b32_e32 v139, v34
	v_add_co_u32_e32 v34, vcc, s76, v48
	v_mov_b32_e32 v42, s77
	v_mov_b32_e32 v152, v46
	v_addc_co_u32_e32 v46, vcc, v50, v42, vcc
	v_lshlrev_b64 v[42:43], 1, v[36:37]
	v_add_co_u32_e32 v42, vcc, v34, v42
	v_addc_co_u32_e32 v43, vcc, v46, v43, vcc
	global_load_dword v42, v[42:43], off
	v_add_u32_e32 v140, v76, v118
	s_mul_hi_i32 s77, s8, s34
	s_mul_i32 s76, s8, s34
	s_lshl_b64 s[76:77], s[76:77], 2
	s_add_u32 s9, s79, s76
	s_addc_u32 s73, s80, s77
	s_mul_hi_i32 s77, s8, s30
	s_mul_i32 s76, s8, s30
	s_lshl_b64 s[76:77], s[76:77], 2
	s_waitcnt vmcnt(0)
	ds_write_b32 v140, v42 offset:9216
	v_lshlrev_b64 v[42:43], 1, v[38:39]
	v_add_co_u32_e32 v42, vcc, v34, v42
	v_addc_co_u32_e32 v43, vcc, v46, v43, vcc
	global_load_dword v34, v[42:43], off
	v_mov_b32_e32 v42, s73
	s_waitcnt vmcnt(0)
	ds_write_b32 v140, v34 offset:10368
	v_add_co_u32_e32 v34, vcc, s9, v20
	v_addc_co_u32_e32 v43, vcc, v42, v21, vcc
	v_add_co_u32_e32 v42, vcc, v34, v74
	v_addc_co_u32_e32 v43, vcc, 0, v43, vcc
	global_load_dwordx4 v[140:143], v[42:43], off
	v_add_co_u32_e32 v34, vcc, s9, v22
	v_mov_b32_e32 v42, s73
	v_addc_co_u32_e32 v43, vcc, v42, v23, vcc
	v_add_co_u32_e32 v42, vcc, v34, v74
	v_addc_co_u32_e32 v43, vcc, 0, v43, vcc
	v_add_u32_e32 v34, v54, v56
	s_add_u32 s9, s49, s76
	s_addc_u32 s73, s57, s77
	s_add_i32 s74, s74, 1
	s_add_i32 s8, s8, 64
	s_cmp_lt_i32 s74, s72
	s_waitcnt vmcnt(0)
	ds_write_b128 v57, v[140:143]
	global_load_dwordx4 v[140:143], v[42:43], off
	s_waitcnt vmcnt(0)
	ds_write_b128 v120, v[140:143]
	s_waitcnt lgkmcnt(0)
	s_barrier
	ds_read2_b64 v[140:143], v34 offset1:4
	s_waitcnt lgkmcnt(0)
	v_mfma_f32_16x16x16f16 v[144:147], v[140:141], v[6:7], 0
	v_mfma_f32_16x16x16f16 v[140:143], v[142:143], v[8:9], v[144:147]
	s_nop 7
	s_nop 1
	ds_read2_b64 v[144:147], v34 offset0:8 offset1:12
	s_waitcnt lgkmcnt(0)
	v_mfma_f32_16x16x16f16 v[140:143], v[144:145], v[2:3], v[140:143]
	v_add_u32_e32 v34, 0x1000, v34
	v_mfma_f32_16x16x16f16 v[140:143], v[146:147], v[4:5], v[140:143]
	ds_read2_b64 v[144:147], v34 offset0:64 offset1:68
	s_waitcnt lgkmcnt(0)
	v_mfma_f32_16x16x16f16 v[148:151], v[144:145], v[6:7], 0
	v_mfma_f32_16x16x16f16 v[144:147], v[146:147], v[8:9], v[148:151]
	s_nop 7
	s_nop 1
	ds_read2_b64 v[148:151], v34 offset0:72 offset1:76
	s_waitcnt lgkmcnt(0)
	v_mfma_f32_16x16x16f16 v[144:147], v[148:149], v[2:3], v[144:147]
	v_add_u32_e32 v34, 0x2400, v58
	s_barrier
	ds_read2_b32 v[42:43], v34 offset1:1
	ds_read_b32 v34, v72 offset:9216
	ds_read_b32 v46, v73 offset:9216
	s_waitcnt lgkmcnt(2)
	v_cvt_f32_f16_e32 v148, v42
	v_cvt_f32_f16_sdwa v149, v42 dst_sel:DWORD dst_unused:UNUSED_PAD src0_sel:WORD_1
	v_mfma_f32_16x16x16f16 v[144:147], v[150:151], v[4:5], v[144:147]
	v_pk_add_f32 v[140:141], v[140:141], v[148:149]
	v_add_f32_e32 v42, 0x40051340, v140
	v_add_f32_e32 v148, 0x40051340, v141
	v_max3_f32 v150, v139, v42, v148
	s_waitcnt lgkmcnt(0)
	v_cvt_f32_f16_sdwa v149, v46 dst_sel:DWORD dst_unused:UNUSED_PAD src0_sel:WORD_1
	v_cvt_f32_f16_e32 v148, v46
	v_cvt_f32_f16_e32 v42, v43
	v_cvt_f32_f16_sdwa v43, v43 dst_sel:DWORD dst_unused:UNUSED_PAD src0_sel:WORD_1
	s_nop 1
	v_pk_add_f32 v[146:147], v[146:147], v[148:149]
	v_cvt_f32_f16_sdwa v149, v34 dst_sel:DWORD dst_unused:UNUSED_PAD src0_sel:WORD_1
	v_cvt_f32_f16_e32 v148, v34
	v_pk_add_f32 v[42:43], v[142:143], v[42:43]
	v_add_f32_e32 v142, 0x40051340, v42
	v_add_f32_e32 v143, 0x40051340, v43
	v_pk_add_f32 v[144:145], v[144:145], v[148:149]
	v_add_f32_e32 v34, 0x40051340, v144
	v_add_f32_e32 v148, 0x40051340, v145
	v_max3_f32 v142, v150, v142, v143
	v_add_f32_e32 v46, 0x40051340, v146
	v_add_f32_e32 v151, 0x40051340, v147
	v_max3_f32 v34, v142, v34, v148
	v_max3_f32 v34, v34, v46, v151
	ds_bpermute_b32 v46, v51, v34
	s_waitcnt lgkmcnt(0)
	v_max_f32_e32 v46, v46, v46
	v_max_f32_e32 v34, v34, v46
	ds_bpermute_b32 v46, v52, v34
	s_waitcnt lgkmcnt(0)
	v_max_f32_e32 v46, v46, v46
	v_max_f32_e32 v34, v34, v46
	v_pk_add_f32 v[140:141], v[140:141], v[34:35] op_sel_hi:[1,0] neg_lo:[0,1] neg_hi:[0,1]
	v_mul_f32_e32 v46, 0x3fb8aa3b, v141
	v_fma_f32 v142, v141, s43, -v46
	v_rndne_f32_e32 v143, v46
	v_fmac_f32_e32 v142, 0x32a5705f, v141
	v_sub_f32_e32 v46, v46, v143
	v_add_f32_e32 v46, v46, v142
	v_exp_f32_e32 v46, v46
	v_cvt_i32_f32_e32 v142, v143
	v_cmp_ngt_f32_e32 vcc, s65, v141
	v_pk_add_f32 v[42:43], v[42:43], v[34:35] op_sel_hi:[1,0] neg_lo:[0,1] neg_hi:[0,1]
	v_ldexp_f32 v46, v46, v142
	v_cndmask_b32_e32 v46, 0, v46, vcc
	v_cmp_nlt_f32_e32 vcc, s94, v141
	v_cndmask_b32_e32 v142, v132, v46, vcc
	v_mul_f32_e32 v46, 0x3fb8aa3b, v140
	v_fma_f32 v141, v140, s43, -v46
	v_rndne_f32_e32 v143, v46
	v_fmac_f32_e32 v141, 0x32a5705f, v140
	v_sub_f32_e32 v46, v46, v143
	v_add_f32_e32 v46, v46, v141
	v_exp_f32_e32 v46, v46
	v_cvt_i32_f32_e32 v141, v143
	v_cmp_ngt_f32_e32 vcc, s65, v140
	v_ldexp_f32 v46, v46, v141
	v_cndmask_b32_e32 v46, 0, v46, vcc
	v_cmp_nlt_f32_e32 vcc, s94, v140
	v_cndmask_b32_e32 v143, v132, v46, vcc
	v_mul_f32_e32 v46, 0x3fb8aa3b, v43
	v_fma_f32 v140, v43, s43, -v46
	v_rndne_f32_e32 v141, v46
	v_fmac_f32_e32 v140, 0x32a5705f, v43
	v_sub_f32_e32 v46, v46, v141
	v_add_f32_e32 v46, v46, v140
	v_exp_f32_e32 v46, v46
	v_cvt_i32_f32_e32 v140, v141
	v_cmp_ngt_f32_e32 vcc, s65, v43
	v_ldexp_f32 v46, v46, v140
	v_cndmask_b32_e32 v46, 0, v46, vcc
	v_cmp_nlt_f32_e32 vcc, s94, v43
	v_mul_f32_e32 v43, 0x3fb8aa3b, v42
	v_cndmask_b32_e32 v148, v132, v46, vcc
	v_fma_f32 v46, v42, s43, -v43
	v_rndne_f32_e32 v140, v43
	v_fmac_f32_e32 v46, 0x32a5705f, v42
	v_sub_f32_e32 v43, v43, v140
	v_add_f32_e32 v43, v43, v46
	v_exp_f32_e32 v43, v43
	v_cvt_i32_f32_e32 v46, v140
	v_cmp_ngt_f32_e32 vcc, s65, v42
	v_ldexp_f32 v43, v43, v46
	v_cndmask_b32_e32 v43, 0, v43, vcc
	v_cmp_nlt_f32_e32 vcc, s94, v42
	v_cndmask_b32_e32 v149, v132, v43, vcc
	v_pk_add_f32 v[42:43], v[144:145], v[34:35] op_sel_hi:[1,0] neg_lo:[0,1] neg_hi:[0,1]
	v_mul_f32_e32 v46, 0x3fb8aa3b, v43
	v_fma_f32 v140, v43, s43, -v46
	v_rndne_f32_e32 v141, v46
	v_fmac_f32_e32 v140, 0x32a5705f, v43
	v_sub_f32_e32 v46, v46, v141
	v_add_f32_e32 v46, v46, v140
	v_exp_f32_e32 v46, v46
	v_cvt_i32_f32_e32 v140, v141
	v_cmp_ngt_f32_e32 vcc, s65, v43
	v_ldexp_f32 v46, v46, v140
	v_cndmask_b32_e32 v46, 0, v46, vcc
	v_cmp_nlt_f32_e32 vcc, s94, v43
	v_mul_f32_e32 v43, 0x3fb8aa3b, v42
	v_cndmask_b32_e32 v144, v132, v46, vcc
	v_fma_f32 v46, v42, s43, -v43
	v_rndne_f32_e32 v140, v43
	v_fmac_f32_e32 v46, 0x32a5705f, v42
	v_sub_f32_e32 v43, v43, v140
	v_add_f32_e32 v43, v43, v46
	v_exp_f32_e32 v43, v43
	v_cvt_i32_f32_e32 v46, v140
	v_cmp_ngt_f32_e32 vcc, s65, v42
	v_ldexp_f32 v43, v43, v46
	v_cndmask_b32_e32 v43, 0, v43, vcc
	v_cmp_nlt_f32_e32 vcc, s94, v42
	v_cndmask_b32_e32 v145, v132, v43, vcc
	v_pk_add_f32 v[42:43], v[146:147], v[34:35] op_sel_hi:[1,0] neg_lo:[0,1] neg_hi:[0,1]
	v_mul_f32_e32 v46, 0x3fb8aa3b, v43
	v_fma_f32 v140, v43, s43, -v46
	v_rndne_f32_e32 v141, v46
	v_fmac_f32_e32 v140, 0x32a5705f, v43
	v_sub_f32_e32 v46, v46, v141
	v_add_f32_e32 v46, v46, v140
	v_exp_f32_e32 v46, v46
	v_cvt_i32_f32_e32 v140, v141
	v_cmp_ngt_f32_e32 vcc, s65, v43
	v_ldexp_f32 v46, v46, v140
	v_cndmask_b32_e32 v46, 0, v46, vcc
	v_cmp_nlt_f32_e32 vcc, s94, v43
	v_mul_f32_e32 v43, 0x3fb8aa3b, v42
	v_cndmask_b32_e32 v146, v132, v46, vcc
	v_fma_f32 v46, v42, s43, -v43
	v_rndne_f32_e32 v140, v43
	v_fmac_f32_e32 v46, 0x32a5705f, v42
	v_sub_f32_e32 v43, v43, v140
	v_add_f32_e32 v43, v43, v46
	v_exp_f32_e32 v43, v43
	v_cvt_i32_f32_e32 v46, v140
	v_cmp_ngt_f32_e32 vcc, s65, v42
	v_ldexp_f32 v43, v43, v46
	v_cndmask_b32_e32 v43, 0, v43, vcc
	v_cmp_nlt_f32_e32 vcc, s94, v42
	v_add_f32_e32 v42, v143, v142
	v_add_f32_e32 v42, v149, v42
	;; [unrolled: 1-line block ×4, first 2 shown]
	v_cndmask_b32_e32 v147, v132, v43, vcc
	v_add_f32_e32 v42, v144, v42
	v_add_f32_e32 v42, v147, v42
	;; [unrolled: 1-line block ×3, first 2 shown]
	v_sub_f32_e32 v42, v139, v34
	v_mul_f32_e32 v43, 0x3fb8aa3b, v42
	v_fma_f32 v139, v42, s43, -v43
	v_rndne_f32_e32 v140, v43
	v_fmac_f32_e32 v139, 0x32a5705f, v42
	v_sub_f32_e32 v43, v43, v140
	v_add_f32_e32 v43, v43, v139
	v_exp_f32_e32 v43, v43
	v_cvt_i32_f32_e32 v139, v140
	v_cmp_ngt_f32_e32 vcc, s65, v42
	v_ldexp_f32 v43, v43, v139
	v_cndmask_b32_e32 v43, 0, v43, vcc
	v_cmp_nlt_f32_e32 vcc, s94, v42
	v_cndmask_b32_e32 v43, v132, v43, vcc
	v_cmp_le_f32_e32 vcc, s95, v42
	v_cndmask_b32_e32 v42, 0, v43, vcc
	v_fmac_f32_e32 v46, v152, v42
	v_cvt_f16_f32_e32 v42, v42
	v_pk_mul_f16 v140, v42, v41 op_sel_hi:[0,1]
	v_pk_mul_f16 v139, v42, v40 op_sel_hi:[0,1]
	v_cvt_f16_f32_e32 v40, v143
	v_cvt_f16_f32_e32 v41, v142
	v_pk_mul_f16 v141, v42, v53 op_sel_hi:[0,1]
	v_pk_mul_f16 v53, v42, v134 op_sel_hi:[0,1]
	;; [unrolled: 1-line block ×6, first 2 shown]
	v_pack_b32_f16 v42, v40, v41
	v_cvt_f16_f32_e32 v40, v148
	v_cvt_f16_f32_e32 v41, v149
	;; [unrolled: 1-line block ×3, first 2 shown]
	v_mov_b32_e32 v142, s73
	v_pack_b32_f16 v43, v41, v40
	v_cvt_f16_f32_e32 v40, v144
	v_cvt_f16_f32_e32 v41, v145
	v_mov_b32_e32 v144, s73
	v_pack_b32_f16 v40, v41, v40
	v_cvt_f16_f32_e32 v41, v146
	v_pack_b32_f16 v41, v134, v41
	v_add_co_u32_e32 v134, vcc, s9, v16
	v_addc_co_u32_e32 v143, vcc, v142, v17, vcc
	v_add_co_u32_e32 v142, vcc, v134, v74
	v_addc_co_u32_e32 v143, vcc, 0, v143, vcc
	;; [unrolled: 2-line block ×4, first 2 shown]
	global_load_dwordx4 v[142:145], v[142:143], off
	s_waitcnt vmcnt(0)
	ds_write_b128 v57, v[142:145]
	global_load_dwordx4 v[142:145], v[146:147], off
	s_waitcnt vmcnt(0)
	ds_write_b128 v120, v[142:145]
	s_waitcnt lgkmcnt(0)
	s_barrier
	ds_read_u16 v134, v60 offset:144
	ds_read_u16 v146, v60 offset:288
	v_cvt_f32_f16_e32 v142, v141
	v_cvt_f32_f16_sdwa v143, v141 dst_sel:DWORD dst_unused:UNUSED_PAD src0_sel:WORD_1
	v_cvt_f32_f16_e32 v144, v53
	v_cvt_f32_f16_sdwa v145, v53 dst_sel:DWORD dst_unused:UNUSED_PAD src0_sel:WORD_1
	ds_read_u16 v53, v61
	ds_read_u16 v141, v61 offset:32
	s_waitcnt lgkmcnt(1)
	v_perm_b32 v147, v53, v146, s54
	ds_read_u16 v53, v59
	ds_read_u16 v148, v59 offset:32
	s_waitcnt lgkmcnt(1)
	v_perm_b32 v146, v134, v53, s54
	s_nop 1
	v_mfma_f32_16x16x16f16 v[142:145], v[146:147], v[42:43], v[142:145]
	ds_read_u16 v146, v59 offset:4608
	ds_read_u16 v149, v121 offset:144
	;; [unrolled: 1-line block ×4, first 2 shown]
	s_waitcnt lgkmcnt(2)
	v_perm_b32 v146, v149, v146, s54
	s_waitcnt lgkmcnt(0)
	v_perm_b32 v147, v150, v147, s54
	s_nop 2
	v_cvt_f16_f32_e32 v53, v142
	v_cvt_f16_f32_e32 v134, v143
	;; [unrolled: 1-line block ×4, first 2 shown]
	v_cvt_f32_f16_e32 v142, v53
	v_cvt_f32_f16_e32 v143, v134
	;; [unrolled: 1-line block ×4, first 2 shown]
	s_nop 1
	v_mfma_f32_16x16x16f16 v[142:145], v[146:147], v[40:41], v[142:145]
	ds_read_u16 v146, v122 offset:144
	ds_read_u16 v147, v122 offset:288
	s_waitcnt lgkmcnt(1)
	v_perm_b32 v146, v146, v148, s54
	s_waitcnt lgkmcnt(0)
	v_perm_b32 v147, v141, v147, s54
	s_nop 4
	v_cvt_f16_f32_e32 v53, v142
	v_cvt_f16_f32_e32 v134, v143
	;; [unrolled: 1-line block ×4, first 2 shown]
	v_cvt_f32_f16_e32 v144, v135
	v_pack_b32_f16 v53, v53, v134
	v_cvt_f32_f16_sdwa v145, v135 dst_sel:DWORD dst_unused:UNUSED_PAD src0_sel:WORD_1
	v_pack_b32_f16 v134, v142, v143
	v_cvt_f32_f16_e32 v142, v136
	v_cvt_f32_f16_sdwa v143, v136 dst_sel:DWORD dst_unused:UNUSED_PAD src0_sel:WORD_1
	s_nop 1
	v_mfma_f32_16x16x16f16 v[142:145], v[146:147], v[42:43], v[142:145]
	ds_read_u16 v146, v62 offset:4608
	ds_read_u16 v148, v63 offset:144
	;; [unrolled: 1-line block ×4, first 2 shown]
	s_waitcnt lgkmcnt(2)
	v_perm_b32 v146, v148, v146, s54
	s_waitcnt lgkmcnt(0)
	v_perm_b32 v147, v149, v147, s54
	s_nop 2
	v_cvt_f16_f32_e32 v135, v142
	v_cvt_f16_f32_e32 v136, v143
	;; [unrolled: 1-line block ×4, first 2 shown]
	v_cvt_f32_f16_e32 v142, v135
	v_cvt_f32_f16_e32 v143, v136
	;; [unrolled: 1-line block ×4, first 2 shown]
	s_nop 1
	v_mfma_f32_16x16x16f16 v[142:145], v[146:147], v[40:41], v[142:145]
	s_nop 7
	s_nop 2
	v_cvt_f16_f32_e32 v135, v142
	v_cvt_f16_f32_e32 v136, v143
	v_cvt_f16_f32_e32 v141, v144
	v_cvt_f16_f32_e32 v142, v145
	v_cvt_f32_f16_sdwa v143, v138 dst_sel:DWORD dst_unused:UNUSED_PAD src0_sel:WORD_1
	v_pack_b32_f16 v136, v135, v136
	v_cvt_f32_f16_e32 v144, v137
	v_pack_b32_f16 v135, v141, v142
	ds_read_u16 v141, v59 offset:64
	ds_read_u16 v146, v124 offset:144
	;; [unrolled: 1-line block ×4, first 2 shown]
	v_cvt_f32_f16_e32 v142, v138
	v_cvt_f32_f16_sdwa v145, v137 dst_sel:DWORD dst_unused:UNUSED_PAD src0_sel:WORD_1
	s_waitcnt lgkmcnt(2)
	v_perm_b32 v146, v146, v141, s54
	s_waitcnt lgkmcnt(0)
	v_perm_b32 v147, v148, v147, s54
	s_nop 1
	v_mfma_f32_16x16x16f16 v[142:145], v[146:147], v[42:43], v[142:145]
	ds_read_u16 v146, v65 offset:4608
	ds_read_u16 v148, v66 offset:144
	;; [unrolled: 1-line block ×4, first 2 shown]
	s_waitcnt lgkmcnt(2)
	v_perm_b32 v146, v148, v146, s54
	s_waitcnt lgkmcnt(0)
	v_perm_b32 v147, v149, v147, s54
	s_nop 2
	v_cvt_f16_f32_e32 v137, v142
	v_cvt_f16_f32_e32 v138, v143
	;; [unrolled: 1-line block ×4, first 2 shown]
	v_cvt_f32_f16_e32 v142, v137
	v_cvt_f32_f16_e32 v143, v138
	;; [unrolled: 1-line block ×4, first 2 shown]
	s_nop 1
	v_mfma_f32_16x16x16f16 v[142:145], v[146:147], v[40:41], v[142:145]
	s_nop 7
	s_nop 2
	v_cvt_f16_f32_e32 v137, v142
	v_cvt_f16_f32_e32 v138, v143
	;; [unrolled: 1-line block ×4, first 2 shown]
	v_cvt_f32_f16_sdwa v143, v140 dst_sel:DWORD dst_unused:UNUSED_PAD src0_sel:WORD_1
	v_pack_b32_f16 v138, v137, v138
	v_cvt_f32_f16_e32 v144, v139
	v_pack_b32_f16 v137, v141, v142
	ds_read_u16 v146, v59 offset:96
	ds_read_u16 v147, v126 offset:144
	;; [unrolled: 1-line block ×4, first 2 shown]
	v_cvt_f32_f16_e32 v142, v140
	v_cvt_f32_f16_sdwa v145, v139 dst_sel:DWORD dst_unused:UNUSED_PAD src0_sel:WORD_1
	s_waitcnt lgkmcnt(2)
	v_perm_b32 v140, v147, v146, s54
	s_waitcnt lgkmcnt(0)
	v_perm_b32 v141, v148, v141, s54
	s_nop 1
	v_mfma_f32_16x16x16f16 v[140:143], v[140:141], v[42:43], v[142:145]
	s_nop 6
	ds_read_u16 v144, v68 offset:4608
	ds_read_u16 v145, v69 offset:144
	;; [unrolled: 1-line block ×4, first 2 shown]
	s_waitcnt lgkmcnt(0)
	s_barrier
	v_cvt_f16_f32_e32 v42, v140
	v_cvt_f16_f32_e32 v43, v141
	;; [unrolled: 1-line block ×4, first 2 shown]
	v_cvt_f32_f16_e32 v140, v42
	v_cvt_f32_f16_e32 v141, v43
	v_perm_b32 v43, v147, v146, s54
	v_perm_b32 v42, v145, v144, s54
	v_cvt_f32_f16_e32 v142, v139
	v_cvt_f32_f16_e32 v143, v143
	s_nop 1
	v_mfma_f32_16x16x16f16 v[40:43], v[42:43], v[40:41], v[140:143]
	s_nop 7
	s_nop 2
	v_cvt_f16_f32_e32 v40, v40
	v_cvt_f16_f32_e32 v41, v41
	;; [unrolled: 1-line block ×4, first 2 shown]
	v_pack_b32_f16 v41, v40, v41
	v_pack_b32_f16 v40, v42, v43
	s_cbranch_scc1 .LBB0_39
.LBB0_40:                               ;   in Loop: Header=BB0_14 Depth=1
	s_lshl_b32 s8, s74, 6
	s_ashr_i32 s9, s8, 31
	s_lshl_b64 s[72:73], s[8:9], 1
	v_mov_b32_e32 v42, s73
	v_add_co_u32_e32 v43, vcc, s72, v31
	v_addc_co_u32_e32 v42, vcc, v133, v42, vcc
	v_lshlrev_b32_e32 v48, 1, v10
	v_add_co_u32_e32 v43, vcc, v43, v48
	v_addc_co_u32_e32 v42, vcc, 0, v42, vcc
	v_lshlrev_b64 v[36:37], 1, v[36:37]
	v_add_co_u32_e32 v36, vcc, v43, v36
	s_mul_hi_i32 s73, s34, s8
	s_mul_i32 s72, s34, s8
	v_addc_co_u32_e32 v37, vcc, v42, v37, vcc
	v_lshlrev_b64 v[38:39], 1, v[38:39]
	s_lshl_b64 s[72:73], s[72:73], 2
	v_add_co_u32_e32 v38, vcc, v43, v38
	s_add_u32 s9, s79, s72
	v_addc_co_u32_e32 v39, vcc, v42, v39, vcc
	s_addc_u32 s72, s80, s73
	global_load_dword v48, v[36:37], off
	global_load_dword v50, v[38:39], off
	v_mov_b32_e32 v36, s72
	v_add_co_u32_e32 v37, vcc, s9, v20
	v_addc_co_u32_e32 v38, vcc, v36, v21, vcc
	v_add_co_u32_e32 v36, vcc, v37, v74
	v_addc_co_u32_e32 v37, vcc, 0, v38, vcc
	v_mov_b32_e32 v38, s72
	v_add_co_u32_e32 v39, vcc, s9, v22
	v_addc_co_u32_e32 v38, vcc, v38, v23, vcc
	v_add_co_u32_e32 v42, vcc, v39, v74
	v_addc_co_u32_e32 v43, vcc, 0, v38, vcc
	global_load_dwordx4 v[36:39], v[36:37], off
	s_nop 0
	global_load_dwordx4 v[140:143], v[42:43], off
	v_add_u32_e32 v42, v76, v118
	v_add_u32_e32 v43, v54, v56
	v_cmp_lt_i32_e32 vcc, v44, v1
	s_mul_hi_i32 s9, s30, s8
	s_mul_i32 s8, s30, s8
	s_lshl_b64 s[8:9], s[8:9], 2
	s_add_u32 s8, s49, s8
	s_addc_u32 s9, s57, s9
	s_cmp_eq_u64 s[70:71], 0
	s_waitcnt vmcnt(3)
	ds_write_b32 v42, v48 offset:9216
	s_waitcnt vmcnt(2)
	ds_write_b32 v42, v50 offset:10368
	s_waitcnt vmcnt(1)
	ds_write_b128 v57, v[36:39]
	s_waitcnt vmcnt(0)
	ds_write_b128 v120, v[140:143]
	s_waitcnt lgkmcnt(0)
	s_barrier
	ds_read2_b64 v[36:39], v43 offset1:4
	v_add_u32_e32 v42, 0x1000, v43
	ds_read2_b64 v[144:147], v42 offset0:64 offset1:68
	s_waitcnt lgkmcnt(1)
	v_mfma_f32_16x16x16f16 v[140:143], v[36:37], v[6:7], 0
	s_waitcnt lgkmcnt(0)
	v_mfma_f32_16x16x16f16 v[148:151], v[144:145], v[6:7], 0
	v_mfma_f32_16x16x16f16 v[36:39], v[38:39], v[8:9], v[140:143]
	s_nop 7
	ds_read2_b64 v[140:143], v43 offset0:8 offset1:12
	v_mfma_f32_16x16x16f16 v[6:9], v[146:147], v[8:9], v[148:151]
	ds_read2_b64 v[144:147], v42 offset0:72 offset1:76
	v_add_u32_e32 v42, 0x2400, v58
	s_waitcnt lgkmcnt(0)
	s_barrier
	ds_read2_b32 v[42:43], v42 offset1:1
	s_waitcnt lgkmcnt(0)
	v_cvt_f32_f16_e32 v50, v42
	v_mfma_f32_16x16x16f16 v[36:39], v[140:141], v[2:3], v[36:39]
	v_cvt_f32_f16_sdwa v51, v42 dst_sel:DWORD dst_unused:UNUSED_PAD src0_sel:WORD_1
	v_cvt_f32_f16_e32 v42, v43
	v_cvt_f32_f16_sdwa v43, v43 dst_sel:DWORD dst_unused:UNUSED_PAD src0_sel:WORD_1
	v_mfma_f32_16x16x16f16 v[6:9], v[144:145], v[2:3], v[6:9]
	v_cndmask_b32_e32 v2, v25, v44, vcc
	v_lshlrev_b32_e32 v3, 2, v2
	ds_read_b32 v2, v73 offset:9216
	ds_read_b32 v44, v72 offset:9216
	v_cmp_lt_i32_e32 vcc, v15, v1
	v_cndmask_b32_e32 v1, v25, v15, vcc
	v_lshlrev_b32_e32 v15, 2, v1
	s_waitcnt lgkmcnt(1)
	v_cvt_f32_f16_sdwa v141, v2 dst_sel:DWORD dst_unused:UNUSED_PAD src0_sel:WORD_1
	v_mfma_f32_16x16x16f16 v[36:39], v[142:143], v[4:5], v[36:39]
	v_cvt_f32_f16_e32 v140, v2
	s_waitcnt lgkmcnt(0)
	v_cvt_f32_f16_sdwa v143, v44 dst_sel:DWORD dst_unused:UNUSED_PAD src0_sel:WORD_1
	v_cvt_f32_f16_e32 v142, v44
	v_mfma_f32_16x16x16f16 v[6:9], v[146:147], v[4:5], v[6:9]
	s_nop 5
	v_pk_add_f32 v[36:37], v[36:37], v[50:51]
	v_add_f32_e32 v2, 0x40051340, v36
	s_nop 2
	v_pk_add_f32 v[4:5], v[8:9], v[140:141]
	v_pk_add_f32 v[8:9], v[38:39], v[42:43]
	v_add_f32_e32 v38, 0x40051340, v37
	v_pk_add_f32 v[6:7], v[6:7], v[142:143]
	v_add_f32_e32 v48, 0x40051340, v8
	v_add_f32_e32 v50, 0x40051340, v9
	v_max3_f32 v2, v34, v2, v38
	v_add_f32_e32 v43, 0x40051340, v6
	v_add_f32_e32 v44, 0x40051340, v7
	v_max3_f32 v2, v2, v48, v50
	v_add_f32_e32 v39, 0x40051340, v4
	v_add_f32_e32 v42, 0x40051340, v5
	v_max3_f32 v2, v2, v43, v44
	v_max3_f32 v2, v2, v39, v42
	ds_bpermute_b32 v38, v3, v2
	s_waitcnt lgkmcnt(0)
	v_max_f32_e32 v1, v38, v38
	v_max_f32_e32 v1, v2, v1
	ds_bpermute_b32 v2, v15, v1
	s_waitcnt lgkmcnt(0)
	v_max_f32_e32 v2, v2, v2
	v_max_f32_e32 v2, v1, v2
	v_pk_add_f32 v[36:37], v[36:37], v[2:3] op_sel_hi:[1,0] neg_lo:[0,1] neg_hi:[0,1]
	v_mul_f32_e32 v1, 0x3fb8aa3b, v37
	v_mul_f32_e32 v25, 0x3fb8aa3b, v36
	v_fma_f32 v42, v37, s43, -v1
	v_rndne_f32_e32 v43, v1
	v_fma_f32 v44, v36, s43, -v25
	v_rndne_f32_e32 v48, v25
	v_fmac_f32_e32 v42, 0x32a5705f, v37
	v_sub_f32_e32 v1, v1, v43
	v_pk_add_f32 v[8:9], v[8:9], v[2:3] op_sel_hi:[1,0] neg_lo:[0,1] neg_hi:[0,1]
	v_fmac_f32_e32 v44, 0x32a5705f, v36
	v_sub_f32_e32 v25, v25, v48
	v_add_f32_e32 v1, v1, v42
	v_mul_f32_e32 v38, 0x3fb8aa3b, v9
	v_cvt_i32_f32_e32 v43, v43
	v_add_f32_e32 v25, v25, v44
	v_exp_f32_e32 v1, v1
	v_fma_f32 v50, v9, s43, -v38
	v_rndne_f32_e32 v51, v38
	v_cvt_i32_f32_e32 v48, v48
	v_exp_f32_e32 v25, v25
	v_fmac_f32_e32 v50, 0x32a5705f, v9
	v_sub_f32_e32 v38, v38, v51
	v_add_f32_e32 v38, v38, v50
	v_cvt_i32_f32_e32 v51, v51
	v_exp_f32_e32 v38, v38
	v_ldexp_f32 v1, v1, v43
	v_cmp_ngt_f32_e32 vcc, s65, v37
	v_ldexp_f32 v25, v25, v48
	v_cndmask_b32_e32 v1, 0, v1, vcc
	v_cmp_ngt_f32_e32 vcc, s65, v36
	v_cndmask_b32_e32 v25, 0, v25, vcc
	v_cmp_nlt_f32_e32 vcc, s94, v37
	v_mul_f32_e32 v39, 0x3fb8aa3b, v8
	v_cndmask_b32_e32 v1, v132, v1, vcc
	v_cmp_nlt_f32_e32 vcc, s94, v36
	v_fma_f32 v52, v8, s43, -v39
	v_rndne_f32_e32 v139, v39
	v_ldexp_f32 v38, v38, v51
	v_cndmask_b32_e32 v25, v132, v25, vcc
	v_cmp_ngt_f32_e32 vcc, s65, v9
	v_fmac_f32_e32 v52, 0x32a5705f, v8
	v_sub_f32_e32 v39, v39, v139
	v_cndmask_b32_e32 v36, 0, v38, vcc
	v_cmp_nlt_f32_e32 vcc, s94, v9
	v_pk_add_f32 v[6:7], v[6:7], v[2:3] op_sel_hi:[1,0] neg_lo:[0,1] neg_hi:[0,1]
	v_add_f32_e32 v39, v39, v52
	v_cndmask_b32_e32 v44, v132, v36, vcc
	v_mul_f32_e32 v36, 0x3fb8aa3b, v7
	v_cvt_i32_f32_e32 v139, v139
	v_exp_f32_e32 v39, v39
	v_fma_f32 v37, v7, s43, -v36
	v_rndne_f32_e32 v38, v36
	v_fmac_f32_e32 v37, 0x32a5705f, v7
	v_sub_f32_e32 v36, v36, v38
	v_add_f32_e32 v36, v36, v37
	v_exp_f32_e32 v36, v36
	v_cvt_i32_f32_e32 v37, v38
	v_ldexp_f32 v9, v39, v139
	v_cmp_ngt_f32_e32 vcc, s65, v8
	v_cndmask_b32_e32 v9, 0, v9, vcc
	v_cmp_nlt_f32_e32 vcc, s94, v8
	v_cndmask_b32_e32 v48, v132, v9, vcc
	v_mov_b32_e32 v8, s9
	v_add_co_u32_e32 v9, vcc, s8, v16
	v_ldexp_f32 v50, v36, v37
	v_addc_co_u32_e32 v36, vcc, v8, v17, vcc
	v_add_co_u32_e32 v8, vcc, v9, v74
	v_addc_co_u32_e32 v9, vcc, 0, v36, vcc
	v_mov_b32_e32 v36, s9
	v_add_co_u32_e32 v37, vcc, s8, v18
	v_addc_co_u32_e32 v36, vcc, v36, v19, vcc
	v_add_co_u32_e32 v42, vcc, v37, v74
	v_addc_co_u32_e32 v43, vcc, 0, v36, vcc
	global_load_dwordx4 v[36:39], v[8:9], off
	global_load_dwordx4 v[140:143], v[42:43], off
	v_mul_f32_e32 v51, 0x3fb8aa3b, v6
	v_fma_f32 v52, v6, s43, -v51
	v_rndne_f32_e32 v8, v51
	v_fmac_f32_e32 v52, 0x32a5705f, v6
	v_sub_f32_e32 v9, v51, v8
	v_add_f32_e32 v9, v9, v52
	v_exp_f32_e32 v9, v9
	v_cvt_i32_f32_e32 v8, v8
	v_cmp_ngt_f32_e32 vcc, s65, v7
	v_pk_add_f32 v[4:5], v[4:5], v[2:3] op_sel_hi:[1,0] neg_lo:[0,1] neg_hi:[0,1]
	v_cndmask_b32_e32 v42, 0, v50, vcc
	v_cmp_nlt_f32_e32 vcc, s94, v7
	v_ldexp_f32 v8, v9, v8
	v_mul_f32_e32 v9, 0x3fb8aa3b, v5
	v_cndmask_b32_e32 v7, v132, v42, vcc
	v_fma_f32 v42, v5, s43, -v9
	v_rndne_f32_e32 v43, v9
	v_fmac_f32_e32 v42, 0x32a5705f, v5
	v_sub_f32_e32 v9, v9, v43
	v_add_f32_e32 v9, v9, v42
	v_exp_f32_e32 v9, v9
	v_cvt_i32_f32_e32 v42, v43
	v_cmp_ngt_f32_e32 vcc, s65, v6
	v_cndmask_b32_e32 v8, 0, v8, vcc
	v_cmp_nlt_f32_e32 vcc, s94, v6
	v_cndmask_b32_e32 v43, v132, v8, vcc
	v_mul_f32_e32 v8, 0x3fb8aa3b, v4
	v_ldexp_f32 v6, v9, v42
	v_fma_f32 v9, v4, s43, -v8
	v_rndne_f32_e32 v42, v8
	v_fmac_f32_e32 v9, 0x32a5705f, v4
	v_sub_f32_e32 v8, v8, v42
	v_add_f32_e32 v8, v8, v9
	v_exp_f32_e32 v8, v8
	v_cvt_i32_f32_e32 v9, v42
	v_cmp_ngt_f32_e32 vcc, s65, v5
	v_cndmask_b32_e32 v6, 0, v6, vcc
	v_cmp_nlt_f32_e32 vcc, s94, v5
	v_cndmask_b32_e32 v42, v132, v6, vcc
	v_ldexp_f32 v5, v8, v9
	v_cmp_ngt_f32_e32 vcc, s65, v4
	v_cndmask_b32_e32 v5, 0, v5, vcc
	v_cmp_nlt_f32_e32 vcc, s94, v4
	v_cndmask_b32_e32 v50, v132, v5, vcc
	v_sub_f32_e32 v5, v34, v2
	v_mul_f32_e32 v6, 0x3fb8aa3b, v5
	v_fma_f32 v8, v5, s43, -v6
	v_rndne_f32_e32 v9, v6
	v_add_f32_e32 v4, v25, v1
	v_fmac_f32_e32 v8, 0x32a5705f, v5
	v_sub_f32_e32 v6, v6, v9
	v_add_f32_e32 v4, v48, v4
	v_add_f32_e32 v6, v6, v8
	v_exp_f32_e32 v6, v6
	v_cvt_i32_f32_e32 v8, v9
	v_add_f32_e32 v4, v44, v4
	v_add_f32_e32 v4, v43, v4
	;; [unrolled: 1-line block ×4, first 2 shown]
	v_ldexp_f32 v6, v6, v8
	v_cmp_ngt_f32_e32 vcc, s65, v5
	v_add_f32_e32 v139, v42, v4
	v_cvt_f16_f32_e32 v4, v25
	v_cvt_f16_f32_e32 v1, v1
	v_cndmask_b32_e32 v6, 0, v6, vcc
	v_cmp_nlt_f32_e32 vcc, s94, v5
	v_cndmask_b32_e32 v6, v132, v6, vcc
	v_cmp_le_f32_e32 vcc, s95, v5
	v_cndmask_b32_e32 v5, 0, v6, vcc
	v_cvt_f16_f32_e32 v34, v5
	v_pack_b32_f16 v8, v4, v1
	s_waitcnt vmcnt(1)
	ds_write_b128 v57, v[36:39]
	s_waitcnt vmcnt(0)
	ds_write_b128 v120, v[140:143]
	s_waitcnt lgkmcnt(0)
	s_barrier
	ds_read_u16 v1, v60 offset:144
	ds_read_u16 v36, v60 offset:288
	ds_read_u16 v37, v61
	v_cvt_f16_f32_e32 v6, v44
	v_cvt_f16_f32_e32 v9, v48
	v_fmac_f32_e32 v139, v46, v5
	v_pk_mul_f16 v46, v34, v134 op_sel_hi:[0,1]
	v_cvt_f16_f32_e32 v38, v7
	ds_read_u16 v7, v59
	ds_read_u16 v39, v59 offset:32
	ds_read_u16 v48, v59 offset:64
	ds_read_u16 v51, v59 offset:4608
	ds_read_u16 v134, v59 offset:96
	v_pk_mul_f16 v5, v34, v53 op_sel_hi:[0,1]
	s_waitcnt lgkmcnt(5)
	v_perm_b32 v37, v37, v36, s54
	s_waitcnt lgkmcnt(4)
	v_perm_b32 v36, v1, v7, s54
	v_pack_b32_f16 v9, v9, v6
	v_cvt_f32_f16_e32 v4, v5
	v_cvt_f32_f16_sdwa v5, v5 dst_sel:DWORD dst_unused:UNUSED_PAD src0_sel:WORD_1
	v_cvt_f32_f16_e32 v6, v46
	v_cvt_f32_f16_sdwa v7, v46 dst_sel:DWORD dst_unused:UNUSED_PAD src0_sel:WORD_1
	v_pk_mul_f16 v53, v34, v135 op_sel_hi:[0,1]
	v_cvt_f16_f32_e32 v1, v43
	v_mfma_f32_16x16x16f16 v[4:7], v[36:37], v[8:9], v[4:7]
	v_cvt_f16_f32_e32 v43, v50
	ds_read_u16 v46, v122 offset:144
	ds_read_u16 v135, v122 offset:288
	;; [unrolled: 1-line block ×5, first 2 shown]
	v_cvt_f16_f32_e32 v42, v42
	v_pk_mul_f16 v52, v34, v136 op_sel_hi:[0,1]
	v_pk_mul_f16 v25, v34, v138 op_sel_hi:[0,1]
	;; [unrolled: 1-line block ×3, first 2 shown]
	s_waitcnt lgkmcnt(0)
	v_perm_b32 v37, v37, v36, s54
	v_cvt_f16_f32_e32 v4, v4
	v_cvt_f16_f32_e32 v5, v5
	;; [unrolled: 1-line block ×4, first 2 shown]
	v_perm_b32 v36, v50, v51, s54
	v_cvt_f32_f16_e32 v4, v4
	v_cvt_f32_f16_e32 v5, v5
	;; [unrolled: 1-line block ×3, first 2 shown]
	ds_read_u16 v136, v61 offset:32
	ds_read_u16 v137, v61 offset:64
	;; [unrolled: 1-line block ×3, first 2 shown]
	v_cvt_f32_f16_e32 v7, v7
	v_pack_b32_f16 v50, v1, v38
	v_pack_b32_f16 v51, v43, v42
	s_waitcnt lgkmcnt(2)
	v_perm_b32 v43, v136, v135, s54
	v_perm_b32 v42, v46, v39, s54
	v_mfma_f32_16x16x16f16 v[4:7], v[36:37], v[50:51], v[4:7]
	v_cvt_f32_f16_e32 v36, v52
	v_cvt_f32_f16_sdwa v37, v52 dst_sel:DWORD dst_unused:UNUSED_PAD src0_sel:WORD_1
	v_cvt_f32_f16_e32 v38, v53
	v_cvt_f32_f16_sdwa v39, v53 dst_sel:DWORD dst_unused:UNUSED_PAD src0_sel:WORD_1
	v_pk_mul_f16 v140, v34, v41 op_sel_hi:[0,1]
	v_pk_mul_f16 v34, v34, v40 op_sel_hi:[0,1]
	ds_bpermute_b32 v3, v3, v139
	v_mfma_f32_16x16x16f16 v[36:39], v[42:43], v[8:9], v[36:39]
	s_nop 2
	v_cvt_f16_f32_e32 v1, v4
	v_cvt_f16_f32_e32 v4, v5
	;; [unrolled: 1-line block ×3, first 2 shown]
	s_waitcnt lgkmcnt(0)
	v_add_f32_e32 v3, v139, v3
	s_cselect_b64 s[8:9], -1, 0
	v_pack_b32_f16 v4, v1, v4
	s_xor_b64 s[72:73], s[0:1], -1
	v_cvt_f16_f32_e32 v5, v36
	v_cvt_f16_f32_e32 v37, v37
	;; [unrolled: 1-line block ×4, first 2 shown]
	v_cvt_f32_f16_e32 v36, v5
	ds_read_u16 v5, v62 offset:4608
	ds_read_u16 v40, v63 offset:144
	;; [unrolled: 1-line block ×8, first 2 shown]
	s_waitcnt lgkmcnt(4)
	v_perm_b32 v41, v42, v41, s54
	v_perm_b32 v40, v40, v5, s54
	v_cvt_f32_f16_e32 v37, v37
	v_cvt_f32_f16_e32 v38, v38
	;; [unrolled: 1-line block ×3, first 2 shown]
	v_cvt_f16_f32_e32 v5, v6
	s_waitcnt lgkmcnt(2)
	v_perm_b32 v7, v137, v46, s54
	v_perm_b32 v6, v43, v48, s54
	v_mfma_f32_16x16x16f16 v[36:39], v[40:41], v[50:51], v[36:39]
	v_cvt_f32_f16_e32 v40, v25
	v_cvt_f32_f16_sdwa v41, v25 dst_sel:DWORD dst_unused:UNUSED_PAD src0_sel:WORD_1
	v_cvt_f32_f16_e32 v42, v44
	v_cvt_f32_f16_sdwa v43, v44 dst_sel:DWORD dst_unused:UNUSED_PAD src0_sel:WORD_1
	v_pack_b32_f16 v1, v5, v135
	s_or_b64 s[8:9], s[72:73], s[8:9]
	s_nop 4
	v_cvt_f16_f32_e32 v5, v36
	v_mfma_f32_16x16x16f16 v[40:43], v[6:7], v[8:9], v[40:43]
	v_cvt_f16_f32_e32 v25, v37
	v_cvt_f16_f32_e32 v141, v39
	s_nop 7
	s_nop 0
	v_cvt_f16_f32_e32 v6, v40
	v_cvt_f16_f32_e32 v7, v41
	v_cvt_f16_f32_e32 v36, v42
	v_cvt_f16_f32_e32 v43, v43
	v_cvt_f32_f16_e32 v40, v6
	v_cvt_f32_f16_e32 v41, v7
	v_cvt_f32_f16_e32 v42, v36
	ds_read_u16 v6, v125 offset:288
	ds_read_u16 v7, v67 offset:4608
	ds_read_u16 v44, v126 offset:144
	ds_read_u16 v46, v126 offset:288
	ds_read_u16 v48, v68 offset:4608
	ds_read_u16 v135, v69 offset:144
	ds_read_u16 v136, v127 offset:288
	ds_read_u16 v137, v70 offset:4608
	s_waitcnt lgkmcnt(6)
	v_perm_b32 v37, v7, v6, s54
	v_perm_b32 v36, v53, v52, s54
	v_cvt_f32_f16_e32 v43, v43
	s_waitcnt lgkmcnt(4)
	v_perm_b32 v53, v138, v46, s54
	v_perm_b32 v52, v44, v134, s54
	v_cvt_f16_f32_e32 v7, v38
	v_mfma_f32_16x16x16f16 v[36:39], v[36:37], v[50:51], v[40:43]
	v_pack_b32_f16 v6, v5, v25
	s_waitcnt lgkmcnt(0)
	v_pack_b32_f16 v5, v7, v141
	s_barrier
	s_nop 2
	v_cvt_f32_f16_e32 v40, v140
	v_cvt_f32_f16_sdwa v41, v140 dst_sel:DWORD dst_unused:UNUSED_PAD src0_sel:WORD_1
	v_cvt_f32_f16_e32 v42, v34
	v_cvt_f32_f16_sdwa v43, v34 dst_sel:DWORD dst_unused:UNUSED_PAD src0_sel:WORD_1
	v_cvt_f16_f32_e32 v7, v36
	v_cvt_f16_f32_e32 v25, v37
	v_mfma_f32_16x16x16f16 v[40:43], v[52:53], v[8:9], v[40:43]
	v_perm_b32 v37, v137, v136, s54
	v_perm_b32 v36, v135, v48, s54
	s_nop 7
	s_nop 0
	v_cvt_f16_f32_e32 v8, v40
	v_cvt_f16_f32_e32 v9, v41
	;; [unrolled: 1-line block ×4, first 2 shown]
	v_cvt_f32_f16_e32 v40, v8
	v_cvt_f32_f16_e32 v41, v9
	;; [unrolled: 1-line block ×4, first 2 shown]
	v_cvt_f16_f32_e32 v9, v38
	v_cvt_f16_f32_e32 v34, v39
	v_mfma_f32_16x16x16f16 v[36:39], v[36:37], v[50:51], v[40:43]
	v_pack_b32_f16 v8, v7, v25
	v_pack_b32_f16 v7, v9, v34
	s_nop 7
	s_nop 0
	v_cvt_f16_f32_e32 v25, v36
	v_cvt_f16_f32_e32 v36, v37
	;; [unrolled: 1-line block ×4, first 2 shown]
	v_pack_b32_f16 v34, v25, v36
	ds_bpermute_b32 v25, v15, v3
	v_pack_b32_f16 v9, v9, v37
	s_waitcnt lgkmcnt(0)
	v_add_f32_e32 v3, v3, v25
	s_and_saveexec_b64 s[72:73], s[8:9]
	s_xor_b64 s[8:9], exec, s[72:73]
	s_andn2_saveexec_b64 s[8:9], s[8:9]
	s_cbranch_execz .LBB0_42
; %bb.41:                               ;   in Loop: Header=BB0_14 Depth=1
	v_lshlrev_b32_e32 v25, 2, v24
	global_load_dword v25, v25, s[70:71]
	v_max_f32_e32 v36, v2, v2
	s_waitcnt vmcnt(0)
	v_max_f32_e32 v37, v25, v25
	v_max_f32_e32 v36, v36, v37
	v_sub_f32_e32 v2, v2, v36
	v_sub_f32_e32 v25, v25, v36
	v_mul_f32_e32 v37, 0x3fb8aa3b, v2
	v_mul_f32_e32 v38, 0x3fb8aa3b, v25
	v_fma_f32 v39, v2, s43, -v37
	v_rndne_f32_e32 v40, v37
	v_fma_f32 v41, v25, s43, -v38
	v_rndne_f32_e32 v42, v38
	v_fmac_f32_e32 v39, 0x32a5705f, v2
	v_sub_f32_e32 v37, v37, v40
	v_fmac_f32_e32 v41, 0x32a5705f, v25
	v_sub_f32_e32 v38, v38, v42
	v_add_f32_e32 v37, v37, v39
	v_cvt_i32_f32_e32 v40, v40
	v_add_f32_e32 v38, v38, v41
	v_exp_f32_e32 v37, v37
	v_cvt_i32_f32_e32 v42, v42
	v_exp_f32_e32 v38, v38
	v_cmp_ngt_f32_e32 vcc, s65, v2
	v_ldexp_f32 v37, v37, v40
	v_cndmask_b32_e32 v37, 0, v37, vcc
	v_ldexp_f32 v38, v38, v42
	v_cmp_ngt_f32_e32 vcc, s65, v25
	v_cndmask_b32_e32 v38, 0, v38, vcc
	v_cmp_nlt_f32_e32 vcc, s94, v2
	v_cndmask_b32_e32 v37, v132, v37, vcc
	v_cmp_le_f32_e32 vcc, s95, v2
	v_cndmask_b32_e32 v2, 0, v37, vcc
	v_cvt_f16_f32_e32 v39, v2
	v_cmp_nlt_f32_e32 vcc, s94, v25
	v_cndmask_b32_e32 v37, v132, v38, vcc
	v_fmac_f32_e32 v37, v3, v2
	v_pk_mul_f16 v4, v39, v4 op_sel_hi:[0,1]
	v_pk_mul_f16 v1, v39, v1 op_sel_hi:[0,1]
	v_pk_mul_f16 v6, v39, v6 op_sel_hi:[0,1]
	v_pk_mul_f16 v5, v39, v5 op_sel_hi:[0,1]
	v_pk_mul_f16 v8, v39, v8 op_sel_hi:[0,1]
	v_pk_mul_f16 v7, v39, v7 op_sel_hi:[0,1]
	v_pk_mul_f16 v34, v39, v34 op_sel_hi:[0,1]
	v_pk_mul_f16 v9, v39, v9 op_sel_hi:[0,1]
	v_pk_mov_b32 v[2:3], v[36:37], v[36:37] op_sel:[0,1]
.LBB0_42:                               ;   in Loop: Header=BB0_14 Depth=1
	s_or_b64 exec, exec, s[8:9]
	s_and_saveexec_b64 s[8:9], s[4:5]
	s_cbranch_execz .LBB0_44
; %bb.43:                               ;   in Loop: Header=BB0_14 Depth=1
	v_add_u32_e32 v25, 0, v80
	ds_write2_b32 v25, v2, v3 offset0:32 offset1:33
.LBB0_44:                               ;   in Loop: Header=BB0_14 Depth=1
	s_or_b64 exec, exec, s[8:9]
	s_waitcnt lgkmcnt(0)
	s_barrier
	s_and_saveexec_b64 s[8:9], s[2:3]
	s_xor_b64 s[8:9], exec, s[8:9]
	s_cbranch_execz .LBB0_46
; %bb.45:                               ;   in Loop: Header=BB0_14 Depth=1
	s_barrier
	s_waitcnt lgkmcnt(0)
                                        ; implicit-def: $vgpr15
.LBB0_46:                               ;   in Loop: Header=BB0_14 Depth=1
	s_andn2_saveexec_b64 s[8:9], s[8:9]
	s_cbranch_execz .LBB0_52
; %bb.47:                               ;   in Loop: Header=BB0_14 Depth=1
	v_add_u32_e32 v3, 0, v81
	ds_read_b64 v[38:39], v3 offset:128
	s_waitcnt lgkmcnt(0)
	s_barrier
	ds_bpermute_b32 v2, v15, v38
	v_max_f32_e32 v25, v38, v38
	s_waitcnt lgkmcnt(0)
	v_max_f32_e32 v2, v2, v2
	v_max_f32_e32 v2, v25, v2
	v_sub_f32_e32 v25, v38, v2
	v_mul_f32_e32 v36, 0x3fb8aa3b, v25
	v_fma_f32 v37, v25, s43, -v36
	v_rndne_f32_e32 v38, v36
	v_fmac_f32_e32 v37, 0x32a5705f, v25
	v_sub_f32_e32 v36, v36, v38
	v_add_f32_e32 v36, v36, v37
	v_cvt_i32_f32_e32 v38, v38
	v_exp_f32_e32 v36, v36
	v_cmp_ngt_f32_e32 vcc, s65, v25
	v_ldexp_f32 v36, v36, v38
	v_cndmask_b32_e32 v36, 0, v36, vcc
	v_cmp_nlt_f32_e32 vcc, s94, v25
	v_cndmask_b32_e32 v36, v132, v36, vcc
	v_mul_f32_e32 v25, v39, v36
	ds_bpermute_b32 v37, v15, v25
	s_waitcnt lgkmcnt(0)
	v_fmac_f32_e32 v37, v39, v36
	s_mov_b64 s[72:73], exec
	v_readlane_b32 s74, v160, 16
	v_readlane_b32 s75, v160, 17
	s_and_b64 s[74:75], s[72:73], s[74:75]
	s_mov_b64 exec, s[74:75]
	s_cbranch_execz .LBB0_49
; %bb.48:                               ;   in Loop: Header=BB0_14 Depth=1
	ds_write_b64 v3, v[36:37] offset:128
.LBB0_49:                               ;   in Loop: Header=BB0_14 Depth=1
	s_or_b64 exec, exec, s[72:73]
	s_and_saveexec_b64 s[72:73], s[4:5]
	s_cbranch_execz .LBB0_51
; %bb.50:                               ;   in Loop: Header=BB0_14 Depth=1
	v_mov_b32_e32 v3, v37
	global_store_dwordx2 v[12:13], v[2:3], off
.LBB0_51:                               ;   in Loop: Header=BB0_14 Depth=1
	s_or_b64 exec, exec, s[72:73]
.LBB0_52:                               ;   in Loop: Header=BB0_14 Depth=1
	s_or_b64 exec, exec, s[8:9]
	ds_write2_b32 v82, v4, v1 offset1:1
	ds_write2_b32 v82, v6, v5 offset0:8 offset1:9
	ds_write2_b32 v82, v8, v7 offset0:16 offset1:17
	;; [unrolled: 1-line block ×3, first 2 shown]
	s_waitcnt lgkmcnt(0)
	s_barrier
	s_and_saveexec_b64 s[72:73], s[0:1]
	s_cbranch_execz .LBB0_90
; %bb.53:                               ;   in Loop: Header=BB0_14 Depth=1
	v_add_u32_e32 v2, s89, v83
	v_or_b32_e32 v1, s64, v26
	v_cmp_gt_i32_e64 s[8:9], s28, v2
	v_cmp_gt_i32_e32 vcc, s33, v1
	s_and_b64 s[8:9], s[8:9], vcc
	v_mov_b32_e32 v1, 0x47
	s_and_saveexec_b64 s[74:75], s[8:9]
	s_cbranch_execz .LBB0_55
; %bb.54:                               ;   in Loop: Header=BB0_14 Depth=1
	v_add_u32_e32 v1, 0, v84
	v_add_u32_e32 v1, 0x80, v1
	ds_read2st64_b32 v[4:5], v1 offset1:9
	ds_read2st64_b32 v[6:7], v85 offset1:9
	v_mad_u64_u32 v[2:3], s[8:9], v2, s29, v[26:27]
	v_lshl_or_b32 v2, v2, 5, v14
	v_ashrrev_i32_e32 v3, 31, v2
	s_waitcnt lgkmcnt(0)
	v_cvt_f32_f16_sdwa v9, v6 dst_sel:DWORD dst_unused:UNUSED_PAD src0_sel:WORD_1
	v_cvt_f32_f16_e32 v8, v6
	v_cvt_f32_f16_sdwa v37, v7 dst_sel:DWORD dst_unused:UNUSED_PAD src0_sel:WORD_1
	v_cvt_f32_f16_e32 v36, v7
	v_lshlrev_b64 v[2:3], 3, v[2:3]
	v_mov_b32_e32 v1, s55
	v_add_co_u32_e64 v2, s[8:9], s6, v2
	v_pk_fma_f32 v[6:7], v[4:5], v[8:9], 0 op_sel_hi:[0,1,0]
	v_mov_b32_e32 v4, v5
	v_addc_co_u32_e64 v3, s[8:9], v1, v3, s[8:9]
	v_pk_fma_f32 v[4:5], v[4:5], v[36:37], v[6:7] op_sel_hi:[0,1,1]
	v_mov_b32_e32 v1, 0
	global_store_dwordx2 v[2:3], v[4:5], off
.LBB0_55:                               ;   in Loop: Header=BB0_14 Depth=1
	s_or_b64 exec, exec, s[74:75]
	s_movk_i32 s8, 0x47
	v_cmp_gt_i32_e64 s[8:9], s8, v1
	s_mov_b64 s[74:75], -1
	s_and_saveexec_b64 s[76:77], s[8:9]
; %bb.56:                               ;   in Loop: Header=BB0_14 Depth=1
	v_cmp_eq_u32_e64 s[8:9], 0, v1
	s_orn2_b64 s[74:75], s[8:9], exec
; %bb.57:                               ;   in Loop: Header=BB0_14 Depth=1
	s_or_b64 exec, exec, s[76:77]
	s_and_b64 exec, exec, s[74:75]
	s_cbranch_execz .LBB0_90
; %bb.58:                               ;   in Loop: Header=BB0_14 Depth=1
	v_add_u32_e32 v2, s89, v86
	v_cmp_gt_i32_e64 s[8:9], s28, v2
	s_and_b64 s[8:9], s[8:9], vcc
	v_mov_b32_e32 v1, 0x47
	s_and_saveexec_b64 s[74:75], s[8:9]
	s_cbranch_execz .LBB0_60
; %bb.59:                               ;   in Loop: Header=BB0_14 Depth=1
	v_add_u32_e32 v1, 0, v87
	v_add_u32_e32 v1, 0x80, v1
	ds_read2st64_b32 v[4:5], v1 offset1:9
	ds_read2st64_b32 v[6:7], v88 offset1:9
	v_mad_u64_u32 v[2:3], s[8:9], v2, s29, v[26:27]
	v_lshl_or_b32 v2, v2, 5, v14
	v_ashrrev_i32_e32 v3, 31, v2
	s_waitcnt lgkmcnt(0)
	v_cvt_f32_f16_sdwa v9, v6 dst_sel:DWORD dst_unused:UNUSED_PAD src0_sel:WORD_1
	v_cvt_f32_f16_e32 v8, v6
	v_cvt_f32_f16_sdwa v37, v7 dst_sel:DWORD dst_unused:UNUSED_PAD src0_sel:WORD_1
	v_cvt_f32_f16_e32 v36, v7
	v_lshlrev_b64 v[2:3], 3, v[2:3]
	v_mov_b32_e32 v1, s55
	v_add_co_u32_e64 v2, s[8:9], s6, v2
	v_pk_fma_f32 v[6:7], v[4:5], v[8:9], 0 op_sel_hi:[0,1,0]
	v_mov_b32_e32 v4, v5
	v_addc_co_u32_e64 v3, s[8:9], v1, v3, s[8:9]
	v_pk_fma_f32 v[4:5], v[4:5], v[36:37], v[6:7] op_sel_hi:[0,1,1]
	v_mov_b32_e32 v1, 0
	global_store_dwordx2 v[2:3], v[4:5], off
.LBB0_60:                               ;   in Loop: Header=BB0_14 Depth=1
	s_or_b64 exec, exec, s[74:75]
	s_movk_i32 s8, 0x47
	v_cmp_gt_i32_e64 s[8:9], s8, v1
	s_mov_b64 s[74:75], -1
	s_and_saveexec_b64 s[76:77], s[8:9]
; %bb.61:                               ;   in Loop: Header=BB0_14 Depth=1
	v_cmp_eq_u32_e64 s[8:9], 0, v1
	s_orn2_b64 s[74:75], s[8:9], exec
; %bb.62:                               ;   in Loop: Header=BB0_14 Depth=1
	s_or_b64 exec, exec, s[76:77]
	s_and_b64 exec, exec, s[74:75]
	s_cbranch_execz .LBB0_90
; %bb.63:                               ;   in Loop: Header=BB0_14 Depth=1
	v_add_u32_e32 v2, s89, v89
	v_cmp_gt_i32_e64 s[8:9], s28, v2
	;; [unrolled: 42-line block ×7, first 2 shown]
	s_and_b64 s[8:9], s[8:9], vcc
	s_and_b64 exec, exec, s[8:9]
	s_cbranch_execz .LBB0_90
; %bb.89:                               ;   in Loop: Header=BB0_14 Depth=1
	v_mad_u64_u32 v[2:3], s[8:9], v1, s29, v[26:27]
	v_add_u32_e32 v1, 0, v105
	v_add_u32_e32 v1, 0x80, v1
	ds_read2st64_b32 v[4:5], v1 offset1:9
	ds_read2st64_b32 v[6:7], v106 offset1:9
	v_lshl_or_b32 v2, v2, 5, v14
	v_ashrrev_i32_e32 v3, 31, v2
	v_lshlrev_b64 v[2:3], 3, v[2:3]
	v_mov_b32_e32 v1, s55
	s_waitcnt lgkmcnt(0)
	v_cvt_f32_f16_sdwa v9, v6 dst_sel:DWORD dst_unused:UNUSED_PAD src0_sel:WORD_1
	v_cvt_f32_f16_e32 v8, v6
	v_cvt_f32_f16_sdwa v37, v7 dst_sel:DWORD dst_unused:UNUSED_PAD src0_sel:WORD_1
	v_cvt_f32_f16_e32 v36, v7
	v_add_co_u32_e32 v2, vcc, s6, v2
	v_pk_fma_f32 v[6:7], v[4:5], v[8:9], 0 op_sel_hi:[0,1,0]
	v_mov_b32_e32 v4, v5
	v_addc_co_u32_e32 v3, vcc, v1, v3, vcc
	v_pk_fma_f32 v[4:5], v[4:5], v[36:37], v[6:7] op_sel_hi:[0,1,1]
	global_store_dwordx2 v[2:3], v[4:5], off
.LBB0_90:                               ;   in Loop: Header=BB0_14 Depth=1
	s_or_b64 exec, exec, s[72:73]
	s_barrier
	s_branch .LBB0_13
.LBB0_91:                               ;   in Loop: Header=BB0_14 Depth=1
	s_lshl_b32 s76, s88, 4
	v_add_u32_e32 v1, s76, v75
	v_cmp_gt_i32_e64 s[8:9], s33, v11
	v_cmp_le_i32_e32 vcc, s28, v1
	s_xor_b64 s[8:9], s[8:9], -1
	s_or_b64 s[72:73], vcc, s[8:9]
	s_and_saveexec_b64 s[74:75], s[72:73]
	s_xor_b64 s[72:73], exec, s[74:75]
	s_cbranch_execz .LBB0_93
; %bb.92:                               ;   in Loop: Header=BB0_14 Depth=1
	ds_write_b32 v77, v117
                                        ; implicit-def: $vgpr1
.LBB0_93:                               ;   in Loop: Header=BB0_14 Depth=1
	s_andn2_saveexec_b64 s[72:73], s[72:73]
	s_cbranch_execz .LBB0_95
; %bb.94:                               ;   in Loop: Header=BB0_14 Depth=1
	v_mad_u64_u32 v[2:3], s[74:75], v1, s53, v[30:31]
	v_ashrrev_i32_e32 v3, 31, v2
	v_lshlrev_b64 v[2:3], 3, v[2:3]
	v_mov_b32_e32 v1, s51
	v_add_co_u32_e32 v2, vcc, s50, v2
	v_addc_co_u32_e32 v3, vcc, v1, v3, vcc
	global_load_dwordx2 v[2:3], v[2:3], off
	s_waitcnt vmcnt(0)
	v_cvt_f16_f32_e32 v1, v2
	v_cvt_f16_f32_e32 v2, v3
	v_pack_b32_f16 v1, v1, v2
	v_pk_mul_f16 v1, v27, v1
	ds_write_b32 v77, v1
.LBB0_95:                               ;   in Loop: Header=BB0_14 Depth=1
	s_or_b64 exec, exec, s[72:73]
	v_add_u32_e32 v1, s76, v129
	v_cmp_le_i32_e32 vcc, s28, v1
	s_or_b64 s[72:73], vcc, s[8:9]
	s_and_saveexec_b64 s[74:75], s[72:73]
	s_xor_b64 s[72:73], exec, s[74:75]
	s_cbranch_execz .LBB0_97
; %bb.96:                               ;   in Loop: Header=BB0_14 Depth=1
	ds_write_b32 v77, v117 offset:1152
                                        ; implicit-def: $vgpr1
.LBB0_97:                               ;   in Loop: Header=BB0_14 Depth=1
	s_andn2_saveexec_b64 s[72:73], s[72:73]
	s_cbranch_execz .LBB0_99
; %bb.98:                               ;   in Loop: Header=BB0_14 Depth=1
	v_mad_u64_u32 v[2:3], s[74:75], v1, s53, v[30:31]
	v_ashrrev_i32_e32 v3, 31, v2
	v_lshlrev_b64 v[2:3], 3, v[2:3]
	v_mov_b32_e32 v1, s51
	v_add_co_u32_e32 v2, vcc, s50, v2
	v_addc_co_u32_e32 v3, vcc, v1, v3, vcc
	global_load_dwordx2 v[2:3], v[2:3], off
	s_waitcnt vmcnt(0)
	v_cvt_f16_f32_e32 v1, v2
	v_cvt_f16_f32_e32 v2, v3
	v_pack_b32_f16 v1, v1, v2
	v_pk_mul_f16 v1, v27, v1
	ds_write_b32 v77, v1 offset:1152
.LBB0_99:                               ;   in Loop: Header=BB0_14 Depth=1
	s_or_b64 exec, exec, s[72:73]
	v_add_u32_e32 v1, s76, v78
	v_cmp_le_i32_e32 vcc, s28, v1
	s_or_b64 s[72:73], vcc, s[8:9]
	s_and_saveexec_b64 s[74:75], s[72:73]
	s_xor_b64 s[72:73], exec, s[74:75]
	s_cbranch_execz .LBB0_101
; %bb.100:                              ;   in Loop: Header=BB0_14 Depth=1
	ds_write_b32 v77, v117 offset:2304
                                        ; implicit-def: $vgpr1
.LBB0_101:                              ;   in Loop: Header=BB0_14 Depth=1
	s_andn2_saveexec_b64 s[72:73], s[72:73]
	s_cbranch_execz .LBB0_103
; %bb.102:                              ;   in Loop: Header=BB0_14 Depth=1
	v_mad_u64_u32 v[2:3], s[74:75], v1, s53, v[30:31]
	v_ashrrev_i32_e32 v3, 31, v2
	v_lshlrev_b64 v[2:3], 3, v[2:3]
	v_mov_b32_e32 v1, s51
	v_add_co_u32_e32 v2, vcc, s50, v2
	v_addc_co_u32_e32 v3, vcc, v1, v3, vcc
	global_load_dwordx2 v[2:3], v[2:3], off
	s_waitcnt vmcnt(0)
	v_cvt_f16_f32_e32 v1, v2
	v_cvt_f16_f32_e32 v2, v3
	v_pack_b32_f16 v1, v1, v2
	v_pk_mul_f16 v1, v27, v1
	ds_write_b32 v77, v1 offset:2304
.LBB0_103:                              ;   in Loop: Header=BB0_14 Depth=1
	s_or_b64 exec, exec, s[72:73]
	v_add_u32_e32 v1, s76, v79
	v_cmp_le_i32_e32 vcc, s28, v1
	s_or_b64 s[8:9], vcc, s[8:9]
	s_and_saveexec_b64 s[72:73], s[8:9]
	s_xor_b64 s[8:9], exec, s[72:73]
	s_cbranch_execz .LBB0_105
; %bb.104:                              ;   in Loop: Header=BB0_14 Depth=1
	ds_write_b32 v77, v117 offset:3456
                                        ; implicit-def: $vgpr1
.LBB0_105:                              ;   in Loop: Header=BB0_14 Depth=1
	s_andn2_saveexec_b64 s[8:9], s[8:9]
	s_cbranch_execz .LBB0_107
; %bb.106:                              ;   in Loop: Header=BB0_14 Depth=1
	v_mad_u64_u32 v[2:3], s[72:73], v1, s53, v[30:31]
	v_ashrrev_i32_e32 v3, 31, v2
	v_lshlrev_b64 v[2:3], 3, v[2:3]
	v_mov_b32_e32 v1, s51
	v_add_co_u32_e32 v2, vcc, s50, v2
	v_addc_co_u32_e32 v3, vcc, v1, v3, vcc
	global_load_dwordx2 v[2:3], v[2:3], off
	s_waitcnt vmcnt(0)
	v_cvt_f16_f32_e32 v1, v2
	v_cvt_f16_f32_e32 v2, v3
	v_pack_b32_f16 v1, v1, v2
	v_pk_mul_f16 v1, v27, v1
	ds_write_b32 v77, v1 offset:3456
.LBB0_107:                              ;   in Loop: Header=BB0_14 Depth=1
	s_or_b64 exec, exec, s[8:9]
	s_waitcnt lgkmcnt(0)
	s_barrier
	ds_read2_b64 v[6:9], v55 offset1:4
	ds_read2_b64 v[2:5], v55 offset0:8 offset1:12
	s_cmp_gt_i32 s81, 1
	s_waitcnt lgkmcnt(0)
	s_barrier
	s_cbranch_scc1 .LBB0_109
; %bb.108:                              ;   in Loop: Header=BB0_14 Depth=1
	v_add_u32_e32 v1, s76, v49
	v_mul_hi_u32 v11, s40, v1
	v_add_u32_e32 v11, v1, v11
	v_lshrrev_b32_e32 v11, s41, v11
	v_mul_lo_u32 v11, v11, s28
	v_sub_u32_e32 v1, v1, v11
	v_mad_i64_i32 v[36:37], s[8:9], v1, s42, 0
	v_add_u32_e32 v1, s76, v119
	v_mul_hi_u32 v11, s40, v1
	v_add_u32_e32 v11, v1, v11
	v_lshrrev_b32_e32 v11, s41, v11
	v_mul_lo_u32 v11, v11, s28
	v_sub_u32_e32 v1, v1, v11
	v_mbcnt_hi_u32_b32 v43, -1, v130
	v_mad_i64_i32 v[38:39], s[8:9], v1, s42, 0
	v_and_b32_e32 v1, 64, v43
	s_mov_b32 s50, 0
	v_add_u32_e32 v134, 64, v1
	v_xor_b32_e32 v137, 32, v43
	v_xor_b32_e32 v135, 16, v43
	s_mov_b64 s[8:9], 0
	s_mov_b32 s51, 0xfeffffff
	s_branch .LBB0_110
.LBB0_109:                              ;   in Loop: Header=BB0_14 Depth=1
	s_mov_b64 s[8:9], -1
                                        ; implicit-def: $sgpr50
                                        ; implicit-def: $sgpr51
                                        ; implicit-def: $vgpr36_vgpr37
                                        ; implicit-def: $vgpr38_vgpr39
                                        ; implicit-def: $vgpr43
                                        ; implicit-def: $vgpr134
                                        ; implicit-def: $vgpr137
                                        ; implicit-def: $vgpr135
.LBB0_110:                              ;   in Loop: Header=BB0_14 Depth=1
	s_andn2_b64 vcc, exec, s[8:9]
	v_mov_b32_e32 v50, s50
	v_mov_b32_e32 v136, s50
	v_mov_b32_e32 v34, s51
	v_mov_b32_e32 v51, s50
	v_mov_b32_e32 v144, s50
	v_mov_b32_e32 v145, s50
	v_mov_b32_e32 v142, s50
	v_mov_b32_e32 v143, s50
	v_mov_b32_e32 v141, s50
	v_mov_b32_e32 v140, s50
	s_cbranch_vccnz .LBB0_113
; %bb.111:                              ;   in Loop: Header=BB0_14 Depth=1
	v_add_u32_e32 v1, s76, v49
	v_mul_hi_u32 v11, s40, v1
	v_add_u32_e32 v11, v1, v11
	v_lshrrev_b32_e32 v11, s41, v11
	v_mul_lo_u32 v11, v11, s28
	v_sub_u32_e32 v1, v1, v11
	v_add_u32_e32 v11, s76, v119
	v_mul_hi_u32 v15, s40, v11
	v_add_u32_e32 v15, v11, v15
	v_lshrrev_b32_e32 v15, s41, v15
	v_mul_lo_u32 v15, v15, s28
	v_sub_u32_e32 v11, v11, v15
	v_mbcnt_hi_u32_b32 v43, -1, v130
	v_mad_i64_i32 v[36:37], s[8:9], v1, s42, 0
	v_mad_i64_i32 v[38:39], s[8:9], v11, s42, 0
	v_and_b32_e32 v15, 64, v43
	v_add_u32_e32 v134, 64, v15
	v_xor_b32_e32 v137, 32, v43
	v_readlane_b32 s8, v160, 20
	v_cmp_lt_i32_e32 vcc, v137, v134
	v_xor_b32_e32 v135, 16, v43
	v_readlane_b32 s9, v160, 21
	s_mov_b32 s72, s8
	v_cndmask_b32_e32 v15, v43, v137, vcc
	v_cmp_lt_i32_e32 vcc, v135, v134
	v_mad_i64_i32 v[40:41], s[8:9], s72, v1, v[32:33]
	v_lshlrev_b32_e32 v138, 2, v15
	v_cndmask_b32_e32 v15, v43, v135, vcc
	v_add_co_u32_e32 v40, vcc, v107, v40
	s_add_i32 s50, s81, -1
	v_addc_co_u32_e32 v41, vcc, v108, v41, vcc
	v_mad_i64_i32 v[32:33], s[8:9], s72, v11, v[32:33]
	v_add_co_u32_e32 v32, vcc, v107, v32
	s_add_u32 s8, s61, s62
	v_addc_co_u32_e32 v33, vcc, v108, v33, vcc
	s_addc_u32 s9, s58, s63
	v_mov_b32_e32 v1, s9
	v_add_co_u32_e32 v42, vcc, s8, v109
	v_addc_co_u32_e32 v1, vcc, v110, v1, vcc
	v_mov_b32_e32 v11, s9
	v_add_co_u32_e32 v44, vcc, s8, v111
	s_add_u32 s8, s11, s78
	v_addc_co_u32_e32 v11, vcc, v112, v11, vcc
	s_addc_u32 s9, s10, s60
	v_lshlrev_b32_e32 v139, 2, v15
	v_mov_b32_e32 v15, s9
	v_add_co_u32_e32 v46, vcc, s8, v113
	v_addc_co_u32_e32 v15, vcc, v114, v15, vcc
	v_mov_b32_e32 v25, s9
	v_add_co_u32_e32 v48, vcc, s8, v115
	v_mov_b32_e32 v140, 0
	v_addc_co_u32_e32 v25, vcc, v116, v25, vcc
	v_mov_b32_e32 v136, 0
	v_mov_b32_e32 v34, 0xfeffffff
	s_mov_b32 s8, s50
	v_mov_b32_e32 v141, 0
	v_mov_b32_e32 v143, 0
	;; [unrolled: 1-line block ×7, first 2 shown]
.LBB0_112:                              ;   Parent Loop BB0_14 Depth=1
                                        ; =>  This Inner Loop Header: Depth=2
	v_mov_b32_e32 v158, v34
	global_load_dword v34, v[40:41], off
	v_add_u32_e32 v52, v76, v118
	v_mov_b32_e32 v159, v136
	s_add_i32 s8, s8, -1
	s_cmp_lg_u32 s8, 0
	s_waitcnt vmcnt(0)
	ds_write_b32 v52, v34 offset:9216
	global_load_dword v34, v[32:33], off
	s_waitcnt vmcnt(0)
	ds_write_b32 v52, v34 offset:10368
	v_add_co_u32_e32 v52, vcc, v46, v28
	v_addc_co_u32_e32 v53, vcc, 0, v15, vcc
	global_load_dwordx4 v[146:149], v[52:53], off
	v_add_co_u32_e32 v52, vcc, v48, v28
	v_addc_co_u32_e32 v53, vcc, 0, v25, vcc
	v_add_u32_e32 v34, v54, v56
	s_waitcnt vmcnt(0)
	ds_write_b128 v57, v[146:149]
	global_load_dwordx4 v[146:149], v[52:53], off
	s_waitcnt vmcnt(0)
	ds_write_b128 v120, v[146:149]
	s_waitcnt lgkmcnt(0)
	s_barrier
	ds_read2_b64 v[146:149], v34 offset1:4
	s_waitcnt lgkmcnt(0)
	v_mfma_f32_16x16x16f16 v[150:153], v[146:147], v[6:7], 0
	v_mfma_f32_16x16x16f16 v[146:149], v[148:149], v[8:9], v[150:153]
	s_nop 7
	s_nop 1
	ds_read2_b64 v[150:153], v34 offset0:8 offset1:12
	s_waitcnt lgkmcnt(0)
	v_mfma_f32_16x16x16f16 v[146:149], v[150:151], v[2:3], v[146:149]
	v_add_u32_e32 v34, 0x1000, v34
	v_mfma_f32_16x16x16f16 v[146:149], v[152:153], v[4:5], v[146:149]
	ds_read2_b64 v[150:153], v34 offset0:64 offset1:68
	s_waitcnt lgkmcnt(0)
	v_mfma_f32_16x16x16f16 v[154:157], v[150:151], v[6:7], 0
	v_mfma_f32_16x16x16f16 v[150:153], v[152:153], v[8:9], v[154:157]
	s_nop 7
	s_nop 1
	ds_read2_b64 v[154:157], v34 offset0:72 offset1:76
	s_waitcnt lgkmcnt(0)
	v_mfma_f32_16x16x16f16 v[150:153], v[154:155], v[2:3], v[150:153]
	v_add_u32_e32 v34, 0x2400, v58
	s_barrier
	ds_read2_b32 v[52:53], v34 offset1:1
	ds_read_b32 v34, v72 offset:9216
	ds_read_b32 v136, v73 offset:9216
	s_waitcnt lgkmcnt(2)
	v_cvt_f32_f16_e32 v154, v52
	v_cvt_f32_f16_sdwa v155, v52 dst_sel:DWORD dst_unused:UNUSED_PAD src0_sel:WORD_1
	v_mfma_f32_16x16x16f16 v[150:153], v[156:157], v[4:5], v[150:153]
	v_pk_add_f32 v[146:147], v[146:147], v[154:155]
	v_add_f32_e32 v52, 0x40051340, v146
	v_add_f32_e32 v154, 0x40051340, v147
	v_max3_f32 v156, v158, v52, v154
	s_waitcnt lgkmcnt(0)
	v_cvt_f32_f16_sdwa v155, v136 dst_sel:DWORD dst_unused:UNUSED_PAD src0_sel:WORD_1
	v_cvt_f32_f16_e32 v154, v136
	v_cvt_f32_f16_e32 v52, v53
	v_cvt_f32_f16_sdwa v53, v53 dst_sel:DWORD dst_unused:UNUSED_PAD src0_sel:WORD_1
	s_nop 1
	v_pk_add_f32 v[152:153], v[152:153], v[154:155]
	v_cvt_f32_f16_sdwa v155, v34 dst_sel:DWORD dst_unused:UNUSED_PAD src0_sel:WORD_1
	v_cvt_f32_f16_e32 v154, v34
	v_pk_add_f32 v[52:53], v[148:149], v[52:53]
	v_add_f32_e32 v148, 0x40051340, v52
	v_add_f32_e32 v149, 0x40051340, v53
	v_pk_add_f32 v[150:151], v[150:151], v[154:155]
	v_add_f32_e32 v34, 0x40051340, v150
	v_add_f32_e32 v154, 0x40051340, v151
	v_max3_f32 v148, v156, v148, v149
	v_add_f32_e32 v136, 0x40051340, v152
	v_add_f32_e32 v157, 0x40051340, v153
	v_max3_f32 v34, v148, v34, v154
	v_max3_f32 v34, v34, v136, v157
	ds_bpermute_b32 v136, v138, v34
	s_waitcnt lgkmcnt(0)
	v_max_f32_e32 v136, v136, v136
	v_max_f32_e32 v34, v34, v136
	ds_bpermute_b32 v136, v139, v34
	s_waitcnt lgkmcnt(0)
	v_max_f32_e32 v136, v136, v136
	v_max_f32_e32 v34, v34, v136
	v_pk_add_f32 v[146:147], v[146:147], v[34:35] op_sel_hi:[1,0] neg_lo:[0,1] neg_hi:[0,1]
	v_mul_f32_e32 v136, 0x3fb8aa3b, v147
	v_fma_f32 v148, v147, s43, -v136
	v_rndne_f32_e32 v149, v136
	v_fmac_f32_e32 v148, 0x32a5705f, v147
	v_sub_f32_e32 v136, v136, v149
	v_add_f32_e32 v136, v136, v148
	v_exp_f32_e32 v136, v136
	v_cvt_i32_f32_e32 v148, v149
	v_cmp_ngt_f32_e32 vcc, s65, v147
	v_pk_add_f32 v[52:53], v[52:53], v[34:35] op_sel_hi:[1,0] neg_lo:[0,1] neg_hi:[0,1]
	v_ldexp_f32 v136, v136, v148
	v_cndmask_b32_e32 v136, 0, v136, vcc
	v_cmp_nlt_f32_e32 vcc, s94, v147
	v_cndmask_b32_e32 v149, v132, v136, vcc
	v_mul_f32_e32 v136, 0x3fb8aa3b, v146
	v_fma_f32 v147, v146, s43, -v136
	v_rndne_f32_e32 v148, v136
	v_fmac_f32_e32 v147, 0x32a5705f, v146
	v_sub_f32_e32 v136, v136, v148
	v_add_f32_e32 v136, v136, v147
	v_exp_f32_e32 v136, v136
	v_cvt_i32_f32_e32 v147, v148
	v_cmp_ngt_f32_e32 vcc, s65, v146
	v_ldexp_f32 v136, v136, v147
	v_cndmask_b32_e32 v136, 0, v136, vcc
	v_cmp_nlt_f32_e32 vcc, s94, v146
	v_cndmask_b32_e32 v154, v132, v136, vcc
	v_mul_f32_e32 v136, 0x3fb8aa3b, v53
	v_fma_f32 v146, v53, s43, -v136
	v_rndne_f32_e32 v147, v136
	v_fmac_f32_e32 v146, 0x32a5705f, v53
	v_sub_f32_e32 v136, v136, v147
	v_add_f32_e32 v136, v136, v146
	v_exp_f32_e32 v136, v136
	v_cvt_i32_f32_e32 v146, v147
	v_cmp_ngt_f32_e32 vcc, s65, v53
	v_ldexp_f32 v136, v136, v146
	v_cndmask_b32_e32 v136, 0, v136, vcc
	v_cmp_nlt_f32_e32 vcc, s94, v53
	v_mul_f32_e32 v53, 0x3fb8aa3b, v52
	v_cndmask_b32_e32 v155, v132, v136, vcc
	v_fma_f32 v136, v52, s43, -v53
	v_rndne_f32_e32 v146, v53
	v_fmac_f32_e32 v136, 0x32a5705f, v52
	v_sub_f32_e32 v53, v53, v146
	v_add_f32_e32 v53, v53, v136
	v_exp_f32_e32 v53, v53
	v_cvt_i32_f32_e32 v136, v146
	v_cmp_ngt_f32_e32 vcc, s65, v52
	v_ldexp_f32 v53, v53, v136
	v_cndmask_b32_e32 v53, 0, v53, vcc
	v_cmp_nlt_f32_e32 vcc, s94, v52
	v_cndmask_b32_e32 v156, v132, v53, vcc
	v_pk_add_f32 v[52:53], v[150:151], v[34:35] op_sel_hi:[1,0] neg_lo:[0,1] neg_hi:[0,1]
	v_mul_f32_e32 v136, 0x3fb8aa3b, v53
	v_fma_f32 v146, v53, s43, -v136
	v_rndne_f32_e32 v147, v136
	v_fmac_f32_e32 v146, 0x32a5705f, v53
	v_sub_f32_e32 v136, v136, v147
	v_add_f32_e32 v136, v136, v146
	v_exp_f32_e32 v136, v136
	v_cvt_i32_f32_e32 v146, v147
	v_cmp_ngt_f32_e32 vcc, s65, v53
	v_ldexp_f32 v136, v136, v146
	v_cndmask_b32_e32 v136, 0, v136, vcc
	v_cmp_nlt_f32_e32 vcc, s94, v53
	v_mul_f32_e32 v53, 0x3fb8aa3b, v52
	v_cndmask_b32_e32 v150, v132, v136, vcc
	v_fma_f32 v136, v52, s43, -v53
	v_rndne_f32_e32 v146, v53
	v_fmac_f32_e32 v136, 0x32a5705f, v52
	v_sub_f32_e32 v53, v53, v146
	v_add_f32_e32 v53, v53, v136
	v_exp_f32_e32 v53, v53
	v_cvt_i32_f32_e32 v136, v146
	v_cmp_ngt_f32_e32 vcc, s65, v52
	v_ldexp_f32 v53, v53, v136
	v_cndmask_b32_e32 v53, 0, v53, vcc
	v_cmp_nlt_f32_e32 vcc, s94, v52
	v_cndmask_b32_e32 v151, v132, v53, vcc
	v_pk_add_f32 v[52:53], v[152:153], v[34:35] op_sel_hi:[1,0] neg_lo:[0,1] neg_hi:[0,1]
	v_mul_f32_e32 v136, 0x3fb8aa3b, v53
	v_fma_f32 v146, v53, s43, -v136
	v_rndne_f32_e32 v147, v136
	v_fmac_f32_e32 v146, 0x32a5705f, v53
	v_sub_f32_e32 v136, v136, v147
	v_add_f32_e32 v136, v136, v146
	v_exp_f32_e32 v136, v136
	v_cvt_i32_f32_e32 v146, v147
	v_cmp_ngt_f32_e32 vcc, s65, v53
	v_ldexp_f32 v136, v136, v146
	v_cndmask_b32_e32 v136, 0, v136, vcc
	v_cmp_nlt_f32_e32 vcc, s94, v53
	v_mul_f32_e32 v53, 0x3fb8aa3b, v52
	v_cndmask_b32_e32 v152, v132, v136, vcc
	v_fma_f32 v136, v52, s43, -v53
	v_rndne_f32_e32 v146, v53
	v_fmac_f32_e32 v136, 0x32a5705f, v52
	v_sub_f32_e32 v53, v53, v146
	v_add_f32_e32 v53, v53, v136
	v_exp_f32_e32 v53, v53
	v_cvt_i32_f32_e32 v136, v146
	v_cmp_ngt_f32_e32 vcc, s65, v52
	v_ldexp_f32 v53, v53, v136
	v_cndmask_b32_e32 v53, 0, v53, vcc
	v_cmp_nlt_f32_e32 vcc, s94, v52
	v_add_f32_e32 v52, v154, v149
	v_add_f32_e32 v52, v156, v52
	;; [unrolled: 1-line block ×4, first 2 shown]
	v_cndmask_b32_e32 v153, v132, v53, vcc
	v_add_f32_e32 v52, v150, v52
	v_add_f32_e32 v52, v153, v52
	;; [unrolled: 1-line block ×3, first 2 shown]
	v_sub_f32_e32 v52, v158, v34
	v_mul_f32_e32 v53, 0x3fb8aa3b, v52
	v_fma_f32 v146, v52, s43, -v53
	v_rndne_f32_e32 v147, v53
	v_fmac_f32_e32 v146, 0x32a5705f, v52
	v_sub_f32_e32 v53, v53, v147
	v_add_f32_e32 v53, v53, v146
	v_exp_f32_e32 v53, v53
	v_cvt_i32_f32_e32 v146, v147
	v_cmp_ngt_f32_e32 vcc, s65, v52
	v_ldexp_f32 v53, v53, v146
	v_cndmask_b32_e32 v53, 0, v53, vcc
	v_cmp_nlt_f32_e32 vcc, s94, v52
	v_cndmask_b32_e32 v53, v132, v53, vcc
	v_cmp_le_f32_e32 vcc, s95, v52
	v_cndmask_b32_e32 v52, 0, v53, vcc
	v_fmac_f32_e32 v136, v159, v52
	v_cvt_f16_f32_e32 v52, v52
	v_pk_mul_f16 v147, v52, v51 op_sel_hi:[0,1]
	v_pk_mul_f16 v146, v52, v50 op_sel_hi:[0,1]
	v_cvt_f16_f32_e32 v50, v154
	v_cvt_f16_f32_e32 v51, v149
	v_pk_mul_f16 v148, v52, v140 op_sel_hi:[0,1]
	v_pk_mul_f16 v140, v52, v141 op_sel_hi:[0,1]
	v_pk_mul_f16 v143, v52, v143 op_sel_hi:[0,1]
	v_pk_mul_f16 v142, v52, v142 op_sel_hi:[0,1]
	v_pk_mul_f16 v145, v52, v145 op_sel_hi:[0,1]
	v_pk_mul_f16 v144, v52, v144 op_sel_hi:[0,1]
	v_pack_b32_f16 v52, v50, v51
	v_cvt_f16_f32_e32 v50, v155
	v_cvt_f16_f32_e32 v51, v156
	;; [unrolled: 1-line block ×3, first 2 shown]
	v_pack_b32_f16 v53, v51, v50
	v_cvt_f16_f32_e32 v50, v150
	v_cvt_f16_f32_e32 v51, v151
	v_add_co_u32_e32 v150, vcc, v42, v28
	v_addc_co_u32_e32 v151, vcc, 0, v1, vcc
	v_pack_b32_f16 v50, v51, v50
	v_cvt_f16_f32_e32 v51, v152
	global_load_dwordx4 v[150:153], v[150:151], off
	v_add_co_u32_e32 v154, vcc, v44, v28
	v_addc_co_u32_e32 v155, vcc, 0, v11, vcc
	v_pack_b32_f16 v51, v141, v51
	v_add_co_u32_e32 v40, vcc, s7, v40
	v_addc_co_u32_e32 v41, vcc, 0, v41, vcc
	v_add_co_u32_e32 v32, vcc, s7, v32
	v_addc_co_u32_e32 v33, vcc, 0, v33, vcc
	v_add_co_u32_e32 v42, vcc, s66, v42
	s_waitcnt vmcnt(0)
	ds_write_b128 v57, v[150:153]
	global_load_dwordx4 v[150:153], v[154:155], off
	s_waitcnt vmcnt(0)
	ds_write_b128 v120, v[150:153]
	s_waitcnt lgkmcnt(0)
	s_barrier
	ds_read_u16 v149, v60 offset:144
	ds_read_u16 v141, v60 offset:288
	v_cvt_f32_f16_e32 v152, v140
	v_cvt_f32_f16_sdwa v153, v140 dst_sel:DWORD dst_unused:UNUSED_PAD src0_sel:WORD_1
	ds_read_u16 v140, v61
	ds_read_u16 v154, v61 offset:32
	v_cvt_f32_f16_e32 v150, v148
	v_cvt_f32_f16_sdwa v151, v148 dst_sel:DWORD dst_unused:UNUSED_PAD src0_sel:WORD_1
	s_waitcnt lgkmcnt(1)
	v_perm_b32 v141, v140, v141, s54
	ds_read_u16 v140, v59
	ds_read_u16 v155, v59 offset:32
	s_waitcnt lgkmcnt(1)
	v_perm_b32 v140, v149, v140, s54
	s_nop 1
	v_mfma_f32_16x16x16f16 v[148:151], v[140:141], v[52:53], v[150:153]
	s_nop 6
	ds_read_u16 v152, v59 offset:4608
	ds_read_u16 v153, v121 offset:144
	;; [unrolled: 1-line block ×4, first 2 shown]
	v_cvt_f16_f32_e32 v140, v148
	v_cvt_f16_f32_e32 v141, v149
	;; [unrolled: 1-line block ×4, first 2 shown]
	v_cvt_f32_f16_e32 v148, v140
	v_cvt_f32_f16_e32 v149, v141
	s_waitcnt lgkmcnt(0)
	v_perm_b32 v141, v157, v156, s54
	v_perm_b32 v140, v153, v152, s54
	v_cvt_f32_f16_e32 v150, v150
	v_cvt_f32_f16_e32 v151, v151
	ds_read_u16 v152, v122 offset:144
	ds_read_u16 v153, v122 offset:288
	v_mfma_f32_16x16x16f16 v[148:151], v[140:141], v[50:51], v[148:151]
	s_nop 7
	s_nop 2
	v_cvt_f16_f32_e32 v140, v148
	v_cvt_f16_f32_e32 v141, v149
	v_cvt_f16_f32_e32 v148, v150
	v_cvt_f16_f32_e32 v149, v151
	v_cvt_f32_f16_e32 v150, v142
	v_pack_b32_f16 v140, v140, v141
	v_cvt_f32_f16_sdwa v151, v142 dst_sel:DWORD dst_unused:UNUSED_PAD src0_sel:WORD_1
	v_pack_b32_f16 v141, v148, v149
	v_cvt_f32_f16_e32 v148, v143
	v_cvt_f32_f16_sdwa v149, v143 dst_sel:DWORD dst_unused:UNUSED_PAD src0_sel:WORD_1
	s_waitcnt lgkmcnt(0)
	v_perm_b32 v143, v154, v153, s54
	v_perm_b32 v142, v152, v155, s54
	ds_read_u16 v152, v62 offset:4608
	ds_read_u16 v153, v63 offset:144
	;; [unrolled: 1-line block ×4, first 2 shown]
	v_mfma_f32_16x16x16f16 v[148:151], v[142:143], v[52:53], v[148:151]
	s_nop 7
	s_nop 2
	v_cvt_f16_f32_e32 v142, v148
	v_cvt_f16_f32_e32 v143, v149
	;; [unrolled: 1-line block ×4, first 2 shown]
	v_cvt_f32_f16_e32 v148, v142
	v_cvt_f32_f16_e32 v149, v143
	s_waitcnt lgkmcnt(0)
	v_perm_b32 v143, v155, v154, s54
	v_perm_b32 v142, v153, v152, s54
	v_cvt_f32_f16_e32 v150, v150
	v_cvt_f32_f16_e32 v151, v151
	ds_read_u16 v152, v59 offset:64
	ds_read_u16 v153, v124 offset:144
	;; [unrolled: 1-line block ×4, first 2 shown]
	v_mfma_f32_16x16x16f16 v[148:151], v[142:143], v[50:51], v[148:151]
	s_nop 7
	s_nop 2
	v_cvt_f16_f32_e32 v142, v148
	v_cvt_f16_f32_e32 v143, v149
	;; [unrolled: 1-line block ×4, first 2 shown]
	v_cvt_f32_f16_e32 v150, v144
	v_pack_b32_f16 v143, v142, v143
	v_cvt_f32_f16_sdwa v151, v144 dst_sel:DWORD dst_unused:UNUSED_PAD src0_sel:WORD_1
	v_pack_b32_f16 v142, v148, v149
	v_cvt_f32_f16_e32 v148, v145
	v_cvt_f32_f16_sdwa v149, v145 dst_sel:DWORD dst_unused:UNUSED_PAD src0_sel:WORD_1
	s_waitcnt lgkmcnt(0)
	v_perm_b32 v145, v155, v154, s54
	v_perm_b32 v144, v153, v152, s54
	ds_read_u16 v152, v65 offset:4608
	ds_read_u16 v153, v66 offset:144
	;; [unrolled: 1-line block ×4, first 2 shown]
	v_mfma_f32_16x16x16f16 v[148:151], v[144:145], v[52:53], v[148:151]
	s_nop 7
	s_nop 2
	v_cvt_f16_f32_e32 v144, v148
	v_cvt_f16_f32_e32 v145, v149
	;; [unrolled: 1-line block ×4, first 2 shown]
	v_cvt_f32_f16_e32 v148, v144
	v_cvt_f32_f16_e32 v149, v145
	s_waitcnt lgkmcnt(0)
	v_perm_b32 v145, v155, v154, s54
	v_perm_b32 v144, v153, v152, s54
	v_cvt_f32_f16_e32 v150, v150
	v_cvt_f32_f16_e32 v151, v151
	ds_read_u16 v152, v59 offset:96
	ds_read_u16 v153, v126 offset:144
	ds_read_u16 v154, v126 offset:288
	ds_read_u16 v155, v61 offset:96
	v_mfma_f32_16x16x16f16 v[148:151], v[144:145], v[50:51], v[148:151]
	s_nop 7
	s_nop 2
	v_cvt_f16_f32_e32 v144, v148
	v_cvt_f16_f32_e32 v145, v149
	;; [unrolled: 1-line block ×4, first 2 shown]
	v_cvt_f32_f16_e32 v150, v146
	v_pack_b32_f16 v145, v144, v145
	v_cvt_f32_f16_sdwa v151, v146 dst_sel:DWORD dst_unused:UNUSED_PAD src0_sel:WORD_1
	v_pack_b32_f16 v144, v148, v149
	v_cvt_f32_f16_e32 v148, v147
	v_cvt_f32_f16_sdwa v149, v147 dst_sel:DWORD dst_unused:UNUSED_PAD src0_sel:WORD_1
	s_waitcnt lgkmcnt(0)
	v_perm_b32 v147, v155, v154, s54
	v_perm_b32 v146, v153, v152, s54
	s_nop 1
	v_mfma_f32_16x16x16f16 v[146:149], v[146:147], v[52:53], v[148:151]
	s_nop 6
	ds_read_u16 v150, v68 offset:4608
	ds_read_u16 v151, v69 offset:144
	;; [unrolled: 1-line block ×4, first 2 shown]
	s_waitcnt lgkmcnt(0)
	s_barrier
	v_cvt_f16_f32_e32 v52, v146
	v_cvt_f16_f32_e32 v53, v147
	;; [unrolled: 1-line block ×4, first 2 shown]
	v_cvt_f32_f16_e32 v146, v52
	v_cvt_f32_f16_e32 v147, v53
	v_perm_b32 v53, v153, v152, s54
	v_perm_b32 v52, v151, v150, s54
	v_cvt_f32_f16_e32 v148, v148
	v_cvt_f32_f16_e32 v149, v149
	s_nop 1
	v_mfma_f32_16x16x16f16 v[50:53], v[52:53], v[50:51], v[146:149]
	s_nop 7
	s_nop 2
	v_cvt_f16_f32_e32 v50, v50
	v_cvt_f16_f32_e32 v51, v51
	;; [unrolled: 1-line block ×4, first 2 shown]
	v_pack_b32_f16 v51, v50, v51
	v_pack_b32_f16 v50, v52, v53
	v_mov_b32_e32 v52, s67
	v_addc_co_u32_e32 v1, vcc, v1, v52, vcc
	v_add_co_u32_e32 v44, vcc, s66, v44
	v_addc_co_u32_e32 v11, vcc, v11, v52, vcc
	v_add_co_u32_e32 v46, vcc, s68, v46
	v_mov_b32_e32 v52, s69
	v_addc_co_u32_e32 v15, vcc, v15, v52, vcc
	v_add_co_u32_e32 v48, vcc, s68, v48
	v_addc_co_u32_e32 v25, vcc, v25, v52, vcc
	s_cbranch_scc1 .LBB0_112
.LBB0_113:                              ;   in Loop: Header=BB0_14 Depth=1
	s_lshl_b32 s58, s50, 6
	s_lshl_b64 s[8:9], s[58:59], 1
	v_mov_b32_e32 v1, s9
	v_add_co_u32_e32 v11, vcc, s8, v31
	v_addc_co_u32_e32 v1, vcc, v133, v1, vcc
	v_lshlrev_b32_e32 v15, 1, v10
	v_add_co_u32_e32 v11, vcc, v11, v15
	v_addc_co_u32_e32 v1, vcc, 0, v1, vcc
	v_lshlrev_b64 v[32:33], 1, v[36:37]
	s_mul_i32 s8, s35, s58
	s_mul_hi_u32 s9, s34, s58
	v_add_co_u32_e32 v32, vcc, v11, v32
	s_add_i32 s9, s9, s8
	s_mul_i32 s8, s34, s58
	v_addc_co_u32_e32 v33, vcc, v1, v33, vcc
	v_lshlrev_b64 v[36:37], 1, v[38:39]
	s_lshl_b64 s[8:9], s[8:9], 2
	v_add_co_u32_e32 v36, vcc, v11, v36
	s_add_u32 s8, s79, s8
	v_addc_co_u32_e32 v37, vcc, v1, v37, vcc
	s_addc_u32 s9, s80, s9
	v_mov_b32_e32 v15, s9
	v_add_co_u32_e32 v25, vcc, s8, v20
	v_addc_co_u32_e32 v15, vcc, v15, v21, vcc
	global_load_dword v1, v[32:33], off
	global_load_dword v11, v[36:37], off
	v_add_co_u32_e32 v32, vcc, v25, v74
	v_addc_co_u32_e32 v33, vcc, 0, v15, vcc
	v_mov_b32_e32 v15, s9
	v_add_co_u32_e32 v25, vcc, s8, v22
	v_addc_co_u32_e32 v15, vcc, v15, v23, vcc
	v_add_co_u32_e32 v40, vcc, v25, v74
	v_addc_co_u32_e32 v41, vcc, 0, v15, vcc
	global_load_dwordx4 v[36:39], v[32:33], off
	global_load_dwordx4 v[146:149], v[40:41], off
	v_add_u32_e32 v15, v76, v118
	v_add_u32_e32 v25, v54, v56
	v_cmp_lt_i32_e32 vcc, v137, v134
	s_mul_i32 s8, s31, s58
	s_mul_hi_u32 s9, s30, s58
	s_add_i32 s9, s9, s8
	s_mul_i32 s8, s30, s58
	s_lshl_b64 s[8:9], s[8:9], 2
	s_add_u32 s8, s49, s8
	s_addc_u32 s9, s57, s9
	s_cmp_eq_u64 s[70:71], 0
	s_waitcnt vmcnt(3)
	ds_write_b32 v15, v1 offset:9216
	s_waitcnt vmcnt(2)
	ds_write_b32 v15, v11 offset:10368
	s_waitcnt vmcnt(1)
	ds_write_b128 v57, v[36:39]
	s_waitcnt vmcnt(0)
	ds_write_b128 v120, v[146:149]
	s_waitcnt lgkmcnt(0)
	s_barrier
	ds_read2_b64 v[36:39], v25 offset1:4
	v_add_u32_e32 v1, 0x1000, v25
	ds_read2_b64 v[150:153], v1 offset0:64 offset1:68
	s_waitcnt lgkmcnt(1)
	v_mfma_f32_16x16x16f16 v[146:149], v[36:37], v[6:7], 0
	s_waitcnt lgkmcnt(0)
	v_mfma_f32_16x16x16f16 v[154:157], v[150:151], v[6:7], 0
	v_mfma_f32_16x16x16f16 v[36:39], v[38:39], v[8:9], v[146:149]
	s_nop 7
	ds_read2_b64 v[146:149], v25 offset0:8 offset1:12
	v_mfma_f32_16x16x16f16 v[6:9], v[152:153], v[8:9], v[154:157]
	ds_read2_b64 v[150:153], v1 offset0:72 offset1:76
	v_add_u32_e32 v1, 0x2400, v58
	s_waitcnt lgkmcnt(0)
	s_barrier
	ds_read2_b32 v[32:33], v1 offset1:1
	v_cndmask_b32_e32 v1, v43, v137, vcc
	v_mfma_f32_16x16x16f16 v[36:39], v[146:147], v[2:3], v[36:39]
	v_cmp_lt_i32_e32 vcc, v135, v134
	s_waitcnt lgkmcnt(0)
	v_cvt_f32_f16_e32 v40, v32
	v_cvt_f32_f16_sdwa v41, v32 dst_sel:DWORD dst_unused:UNUSED_PAD src0_sel:WORD_1
	v_cvt_f32_f16_e32 v32, v33
	v_cvt_f32_f16_sdwa v33, v33 dst_sel:DWORD dst_unused:UNUSED_PAD src0_sel:WORD_1
	v_mfma_f32_16x16x16f16 v[6:9], v[150:151], v[2:3], v[6:9]
	ds_read_b32 v2, v72 offset:9216
	ds_read_b32 v11, v73 offset:9216
	v_lshlrev_b32_e32 v3, 2, v1
	s_waitcnt lgkmcnt(1)
	v_cvt_f32_f16_sdwa v139, v2 dst_sel:DWORD dst_unused:UNUSED_PAD src0_sel:WORD_1
	s_waitcnt lgkmcnt(0)
	v_cvt_f32_f16_sdwa v53, v11 dst_sel:DWORD dst_unused:UNUSED_PAD src0_sel:WORD_1
	v_cvt_f32_f16_e32 v52, v11
	v_mfma_f32_16x16x16f16 v[36:39], v[148:149], v[4:5], v[36:39]
	v_cvt_f32_f16_e32 v138, v2
	v_mfma_f32_16x16x16f16 v[6:9], v[152:153], v[4:5], v[6:9]
	s_nop 7
	s_nop 0
	v_pk_add_f32 v[36:37], v[36:37], v[40:41]
	v_add_f32_e32 v1, 0x40051340, v36
	v_add_f32_e32 v2, 0x40051340, v37
	v_max3_f32 v1, v34, v1, v2
	v_pk_add_f32 v[4:5], v[8:9], v[52:53]
	v_pk_add_f32 v[8:9], v[38:39], v[32:33]
	;; [unrolled: 1-line block ×3, first 2 shown]
	v_add_f32_e32 v32, 0x40051340, v8
	v_add_f32_e32 v33, 0x40051340, v9
	;; [unrolled: 1-line block ×4, first 2 shown]
	v_max3_f32 v1, v1, v32, v33
	v_add_f32_e32 v11, 0x40051340, v4
	v_add_f32_e32 v15, 0x40051340, v5
	v_max3_f32 v1, v1, v25, v31
	v_max3_f32 v1, v1, v11, v15
	ds_bpermute_b32 v2, v3, v1
	v_cndmask_b32_e32 v11, v43, v135, vcc
	v_lshlrev_b32_e32 v11, 2, v11
	s_waitcnt lgkmcnt(0)
	v_max_f32_e32 v2, v2, v2
	v_max_f32_e32 v1, v1, v2
	ds_bpermute_b32 v2, v11, v1
	s_waitcnt lgkmcnt(0)
	v_max_f32_e32 v2, v2, v2
	v_max_f32_e32 v2, v1, v2
	v_pk_add_f32 v[32:33], v[36:37], v[2:3] op_sel_hi:[1,0] neg_lo:[0,1] neg_hi:[0,1]
	v_mul_f32_e32 v1, 0x3fb8aa3b, v33
	v_mul_f32_e32 v15, 0x3fb8aa3b, v32
	v_fma_f32 v36, v33, s43, -v1
	v_rndne_f32_e32 v37, v1
	v_fma_f32 v38, v32, s43, -v15
	v_rndne_f32_e32 v39, v15
	v_fmac_f32_e32 v36, 0x32a5705f, v33
	v_sub_f32_e32 v1, v1, v37
	v_pk_add_f32 v[8:9], v[8:9], v[2:3] op_sel_hi:[1,0] neg_lo:[0,1] neg_hi:[0,1]
	v_fmac_f32_e32 v38, 0x32a5705f, v32
	v_sub_f32_e32 v15, v15, v39
	v_add_f32_e32 v1, v1, v36
	v_mul_f32_e32 v25, 0x3fb8aa3b, v9
	v_cvt_i32_f32_e32 v37, v37
	v_add_f32_e32 v15, v15, v38
	v_exp_f32_e32 v1, v1
	v_mul_f32_e32 v31, 0x3fb8aa3b, v8
	v_fma_f32 v40, v9, s43, -v25
	v_rndne_f32_e32 v41, v25
	v_cvt_i32_f32_e32 v39, v39
	v_exp_f32_e32 v15, v15
	v_fma_f32 v42, v8, s43, -v31
	v_rndne_f32_e32 v43, v31
	v_fmac_f32_e32 v40, 0x32a5705f, v9
	v_sub_f32_e32 v25, v25, v41
	v_fmac_f32_e32 v42, 0x32a5705f, v8
	v_sub_f32_e32 v31, v31, v43
	v_add_f32_e32 v25, v25, v40
	v_cvt_i32_f32_e32 v41, v41
	v_add_f32_e32 v31, v31, v42
	v_exp_f32_e32 v25, v25
	v_ldexp_f32 v1, v1, v37
	v_cmp_ngt_f32_e32 vcc, s65, v33
	v_cvt_i32_f32_e32 v43, v43
	v_exp_f32_e32 v31, v31
	v_ldexp_f32 v15, v15, v39
	v_cndmask_b32_e32 v1, 0, v1, vcc
	v_cmp_ngt_f32_e32 vcc, s65, v32
	v_cndmask_b32_e32 v15, 0, v15, vcc
	v_cmp_nlt_f32_e32 vcc, s94, v33
	v_cndmask_b32_e32 v1, v132, v1, vcc
	v_cmp_nlt_f32_e32 vcc, s94, v32
	v_ldexp_f32 v25, v25, v41
	v_cndmask_b32_e32 v15, v132, v15, vcc
	v_cmp_ngt_f32_e32 vcc, s65, v9
	v_pk_add_f32 v[6:7], v[6:7], v[2:3] op_sel_hi:[1,0] neg_lo:[0,1] neg_hi:[0,1]
	v_cndmask_b32_e32 v25, 0, v25, vcc
	v_cmp_nlt_f32_e32 vcc, s94, v9
	v_ldexp_f32 v9, v31, v43
	v_mul_f32_e32 v31, 0x3fb8aa3b, v7
	v_fma_f32 v32, v7, s43, -v31
	v_rndne_f32_e32 v33, v31
	v_fmac_f32_e32 v32, 0x32a5705f, v7
	v_sub_f32_e32 v31, v31, v33
	v_add_f32_e32 v31, v31, v32
	v_exp_f32_e32 v31, v31
	v_cvt_i32_f32_e32 v32, v33
	v_cndmask_b32_e32 v25, v132, v25, vcc
	v_cmp_ngt_f32_e32 vcc, s65, v8
	v_cndmask_b32_e32 v9, 0, v9, vcc
	v_cmp_nlt_f32_e32 vcc, s94, v8
	v_cndmask_b32_e32 v44, v132, v9, vcc
	v_mov_b32_e32 v8, s9
	v_add_co_u32_e32 v9, vcc, s8, v16
	v_ldexp_f32 v31, v31, v32
	v_addc_co_u32_e32 v32, vcc, v8, v17, vcc
	v_add_co_u32_e32 v8, vcc, v9, v74
	v_addc_co_u32_e32 v9, vcc, 0, v32, vcc
	v_mov_b32_e32 v32, s9
	v_add_co_u32_e32 v33, vcc, s8, v18
	v_addc_co_u32_e32 v36, vcc, v32, v19, vcc
	v_add_co_u32_e32 v32, vcc, v33, v74
	v_addc_co_u32_e32 v33, vcc, 0, v36, vcc
	global_load_dwordx4 v[36:39], v[8:9], off
	global_load_dwordx4 v[40:43], v[32:33], off
	v_mul_f32_e32 v46, 0x3fb8aa3b, v6
	v_fma_f32 v48, v6, s43, -v46
	v_rndne_f32_e32 v8, v46
	v_fmac_f32_e32 v48, 0x32a5705f, v6
	v_sub_f32_e32 v9, v46, v8
	v_add_f32_e32 v9, v9, v48
	v_exp_f32_e32 v9, v9
	v_cvt_i32_f32_e32 v8, v8
	v_cmp_ngt_f32_e32 vcc, s65, v7
	v_pk_add_f32 v[4:5], v[4:5], v[2:3] op_sel_hi:[1,0] neg_lo:[0,1] neg_hi:[0,1]
	v_cndmask_b32_e32 v31, 0, v31, vcc
	v_cmp_nlt_f32_e32 vcc, s94, v7
	v_ldexp_f32 v8, v9, v8
	v_mul_f32_e32 v9, 0x3fb8aa3b, v5
	v_cndmask_b32_e32 v7, v132, v31, vcc
	v_fma_f32 v31, v5, s43, -v9
	v_rndne_f32_e32 v32, v9
	v_fmac_f32_e32 v31, 0x32a5705f, v5
	v_sub_f32_e32 v9, v9, v32
	v_add_f32_e32 v9, v9, v31
	v_exp_f32_e32 v9, v9
	v_cvt_i32_f32_e32 v31, v32
	v_cmp_ngt_f32_e32 vcc, s65, v6
	v_cndmask_b32_e32 v8, 0, v8, vcc
	v_cmp_nlt_f32_e32 vcc, s94, v6
	v_cndmask_b32_e32 v46, v132, v8, vcc
	v_mul_f32_e32 v8, 0x3fb8aa3b, v4
	v_ldexp_f32 v6, v9, v31
	v_fma_f32 v9, v4, s43, -v8
	v_rndne_f32_e32 v31, v8
	v_fmac_f32_e32 v9, 0x32a5705f, v4
	v_sub_f32_e32 v8, v8, v31
	v_add_f32_e32 v8, v8, v9
	v_exp_f32_e32 v8, v8
	v_cvt_i32_f32_e32 v9, v31
	v_cmp_ngt_f32_e32 vcc, s65, v5
	v_cndmask_b32_e32 v6, 0, v6, vcc
	v_cmp_nlt_f32_e32 vcc, s94, v5
	v_cndmask_b32_e32 v31, v132, v6, vcc
	v_ldexp_f32 v5, v8, v9
	v_cmp_ngt_f32_e32 vcc, s65, v4
	v_cndmask_b32_e32 v5, 0, v5, vcc
	v_cmp_nlt_f32_e32 vcc, s94, v4
	v_cndmask_b32_e32 v48, v132, v5, vcc
	v_sub_f32_e32 v5, v34, v2
	v_mul_f32_e32 v6, 0x3fb8aa3b, v5
	v_add_f32_e32 v4, v15, v1
	v_fma_f32 v8, v5, s43, -v6
	v_rndne_f32_e32 v9, v6
	v_add_f32_e32 v4, v44, v4
	v_fmac_f32_e32 v8, 0x32a5705f, v5
	v_sub_f32_e32 v6, v6, v9
	v_add_f32_e32 v6, v6, v8
	v_add_f32_e32 v4, v25, v4
	v_exp_f32_e32 v6, v6
	v_cvt_i32_f32_e32 v8, v9
	v_add_f32_e32 v4, v46, v4
	v_add_f32_e32 v4, v7, v4
	;; [unrolled: 1-line block ×4, first 2 shown]
	v_cvt_f16_f32_e32 v4, v15
	v_cvt_f16_f32_e32 v1, v1
	v_ldexp_f32 v6, v6, v8
	v_cmp_ngt_f32_e32 vcc, s65, v5
	v_cndmask_b32_e32 v6, 0, v6, vcc
	v_cmp_nlt_f32_e32 vcc, s94, v5
	v_cndmask_b32_e32 v6, v132, v6, vcc
	v_cmp_le_f32_e32 vcc, s95, v5
	v_cndmask_b32_e32 v5, 0, v6, vcc
	v_pack_b32_f16 v8, v4, v1
	s_waitcnt vmcnt(1)
	ds_write_b128 v57, v[36:39]
	s_waitcnt vmcnt(0)
	ds_write_b128 v120, v[40:43]
	s_waitcnt lgkmcnt(0)
	s_barrier
	ds_read_u16 v1, v60 offset:144
	ds_read_u16 v32, v60 offset:288
	ds_read_u16 v33, v61
	v_cvt_f16_f32_e32 v34, v5
	v_cvt_f16_f32_e32 v6, v25
	;; [unrolled: 1-line block ×4, first 2 shown]
	ds_read_u16 v7, v59
	ds_read_u16 v39, v59 offset:32
	ds_read_u16 v43, v59 offset:64
	;; [unrolled: 1-line block ×4, first 2 shown]
	v_fmac_f32_e32 v133, v136, v5
	v_pk_mul_f16 v5, v34, v140 op_sel_hi:[0,1]
	v_pk_mul_f16 v52, v34, v141 op_sel_hi:[0,1]
	s_waitcnt lgkmcnt(5)
	v_perm_b32 v33, v33, v32, s54
	s_waitcnt lgkmcnt(4)
	v_perm_b32 v32, v1, v7, s54
	v_pack_b32_f16 v9, v9, v6
	v_cvt_f32_f16_e32 v4, v5
	v_cvt_f32_f16_sdwa v5, v5 dst_sel:DWORD dst_unused:UNUSED_PAD src0_sel:WORD_1
	v_cvt_f32_f16_e32 v6, v52
	v_cvt_f32_f16_sdwa v7, v52 dst_sel:DWORD dst_unused:UNUSED_PAD src0_sel:WORD_1
	v_cvt_f16_f32_e32 v1, v46
	v_cvt_f16_f32_e32 v31, v31
	v_mfma_f32_16x16x16f16 v[4:7], v[32:33], v[8:9], v[4:7]
	ds_read_u16 v32, v121 offset:288
	ds_read_u16 v40, v122 offset:144
	;; [unrolled: 1-line block ×5, first 2 shown]
	v_cvt_f16_f32_e32 v38, v48
	ds_read_u16 v46, v61 offset:32
	ds_read_u16 v48, v61 offset:64
	;; [unrolled: 1-line block ×3, first 2 shown]
	v_pack_b32_f16 v52, v1, v36
	v_pk_mul_f16 v134, v34, v143 op_sel_hi:[0,1]
	s_waitcnt lgkmcnt(3)
	v_perm_b32 v33, v33, v32, s54
	v_perm_b32 v32, v42, v37, s54
	v_cvt_f16_f32_e32 v4, v4
	v_cvt_f16_f32_e32 v5, v5
	;; [unrolled: 1-line block ×4, first 2 shown]
	v_cvt_f32_f16_e32 v4, v4
	v_cvt_f32_f16_e32 v5, v5
	;; [unrolled: 1-line block ×4, first 2 shown]
	v_pack_b32_f16 v53, v38, v31
	v_pk_mul_f16 v135, v34, v142 op_sel_hi:[0,1]
	v_cvt_f32_f16_e32 v36, v134
	v_mfma_f32_16x16x16f16 v[4:7], v[32:33], v[52:53], v[4:7]
	s_waitcnt lgkmcnt(2)
	v_perm_b32 v33, v46, v41, s54
	v_perm_b32 v32, v40, v39, s54
	v_cvt_f32_f16_sdwa v37, v134 dst_sel:DWORD dst_unused:UNUSED_PAD src0_sel:WORD_1
	v_cvt_f32_f16_e32 v38, v135
	v_cvt_f32_f16_sdwa v39, v135 dst_sel:DWORD dst_unused:UNUSED_PAD src0_sel:WORD_1
	v_pk_mul_f16 v15, v34, v145 op_sel_hi:[0,1]
	v_pk_mul_f16 v25, v34, v144 op_sel_hi:[0,1]
	v_mfma_f32_16x16x16f16 v[36:39], v[32:33], v[8:9], v[36:39]
	s_nop 1
	v_cvt_f16_f32_e32 v1, v4
	v_cvt_f16_f32_e32 v4, v5
	v_pk_mul_f16 v51, v34, v51 op_sel_hi:[0,1]
	v_pk_mul_f16 v31, v34, v50 op_sel_hi:[0,1]
	v_cvt_f32_f16_e32 v40, v15
	v_cvt_f32_f16_sdwa v41, v15 dst_sel:DWORD dst_unused:UNUSED_PAD src0_sel:WORD_1
	v_cvt_f32_f16_e32 v42, v25
	s_nop 1
	v_cvt_f16_f32_e32 v5, v36
	v_cvt_f16_f32_e32 v32, v37
	;; [unrolled: 1-line block ×4, first 2 shown]
	v_cvt_f32_f16_e32 v36, v5
	v_cvt_f32_f16_e32 v37, v32
	;; [unrolled: 1-line block ×3, first 2 shown]
	ds_read_u16 v5, v62 offset:4608
	ds_read_u16 v32, v63 offset:144
	;; [unrolled: 1-line block ×8, first 2 shown]
	s_waitcnt lgkmcnt(4)
	v_perm_b32 v33, v39, v33, s54
	v_perm_b32 v32, v32, v5, s54
	v_cvt_f32_f16_e32 v39, v34
	v_cvt_f16_f32_e32 v5, v6
	v_cvt_f16_f32_e32 v34, v7
	s_waitcnt lgkmcnt(2)
	v_perm_b32 v7, v48, v50, s54
	v_perm_b32 v6, v46, v43, s54
	v_cvt_f32_f16_sdwa v43, v25 dst_sel:DWORD dst_unused:UNUSED_PAD src0_sel:WORD_1
	v_pack_b32_f16 v4, v1, v4
	v_mfma_f32_16x16x16f16 v[36:39], v[32:33], v[52:53], v[36:39]
	v_pack_b32_f16 v1, v5, v34
	s_waitcnt lgkmcnt(0)
	v_perm_b32 v32, v135, v134, s54
	ds_bpermute_b32 v3, v3, v133
	s_cselect_b64 s[8:9], -1, 0
	s_xor_b64 s[10:11], s[0:1], -1
	s_or_b64 s[8:9], s[10:11], s[8:9]
	s_nop 3
	v_cvt_f16_f32_e32 v5, v36
	v_mfma_f32_16x16x16f16 v[40:43], v[6:7], v[8:9], v[40:43]
	v_cvt_f16_f32_e32 v15, v37
	s_waitcnt lgkmcnt(0)
	v_add_f32_e32 v3, v133, v3
	s_nop 7
	v_cvt_f16_f32_e32 v6, v40
	v_cvt_f16_f32_e32 v7, v41
	;; [unrolled: 1-line block ×4, first 2 shown]
	v_cvt_f32_f16_e32 v40, v6
	v_cvt_f32_f16_e32 v41, v7
	;; [unrolled: 1-line block ×3, first 2 shown]
	ds_read_u16 v6, v125 offset:288
	ds_read_u16 v7, v67 offset:4608
	;; [unrolled: 1-line block ×8, first 2 shown]
	s_waitcnt lgkmcnt(6)
	v_perm_b32 v33, v7, v6, s54
	v_cvt_f32_f16_e32 v43, v34
	v_cvt_f16_f32_e32 v7, v38
	v_cvt_f16_f32_e32 v34, v39
	v_mfma_f32_16x16x16f16 v[36:39], v[32:33], v[52:53], v[40:43]
	s_waitcnt lgkmcnt(4)
	v_perm_b32 v33, v136, v46, s54
	v_perm_b32 v32, v25, v44, s54
	v_pack_b32_f16 v6, v5, v15
	v_pack_b32_f16 v5, v7, v34
	s_nop 1
	v_cvt_f32_f16_e32 v40, v51
	v_cvt_f32_f16_sdwa v41, v51 dst_sel:DWORD dst_unused:UNUSED_PAD src0_sel:WORD_1
	v_cvt_f32_f16_e32 v42, v31
	v_cvt_f32_f16_sdwa v43, v31 dst_sel:DWORD dst_unused:UNUSED_PAD src0_sel:WORD_1
	v_cvt_f16_f32_e32 v7, v36
	v_cvt_f16_f32_e32 v15, v37
	v_mfma_f32_16x16x16f16 v[40:43], v[32:33], v[8:9], v[40:43]
	s_waitcnt lgkmcnt(0)
	v_perm_b32 v33, v138, v137, s54
	v_perm_b32 v32, v50, v48, s54
	s_barrier
	s_nop 6
	v_cvt_f16_f32_e32 v8, v40
	v_cvt_f16_f32_e32 v9, v41
	;; [unrolled: 1-line block ×4, first 2 shown]
	v_cvt_f32_f16_e32 v40, v8
	v_cvt_f32_f16_e32 v41, v9
	;; [unrolled: 1-line block ×4, first 2 shown]
	v_cvt_f16_f32_e32 v9, v38
	v_cvt_f16_f32_e32 v25, v39
	v_mfma_f32_16x16x16f16 v[36:39], v[32:33], v[52:53], v[40:43]
	v_pack_b32_f16 v8, v7, v15
	v_pack_b32_f16 v7, v9, v25
	s_nop 7
	s_nop 0
	v_cvt_f16_f32_e32 v15, v36
	v_cvt_f16_f32_e32 v31, v37
	;; [unrolled: 1-line block ×4, first 2 shown]
	v_pack_b32_f16 v32, v15, v31
	ds_bpermute_b32 v15, v11, v3
	v_pack_b32_f16 v9, v9, v25
	s_waitcnt lgkmcnt(0)
	v_add_f32_e32 v3, v3, v15
	s_and_saveexec_b64 s[10:11], s[8:9]
	s_xor_b64 s[8:9], exec, s[10:11]
	s_andn2_saveexec_b64 s[8:9], s[8:9]
	s_cbranch_execz .LBB0_115
; %bb.114:                              ;   in Loop: Header=BB0_14 Depth=1
	v_lshlrev_b32_e32 v15, 2, v24
	global_load_dword v15, v15, s[70:71]
	v_max_f32_e32 v25, v2, v2
	s_waitcnt vmcnt(0)
	v_max_f32_e32 v31, v15, v15
	v_max_f32_e32 v36, v25, v31
	v_sub_f32_e32 v2, v2, v36
	v_sub_f32_e32 v15, v15, v36
	v_mul_f32_e32 v25, 0x3fb8aa3b, v2
	v_mul_f32_e32 v31, 0x3fb8aa3b, v15
	v_fma_f32 v33, v2, s43, -v25
	v_rndne_f32_e32 v34, v25
	v_fma_f32 v37, v15, s43, -v31
	v_rndne_f32_e32 v38, v31
	v_fmac_f32_e32 v33, 0x32a5705f, v2
	v_sub_f32_e32 v25, v25, v34
	v_fmac_f32_e32 v37, 0x32a5705f, v15
	v_sub_f32_e32 v31, v31, v38
	v_add_f32_e32 v25, v25, v33
	v_cvt_i32_f32_e32 v34, v34
	v_add_f32_e32 v31, v31, v37
	v_exp_f32_e32 v25, v25
	v_cvt_i32_f32_e32 v38, v38
	v_exp_f32_e32 v31, v31
	v_cmp_ngt_f32_e32 vcc, s65, v2
	v_ldexp_f32 v25, v25, v34
	v_cndmask_b32_e32 v25, 0, v25, vcc
	v_ldexp_f32 v31, v31, v38
	v_cmp_ngt_f32_e32 vcc, s65, v15
	v_cndmask_b32_e32 v31, 0, v31, vcc
	v_cmp_nlt_f32_e32 vcc, s94, v2
	v_cndmask_b32_e32 v25, v132, v25, vcc
	v_cmp_le_f32_e32 vcc, s95, v2
	v_cndmask_b32_e32 v2, 0, v25, vcc
	v_cvt_f16_f32_e32 v25, v2
	v_cmp_nlt_f32_e32 vcc, s94, v15
	v_cndmask_b32_e32 v37, v132, v31, vcc
	v_fmac_f32_e32 v37, v3, v2
	v_pk_mul_f16 v4, v25, v4 op_sel_hi:[0,1]
	v_pk_mul_f16 v1, v25, v1 op_sel_hi:[0,1]
	;; [unrolled: 1-line block ×8, first 2 shown]
	v_pk_mov_b32 v[2:3], v[36:37], v[36:37] op_sel:[0,1]
.LBB0_115:                              ;   in Loop: Header=BB0_14 Depth=1
	s_or_b64 exec, exec, s[8:9]
	s_and_saveexec_b64 s[8:9], s[4:5]
	s_cbranch_execz .LBB0_117
; %bb.116:                              ;   in Loop: Header=BB0_14 Depth=1
	v_add_u32_e32 v15, 0, v80
	ds_write2_b32 v15, v2, v3 offset0:32 offset1:33
.LBB0_117:                              ;   in Loop: Header=BB0_14 Depth=1
	s_or_b64 exec, exec, s[8:9]
	s_waitcnt lgkmcnt(0)
	s_barrier
	s_and_saveexec_b64 s[8:9], s[2:3]
	s_xor_b64 s[8:9], exec, s[8:9]
	s_cbranch_execz .LBB0_119
; %bb.118:                              ;   in Loop: Header=BB0_14 Depth=1
	s_barrier
	s_waitcnt lgkmcnt(0)
                                        ; implicit-def: $vgpr11
.LBB0_119:                              ;   in Loop: Header=BB0_14 Depth=1
	s_andn2_saveexec_b64 s[8:9], s[8:9]
	s_cbranch_execz .LBB0_123
; %bb.120:                              ;   in Loop: Header=BB0_14 Depth=1
	v_add_u32_e32 v15, 0, v81
	ds_read_b64 v[2:3], v15 offset:128
	s_waitcnt lgkmcnt(0)
	s_barrier
	ds_bpermute_b32 v25, v11, v2
	v_max_f32_e32 v31, v2, v2
	s_waitcnt lgkmcnt(0)
	v_max_f32_e32 v25, v25, v25
	v_max_f32_e32 v25, v31, v25
	v_sub_f32_e32 v2, v2, v25
	v_mul_f32_e32 v25, 0x3fb8aa3b, v2
	v_fma_f32 v31, v2, s43, -v25
	v_rndne_f32_e32 v33, v25
	v_fmac_f32_e32 v31, 0x32a5705f, v2
	v_sub_f32_e32 v25, v25, v33
	v_add_f32_e32 v25, v25, v31
	v_cvt_i32_f32_e32 v33, v33
	v_exp_f32_e32 v25, v25
	v_cmp_ngt_f32_e32 vcc, s65, v2
	v_ldexp_f32 v25, v25, v33
	v_cndmask_b32_e32 v25, 0, v25, vcc
	v_cmp_nlt_f32_e32 vcc, s94, v2
	v_cndmask_b32_e32 v2, v132, v25, vcc
	v_mul_f32_e32 v3, v3, v2
	ds_bpermute_b32 v11, v11, v3
	s_mov_b64 s[70:71], exec
	v_readlane_b32 s10, v160, 16
	v_readlane_b32 s11, v160, 17
	s_and_b64 s[10:11], s[70:71], s[10:11]
	s_mov_b64 exec, s[10:11]
	s_cbranch_execz .LBB0_122
; %bb.121:                              ;   in Loop: Header=BB0_14 Depth=1
	s_waitcnt lgkmcnt(0)
	v_add_f32_e32 v3, v3, v11
	ds_write_b64 v15, v[2:3] offset:128
.LBB0_122:                              ;   in Loop: Header=BB0_14 Depth=1
	s_or_b64 exec, exec, s[70:71]
.LBB0_123:                              ;   in Loop: Header=BB0_14 Depth=1
	s_or_b64 exec, exec, s[8:9]
	ds_write2_b32 v82, v4, v1 offset1:1
	ds_write2_b32 v82, v6, v5 offset0:8 offset1:9
	ds_write2_b32 v82, v8, v7 offset0:16 offset1:17
	;; [unrolled: 1-line block ×3, first 2 shown]
	s_waitcnt lgkmcnt(0)
	s_barrier
	s_and_saveexec_b64 s[70:71], s[0:1]
	s_cbranch_execz .LBB0_12
; %bb.124:                              ;   in Loop: Header=BB0_14 Depth=1
	v_add_u32_e32 v2, s76, v83
	v_or_b32_e32 v1, s64, v26
	v_cmp_gt_i32_e32 vcc, s28, v2
	v_cmp_gt_i32_e64 s[8:9], s33, v1
	s_and_b64 s[10:11], vcc, s[8:9]
	v_mov_b32_e32 v1, 0x47
	s_and_saveexec_b64 s[72:73], s[10:11]
	s_cbranch_execz .LBB0_126
; %bb.125:                              ;   in Loop: Header=BB0_14 Depth=1
	v_add_u32_e32 v1, 0, v84
	ds_read2st64_b32 v[4:5], v85 offset1:9
	ds_read2_b32 v[6:7], v1 offset0:32 offset1:33
	ds_read_b32 v8, v1 offset:2432
	v_mad_u64_u32 v[2:3], s[10:11], v2, s29, v[26:27]
	s_waitcnt lgkmcnt(2)
	v_cvt_f32_f16_sdwa v33, v4 dst_sel:DWORD dst_unused:UNUSED_PAD src0_sel:WORD_1
	v_cvt_f32_f16_e32 v32, v4
	v_cvt_f32_f16_sdwa v37, v5 dst_sel:DWORD dst_unused:UNUSED_PAD src0_sel:WORD_1
	v_cvt_f32_f16_e32 v36, v5
	v_lshl_or_b32 v2, v2, 5, v14
	s_waitcnt lgkmcnt(1)
	v_pk_fma_f32 v[4:5], v[6:7], v[32:33], 0 op_sel_hi:[0,1,0]
	v_ashrrev_i32_e32 v3, 31, v2
	s_waitcnt lgkmcnt(0)
	v_pk_fma_f32 v[4:5], v[8:9], v[36:37], v[4:5] op_sel_hi:[0,1,1]
	v_div_scale_f32 v6, s[10:11], v7, v7, v5
	v_rcp_f32_e32 v8, v6
	v_lshlrev_b64 v[2:3], 3, v[2:3]
	v_mov_b32_e32 v1, s55
	v_add_co_u32_e32 v2, vcc, s6, v2
	v_addc_co_u32_e32 v3, vcc, v1, v3, vcc
	v_fma_f32 v1, -v6, v8, 1.0
	v_fmac_f32_e32 v8, v1, v8
	v_div_scale_f32 v1, vcc, v5, v7, v5
	v_mul_f32_e32 v9, v1, v8
	v_fma_f32 v11, -v6, v9, v1
	v_fmac_f32_e32 v9, v11, v8
	v_fma_f32 v1, -v6, v9, v1
	v_div_scale_f32 v6, s[10:11], v7, v7, v4
	v_rcp_f32_e32 v11, v6
	v_div_fmas_f32 v1, v1, v8, v9
	v_div_fixup_f32 v5, v1, v7, v5
	v_fma_f32 v1, -v6, v11, 1.0
	v_fmac_f32_e32 v11, v1, v11
	v_div_scale_f32 v1, vcc, v4, v7, v4
	v_mul_f32_e32 v8, v1, v11
	v_fma_f32 v9, -v6, v8, v1
	v_fmac_f32_e32 v8, v9, v11
	v_fma_f32 v1, -v6, v8, v1
	v_div_fmas_f32 v1, v1, v11, v8
	v_div_fixup_f32 v4, v1, v7, v4
	v_mov_b32_e32 v1, 0
	global_store_dwordx2 v[2:3], v[4:5], off
.LBB0_126:                              ;   in Loop: Header=BB0_14 Depth=1
	s_or_b64 exec, exec, s[72:73]
	s_movk_i32 s10, 0x47
	v_cmp_gt_i32_e32 vcc, s10, v1
	s_mov_b64 s[72:73], -1
	s_and_saveexec_b64 s[74:75], vcc
; %bb.127:                              ;   in Loop: Header=BB0_14 Depth=1
	v_cmp_eq_u32_e32 vcc, 0, v1
	s_orn2_b64 s[72:73], vcc, exec
; %bb.128:                              ;   in Loop: Header=BB0_14 Depth=1
	s_or_b64 exec, exec, s[74:75]
	s_and_b64 exec, exec, s[72:73]
	s_cbranch_execz .LBB0_12
; %bb.129:                              ;   in Loop: Header=BB0_14 Depth=1
	v_add_u32_e32 v2, s76, v86
	v_cmp_gt_i32_e32 vcc, s28, v2
	s_and_b64 s[10:11], vcc, s[8:9]
	v_mov_b32_e32 v1, 0x47
	s_and_saveexec_b64 s[72:73], s[10:11]
	s_cbranch_execz .LBB0_131
; %bb.130:                              ;   in Loop: Header=BB0_14 Depth=1
	v_add_u32_e32 v1, 0, v87
	ds_read2st64_b32 v[4:5], v88 offset1:9
	ds_read2_b32 v[6:7], v1 offset0:32 offset1:33
	ds_read_b32 v8, v1 offset:2432
	v_mad_u64_u32 v[2:3], s[10:11], v2, s29, v[26:27]
	s_waitcnt lgkmcnt(2)
	v_cvt_f32_f16_sdwa v33, v4 dst_sel:DWORD dst_unused:UNUSED_PAD src0_sel:WORD_1
	v_cvt_f32_f16_e32 v32, v4
	v_cvt_f32_f16_sdwa v37, v5 dst_sel:DWORD dst_unused:UNUSED_PAD src0_sel:WORD_1
	v_cvt_f32_f16_e32 v36, v5
	v_lshl_or_b32 v2, v2, 5, v14
	s_waitcnt lgkmcnt(1)
	v_pk_fma_f32 v[4:5], v[6:7], v[32:33], 0 op_sel_hi:[0,1,0]
	v_ashrrev_i32_e32 v3, 31, v2
	s_waitcnt lgkmcnt(0)
	v_pk_fma_f32 v[4:5], v[8:9], v[36:37], v[4:5] op_sel_hi:[0,1,1]
	v_div_scale_f32 v6, s[10:11], v7, v7, v5
	v_rcp_f32_e32 v8, v6
	v_lshlrev_b64 v[2:3], 3, v[2:3]
	v_mov_b32_e32 v1, s55
	v_add_co_u32_e32 v2, vcc, s6, v2
	v_addc_co_u32_e32 v3, vcc, v1, v3, vcc
	v_fma_f32 v1, -v6, v8, 1.0
	v_fmac_f32_e32 v8, v1, v8
	v_div_scale_f32 v1, vcc, v5, v7, v5
	v_mul_f32_e32 v9, v1, v8
	v_fma_f32 v11, -v6, v9, v1
	v_fmac_f32_e32 v9, v11, v8
	v_fma_f32 v1, -v6, v9, v1
	v_div_scale_f32 v6, s[10:11], v7, v7, v4
	v_rcp_f32_e32 v11, v6
	v_div_fmas_f32 v1, v1, v8, v9
	v_div_fixup_f32 v5, v1, v7, v5
	v_fma_f32 v1, -v6, v11, 1.0
	v_fmac_f32_e32 v11, v1, v11
	v_div_scale_f32 v1, vcc, v4, v7, v4
	v_mul_f32_e32 v8, v1, v11
	v_fma_f32 v9, -v6, v8, v1
	v_fmac_f32_e32 v8, v9, v11
	v_fma_f32 v1, -v6, v8, v1
	v_div_fmas_f32 v1, v1, v11, v8
	v_div_fixup_f32 v4, v1, v7, v4
	v_mov_b32_e32 v1, 0
	global_store_dwordx2 v[2:3], v[4:5], off
.LBB0_131:                              ;   in Loop: Header=BB0_14 Depth=1
	s_or_b64 exec, exec, s[72:73]
	s_movk_i32 s10, 0x47
	v_cmp_gt_i32_e32 vcc, s10, v1
	s_mov_b64 s[72:73], -1
	s_and_saveexec_b64 s[74:75], vcc
; %bb.132:                              ;   in Loop: Header=BB0_14 Depth=1
	v_cmp_eq_u32_e32 vcc, 0, v1
	s_orn2_b64 s[72:73], vcc, exec
; %bb.133:                              ;   in Loop: Header=BB0_14 Depth=1
	s_or_b64 exec, exec, s[74:75]
	s_and_b64 exec, exec, s[72:73]
	s_cbranch_execz .LBB0_12
; %bb.134:                              ;   in Loop: Header=BB0_14 Depth=1
	v_add_u32_e32 v2, s76, v89
	v_cmp_gt_i32_e32 vcc, s28, v2
	s_and_b64 s[10:11], vcc, s[8:9]
	v_mov_b32_e32 v1, 0x47
	s_and_saveexec_b64 s[72:73], s[10:11]
	s_cbranch_execz .LBB0_136
; %bb.135:                              ;   in Loop: Header=BB0_14 Depth=1
	v_add_u32_e32 v1, 0, v90
	ds_read2st64_b32 v[4:5], v91 offset1:9
	ds_read2_b32 v[6:7], v1 offset0:32 offset1:33
	ds_read_b32 v8, v1 offset:2432
	v_mad_u64_u32 v[2:3], s[10:11], v2, s29, v[26:27]
	s_waitcnt lgkmcnt(2)
	v_cvt_f32_f16_sdwa v33, v4 dst_sel:DWORD dst_unused:UNUSED_PAD src0_sel:WORD_1
	v_cvt_f32_f16_e32 v32, v4
	v_cvt_f32_f16_sdwa v37, v5 dst_sel:DWORD dst_unused:UNUSED_PAD src0_sel:WORD_1
	v_cvt_f32_f16_e32 v36, v5
	v_lshl_or_b32 v2, v2, 5, v14
	s_waitcnt lgkmcnt(1)
	v_pk_fma_f32 v[4:5], v[6:7], v[32:33], 0 op_sel_hi:[0,1,0]
	v_ashrrev_i32_e32 v3, 31, v2
	s_waitcnt lgkmcnt(0)
	v_pk_fma_f32 v[4:5], v[8:9], v[36:37], v[4:5] op_sel_hi:[0,1,1]
	v_div_scale_f32 v6, s[10:11], v7, v7, v5
	v_rcp_f32_e32 v8, v6
	v_lshlrev_b64 v[2:3], 3, v[2:3]
	v_mov_b32_e32 v1, s55
	v_add_co_u32_e32 v2, vcc, s6, v2
	v_addc_co_u32_e32 v3, vcc, v1, v3, vcc
	v_fma_f32 v1, -v6, v8, 1.0
	v_fmac_f32_e32 v8, v1, v8
	v_div_scale_f32 v1, vcc, v5, v7, v5
	v_mul_f32_e32 v9, v1, v8
	v_fma_f32 v11, -v6, v9, v1
	v_fmac_f32_e32 v9, v11, v8
	v_fma_f32 v1, -v6, v9, v1
	v_div_scale_f32 v6, s[10:11], v7, v7, v4
	v_rcp_f32_e32 v11, v6
	v_div_fmas_f32 v1, v1, v8, v9
	v_div_fixup_f32 v5, v1, v7, v5
	v_fma_f32 v1, -v6, v11, 1.0
	v_fmac_f32_e32 v11, v1, v11
	v_div_scale_f32 v1, vcc, v4, v7, v4
	v_mul_f32_e32 v8, v1, v11
	v_fma_f32 v9, -v6, v8, v1
	v_fmac_f32_e32 v8, v9, v11
	v_fma_f32 v1, -v6, v8, v1
	v_div_fmas_f32 v1, v1, v11, v8
	v_div_fixup_f32 v4, v1, v7, v4
	v_mov_b32_e32 v1, 0
	global_store_dwordx2 v[2:3], v[4:5], off
.LBB0_136:                              ;   in Loop: Header=BB0_14 Depth=1
	s_or_b64 exec, exec, s[72:73]
	s_movk_i32 s10, 0x47
	v_cmp_gt_i32_e32 vcc, s10, v1
	s_mov_b64 s[72:73], -1
	s_and_saveexec_b64 s[74:75], vcc
; %bb.137:                              ;   in Loop: Header=BB0_14 Depth=1
	v_cmp_eq_u32_e32 vcc, 0, v1
	s_orn2_b64 s[72:73], vcc, exec
; %bb.138:                              ;   in Loop: Header=BB0_14 Depth=1
	s_or_b64 exec, exec, s[74:75]
	s_and_b64 exec, exec, s[72:73]
	s_cbranch_execz .LBB0_12
; %bb.139:                              ;   in Loop: Header=BB0_14 Depth=1
	v_add_u32_e32 v2, s76, v92
	v_cmp_gt_i32_e32 vcc, s28, v2
	s_and_b64 s[10:11], vcc, s[8:9]
	v_mov_b32_e32 v1, 0x47
	s_and_saveexec_b64 s[72:73], s[10:11]
	s_cbranch_execz .LBB0_141
; %bb.140:                              ;   in Loop: Header=BB0_14 Depth=1
	v_add_u32_e32 v1, 0, v93
	ds_read2st64_b32 v[4:5], v94 offset1:9
	ds_read2_b32 v[6:7], v1 offset0:32 offset1:33
	ds_read_b32 v8, v1 offset:2432
	v_mad_u64_u32 v[2:3], s[10:11], v2, s29, v[26:27]
	s_waitcnt lgkmcnt(2)
	v_cvt_f32_f16_sdwa v33, v4 dst_sel:DWORD dst_unused:UNUSED_PAD src0_sel:WORD_1
	v_cvt_f32_f16_e32 v32, v4
	v_cvt_f32_f16_sdwa v37, v5 dst_sel:DWORD dst_unused:UNUSED_PAD src0_sel:WORD_1
	v_cvt_f32_f16_e32 v36, v5
	v_lshl_or_b32 v2, v2, 5, v14
	s_waitcnt lgkmcnt(1)
	v_pk_fma_f32 v[4:5], v[6:7], v[32:33], 0 op_sel_hi:[0,1,0]
	v_ashrrev_i32_e32 v3, 31, v2
	s_waitcnt lgkmcnt(0)
	v_pk_fma_f32 v[4:5], v[8:9], v[36:37], v[4:5] op_sel_hi:[0,1,1]
	v_div_scale_f32 v6, s[10:11], v7, v7, v5
	v_rcp_f32_e32 v8, v6
	v_lshlrev_b64 v[2:3], 3, v[2:3]
	v_mov_b32_e32 v1, s55
	v_add_co_u32_e32 v2, vcc, s6, v2
	v_addc_co_u32_e32 v3, vcc, v1, v3, vcc
	v_fma_f32 v1, -v6, v8, 1.0
	v_fmac_f32_e32 v8, v1, v8
	v_div_scale_f32 v1, vcc, v5, v7, v5
	v_mul_f32_e32 v9, v1, v8
	v_fma_f32 v11, -v6, v9, v1
	v_fmac_f32_e32 v9, v11, v8
	v_fma_f32 v1, -v6, v9, v1
	v_div_scale_f32 v6, s[10:11], v7, v7, v4
	v_rcp_f32_e32 v11, v6
	v_div_fmas_f32 v1, v1, v8, v9
	v_div_fixup_f32 v5, v1, v7, v5
	v_fma_f32 v1, -v6, v11, 1.0
	v_fmac_f32_e32 v11, v1, v11
	v_div_scale_f32 v1, vcc, v4, v7, v4
	v_mul_f32_e32 v8, v1, v11
	v_fma_f32 v9, -v6, v8, v1
	v_fmac_f32_e32 v8, v9, v11
	v_fma_f32 v1, -v6, v8, v1
	v_div_fmas_f32 v1, v1, v11, v8
	v_div_fixup_f32 v4, v1, v7, v4
	v_mov_b32_e32 v1, 0
	global_store_dwordx2 v[2:3], v[4:5], off
.LBB0_141:                              ;   in Loop: Header=BB0_14 Depth=1
	s_or_b64 exec, exec, s[72:73]
	s_movk_i32 s10, 0x47
	v_cmp_gt_i32_e32 vcc, s10, v1
	s_mov_b64 s[72:73], -1
	s_and_saveexec_b64 s[74:75], vcc
; %bb.142:                              ;   in Loop: Header=BB0_14 Depth=1
	v_cmp_eq_u32_e32 vcc, 0, v1
	s_orn2_b64 s[72:73], vcc, exec
; %bb.143:                              ;   in Loop: Header=BB0_14 Depth=1
	s_or_b64 exec, exec, s[74:75]
	s_and_b64 exec, exec, s[72:73]
	s_cbranch_execz .LBB0_12
; %bb.144:                              ;   in Loop: Header=BB0_14 Depth=1
	v_add_u32_e32 v2, s76, v95
	v_cmp_gt_i32_e32 vcc, s28, v2
	s_and_b64 s[10:11], vcc, s[8:9]
	v_mov_b32_e32 v1, 0x47
	s_and_saveexec_b64 s[72:73], s[10:11]
	s_cbranch_execz .LBB0_146
; %bb.145:                              ;   in Loop: Header=BB0_14 Depth=1
	v_add_u32_e32 v1, 0, v96
	ds_read2st64_b32 v[4:5], v97 offset1:9
	ds_read2_b32 v[6:7], v1 offset0:32 offset1:33
	ds_read_b32 v8, v1 offset:2432
	v_mad_u64_u32 v[2:3], s[10:11], v2, s29, v[26:27]
	s_waitcnt lgkmcnt(2)
	v_cvt_f32_f16_sdwa v33, v4 dst_sel:DWORD dst_unused:UNUSED_PAD src0_sel:WORD_1
	v_cvt_f32_f16_e32 v32, v4
	v_cvt_f32_f16_sdwa v37, v5 dst_sel:DWORD dst_unused:UNUSED_PAD src0_sel:WORD_1
	v_cvt_f32_f16_e32 v36, v5
	v_lshl_or_b32 v2, v2, 5, v14
	s_waitcnt lgkmcnt(1)
	v_pk_fma_f32 v[4:5], v[6:7], v[32:33], 0 op_sel_hi:[0,1,0]
	v_ashrrev_i32_e32 v3, 31, v2
	s_waitcnt lgkmcnt(0)
	v_pk_fma_f32 v[4:5], v[8:9], v[36:37], v[4:5] op_sel_hi:[0,1,1]
	v_div_scale_f32 v6, s[10:11], v7, v7, v5
	v_rcp_f32_e32 v8, v6
	v_lshlrev_b64 v[2:3], 3, v[2:3]
	v_mov_b32_e32 v1, s55
	v_add_co_u32_e32 v2, vcc, s6, v2
	v_addc_co_u32_e32 v3, vcc, v1, v3, vcc
	v_fma_f32 v1, -v6, v8, 1.0
	v_fmac_f32_e32 v8, v1, v8
	v_div_scale_f32 v1, vcc, v5, v7, v5
	v_mul_f32_e32 v9, v1, v8
	v_fma_f32 v11, -v6, v9, v1
	v_fmac_f32_e32 v9, v11, v8
	v_fma_f32 v1, -v6, v9, v1
	v_div_scale_f32 v6, s[10:11], v7, v7, v4
	v_rcp_f32_e32 v11, v6
	v_div_fmas_f32 v1, v1, v8, v9
	v_div_fixup_f32 v5, v1, v7, v5
	v_fma_f32 v1, -v6, v11, 1.0
	v_fmac_f32_e32 v11, v1, v11
	v_div_scale_f32 v1, vcc, v4, v7, v4
	v_mul_f32_e32 v8, v1, v11
	v_fma_f32 v9, -v6, v8, v1
	v_fmac_f32_e32 v8, v9, v11
	v_fma_f32 v1, -v6, v8, v1
	v_div_fmas_f32 v1, v1, v11, v8
	v_div_fixup_f32 v4, v1, v7, v4
	v_mov_b32_e32 v1, 0
	global_store_dwordx2 v[2:3], v[4:5], off
.LBB0_146:                              ;   in Loop: Header=BB0_14 Depth=1
	s_or_b64 exec, exec, s[72:73]
	s_movk_i32 s10, 0x47
	v_cmp_gt_i32_e32 vcc, s10, v1
	s_mov_b64 s[72:73], -1
	s_and_saveexec_b64 s[74:75], vcc
; %bb.147:                              ;   in Loop: Header=BB0_14 Depth=1
	v_cmp_eq_u32_e32 vcc, 0, v1
	s_orn2_b64 s[72:73], vcc, exec
; %bb.148:                              ;   in Loop: Header=BB0_14 Depth=1
	s_or_b64 exec, exec, s[74:75]
	s_and_b64 exec, exec, s[72:73]
	s_cbranch_execz .LBB0_12
; %bb.149:                              ;   in Loop: Header=BB0_14 Depth=1
	v_add_u32_e32 v2, s76, v98
	v_cmp_gt_i32_e32 vcc, s28, v2
	s_and_b64 s[10:11], vcc, s[8:9]
	v_mov_b32_e32 v1, 0x47
	s_and_saveexec_b64 s[72:73], s[10:11]
	s_cbranch_execz .LBB0_151
; %bb.150:                              ;   in Loop: Header=BB0_14 Depth=1
	v_add_u32_e32 v1, 0, v99
	ds_read2st64_b32 v[4:5], v100 offset1:9
	ds_read2_b32 v[6:7], v1 offset0:32 offset1:33
	ds_read_b32 v8, v1 offset:2432
	v_mad_u64_u32 v[2:3], s[10:11], v2, s29, v[26:27]
	s_waitcnt lgkmcnt(2)
	v_cvt_f32_f16_sdwa v33, v4 dst_sel:DWORD dst_unused:UNUSED_PAD src0_sel:WORD_1
	v_cvt_f32_f16_e32 v32, v4
	v_cvt_f32_f16_sdwa v37, v5 dst_sel:DWORD dst_unused:UNUSED_PAD src0_sel:WORD_1
	v_cvt_f32_f16_e32 v36, v5
	v_lshl_or_b32 v2, v2, 5, v14
	s_waitcnt lgkmcnt(1)
	v_pk_fma_f32 v[4:5], v[6:7], v[32:33], 0 op_sel_hi:[0,1,0]
	v_ashrrev_i32_e32 v3, 31, v2
	s_waitcnt lgkmcnt(0)
	v_pk_fma_f32 v[4:5], v[8:9], v[36:37], v[4:5] op_sel_hi:[0,1,1]
	v_div_scale_f32 v6, s[10:11], v7, v7, v5
	v_rcp_f32_e32 v8, v6
	v_lshlrev_b64 v[2:3], 3, v[2:3]
	v_mov_b32_e32 v1, s55
	v_add_co_u32_e32 v2, vcc, s6, v2
	v_addc_co_u32_e32 v3, vcc, v1, v3, vcc
	v_fma_f32 v1, -v6, v8, 1.0
	v_fmac_f32_e32 v8, v1, v8
	v_div_scale_f32 v1, vcc, v5, v7, v5
	v_mul_f32_e32 v9, v1, v8
	v_fma_f32 v11, -v6, v9, v1
	v_fmac_f32_e32 v9, v11, v8
	v_fma_f32 v1, -v6, v9, v1
	v_div_scale_f32 v6, s[10:11], v7, v7, v4
	v_rcp_f32_e32 v11, v6
	v_div_fmas_f32 v1, v1, v8, v9
	v_div_fixup_f32 v5, v1, v7, v5
	v_fma_f32 v1, -v6, v11, 1.0
	v_fmac_f32_e32 v11, v1, v11
	v_div_scale_f32 v1, vcc, v4, v7, v4
	v_mul_f32_e32 v8, v1, v11
	v_fma_f32 v9, -v6, v8, v1
	v_fmac_f32_e32 v8, v9, v11
	v_fma_f32 v1, -v6, v8, v1
	v_div_fmas_f32 v1, v1, v11, v8
	v_div_fixup_f32 v4, v1, v7, v4
	v_mov_b32_e32 v1, 0
	global_store_dwordx2 v[2:3], v[4:5], off
.LBB0_151:                              ;   in Loop: Header=BB0_14 Depth=1
	s_or_b64 exec, exec, s[72:73]
	s_movk_i32 s10, 0x47
	v_cmp_gt_i32_e32 vcc, s10, v1
	s_mov_b64 s[72:73], -1
	s_and_saveexec_b64 s[74:75], vcc
; %bb.152:                              ;   in Loop: Header=BB0_14 Depth=1
	v_cmp_eq_u32_e32 vcc, 0, v1
	s_orn2_b64 s[72:73], vcc, exec
; %bb.153:                              ;   in Loop: Header=BB0_14 Depth=1
	s_or_b64 exec, exec, s[74:75]
	s_and_b64 exec, exec, s[72:73]
	s_cbranch_execz .LBB0_12
; %bb.154:                              ;   in Loop: Header=BB0_14 Depth=1
	v_add_u32_e32 v2, s76, v101
	v_cmp_gt_i32_e32 vcc, s28, v2
	s_and_b64 s[10:11], vcc, s[8:9]
	v_mov_b32_e32 v1, 0x47
	s_and_saveexec_b64 s[72:73], s[10:11]
	s_cbranch_execz .LBB0_156
; %bb.155:                              ;   in Loop: Header=BB0_14 Depth=1
	v_add_u32_e32 v1, 0, v102
	ds_read2st64_b32 v[4:5], v103 offset1:9
	ds_read2_b32 v[6:7], v1 offset0:32 offset1:33
	ds_read_b32 v8, v1 offset:2432
	v_mad_u64_u32 v[2:3], s[10:11], v2, s29, v[26:27]
	s_waitcnt lgkmcnt(2)
	v_cvt_f32_f16_sdwa v33, v4 dst_sel:DWORD dst_unused:UNUSED_PAD src0_sel:WORD_1
	v_cvt_f32_f16_e32 v32, v4
	v_cvt_f32_f16_sdwa v37, v5 dst_sel:DWORD dst_unused:UNUSED_PAD src0_sel:WORD_1
	v_cvt_f32_f16_e32 v36, v5
	v_lshl_or_b32 v2, v2, 5, v14
	s_waitcnt lgkmcnt(1)
	v_pk_fma_f32 v[4:5], v[6:7], v[32:33], 0 op_sel_hi:[0,1,0]
	v_ashrrev_i32_e32 v3, 31, v2
	s_waitcnt lgkmcnt(0)
	v_pk_fma_f32 v[4:5], v[8:9], v[36:37], v[4:5] op_sel_hi:[0,1,1]
	v_div_scale_f32 v6, s[10:11], v7, v7, v5
	v_rcp_f32_e32 v8, v6
	v_lshlrev_b64 v[2:3], 3, v[2:3]
	v_mov_b32_e32 v1, s55
	v_add_co_u32_e32 v2, vcc, s6, v2
	v_addc_co_u32_e32 v3, vcc, v1, v3, vcc
	v_fma_f32 v1, -v6, v8, 1.0
	v_fmac_f32_e32 v8, v1, v8
	v_div_scale_f32 v1, vcc, v5, v7, v5
	v_mul_f32_e32 v9, v1, v8
	v_fma_f32 v11, -v6, v9, v1
	v_fmac_f32_e32 v9, v11, v8
	v_fma_f32 v1, -v6, v9, v1
	v_div_scale_f32 v6, s[10:11], v7, v7, v4
	v_rcp_f32_e32 v11, v6
	v_div_fmas_f32 v1, v1, v8, v9
	v_div_fixup_f32 v5, v1, v7, v5
	v_fma_f32 v1, -v6, v11, 1.0
	v_fmac_f32_e32 v11, v1, v11
	v_div_scale_f32 v1, vcc, v4, v7, v4
	v_mul_f32_e32 v8, v1, v11
	v_fma_f32 v9, -v6, v8, v1
	v_fmac_f32_e32 v8, v9, v11
	v_fma_f32 v1, -v6, v8, v1
	v_div_fmas_f32 v1, v1, v11, v8
	v_div_fixup_f32 v4, v1, v7, v4
	v_mov_b32_e32 v1, 0
	global_store_dwordx2 v[2:3], v[4:5], off
.LBB0_156:                              ;   in Loop: Header=BB0_14 Depth=1
	s_or_b64 exec, exec, s[72:73]
	s_movk_i32 s10, 0x47
	v_cmp_gt_i32_e32 vcc, s10, v1
	s_mov_b64 s[72:73], -1
	s_and_saveexec_b64 s[74:75], vcc
; %bb.157:                              ;   in Loop: Header=BB0_14 Depth=1
	v_cmp_eq_u32_e32 vcc, 0, v1
	s_orn2_b64 s[72:73], vcc, exec
; %bb.158:                              ;   in Loop: Header=BB0_14 Depth=1
	s_or_b64 exec, exec, s[74:75]
	s_and_b64 exec, exec, s[72:73]
	s_cbranch_execz .LBB0_12
; %bb.159:                              ;   in Loop: Header=BB0_14 Depth=1
	v_add_u32_e32 v1, s76, v104
	v_cmp_gt_i32_e32 vcc, s28, v1
	s_and_b64 s[8:9], vcc, s[8:9]
	s_and_b64 exec, exec, s[8:9]
	s_cbranch_execz .LBB0_12
; %bb.160:                              ;   in Loop: Header=BB0_14 Depth=1
	v_add_u32_e32 v8, 0, v105
	ds_read2st64_b32 v[4:5], v106 offset1:9
	ds_read2_b32 v[6:7], v8 offset0:32 offset1:33
	ds_read_b32 v8, v8 offset:2432
	v_mad_u64_u32 v[2:3], s[8:9], v1, s29, v[26:27]
	s_waitcnt lgkmcnt(2)
	v_cvt_f32_f16_sdwa v33, v4 dst_sel:DWORD dst_unused:UNUSED_PAD src0_sel:WORD_1
	v_cvt_f32_f16_e32 v32, v4
	v_cvt_f32_f16_sdwa v37, v5 dst_sel:DWORD dst_unused:UNUSED_PAD src0_sel:WORD_1
	v_cvt_f32_f16_e32 v36, v5
	v_lshl_or_b32 v2, v2, 5, v14
	s_waitcnt lgkmcnt(1)
	v_pk_fma_f32 v[4:5], v[6:7], v[32:33], 0 op_sel_hi:[0,1,0]
	v_ashrrev_i32_e32 v3, 31, v2
	s_waitcnt lgkmcnt(0)
	v_pk_fma_f32 v[4:5], v[8:9], v[36:37], v[4:5] op_sel_hi:[0,1,1]
	v_div_scale_f32 v6, s[8:9], v7, v7, v5
	v_rcp_f32_e32 v8, v6
	v_lshlrev_b64 v[2:3], 3, v[2:3]
	v_mov_b32_e32 v1, s55
	v_add_co_u32_e32 v2, vcc, s6, v2
	v_addc_co_u32_e32 v3, vcc, v1, v3, vcc
	v_fma_f32 v1, -v6, v8, 1.0
	v_fmac_f32_e32 v8, v1, v8
	v_div_scale_f32 v1, vcc, v5, v7, v5
	v_mul_f32_e32 v9, v1, v8
	v_fma_f32 v11, -v6, v9, v1
	v_fmac_f32_e32 v9, v11, v8
	v_fma_f32 v1, -v6, v9, v1
	v_div_scale_f32 v6, s[8:9], v7, v7, v4
	v_rcp_f32_e32 v11, v6
	v_div_fmas_f32 v1, v1, v8, v9
	v_div_fixup_f32 v5, v1, v7, v5
	v_fma_f32 v1, -v6, v11, 1.0
	v_fmac_f32_e32 v11, v1, v11
	v_div_scale_f32 v1, vcc, v4, v7, v4
	v_mul_f32_e32 v8, v1, v11
	v_fma_f32 v9, -v6, v8, v1
	v_fmac_f32_e32 v8, v9, v11
	v_fma_f32 v1, -v6, v8, v1
	v_div_fmas_f32 v1, v1, v11, v8
	v_div_fixup_f32 v4, v1, v7, v4
	global_store_dwordx2 v[2:3], v[4:5], off
	s_branch .LBB0_12
.LBB0_161:
	v_readlane_b32 s49, v160, 13
	v_readlane_b32 s43, v160, 8
	;; [unrolled: 1-line block ×5, first 2 shown]
	s_andn2_b64 vcc, exec, s[8:9]
	s_cbranch_vccnz .LBB0_10
.LBB0_162:
	v_readlane_b32 s6, v160, 3
	s_abs_i32 s0, s6
	v_cvt_f32_u32_e32 v1, s0
	s_sub_i32 s3, 0, s0
	s_abs_i32 s2, s52
	s_xor_b32 s1, s52, s6
	v_rcp_iflag_f32_e32 v1, v1
	s_ashr_i32 s1, s1, 31
	v_readlane_b32 s8, v160, 2
	v_readlane_b32 s9, v160, 1
	v_mul_f32_e32 v1, 0x4f7ffffe, v1
	v_cvt_u32_f32_e32 v1, v1
	v_mov_b32_e32 v8, s81
	v_readfirstlane_b32 s4, v1
	s_mul_i32 s3, s3, s4
	s_mul_hi_u32 s3, s4, s3
	s_add_i32 s4, s4, s3
	s_mul_hi_u32 s3, s2, s4
	s_mul_i32 s4, s3, s0
	s_sub_i32 s2, s2, s4
	s_add_i32 s5, s3, 1
	s_sub_i32 s4, s2, s0
	s_cmp_ge_u32 s2, s0
	s_cselect_b32 s3, s5, s3
	s_cselect_b32 s2, s4, s2
	s_add_i32 s4, s3, 1
	s_cmp_ge_u32 s2, s0
	s_cselect_b32 s0, s4, s3
	s_abs_i32 s2, s8
	v_cvt_f32_u32_e32 v1, s2
	s_xor_b32 s0, s0, s1
	s_sub_i32 s5, s0, s1
	s_sub_i32 s3, 0, s2
	v_rcp_iflag_f32_e32 v1, v1
	s_mul_i32 s0, s5, s6
	s_sub_i32 s0, s52, s0
	s_abs_i32 s4, s0
	v_mul_f32_e32 v1, 0x4f7ffffe, v1
	v_cvt_u32_f32_e32 v1, v1
	s_xor_b32 s1, s0, s8
	s_ashr_i32 s1, s1, 31
	v_readfirstlane_b32 s6, v1
	s_mul_i32 s3, s3, s6
	s_mul_hi_u32 s3, s6, s3
	s_add_i32 s6, s6, s3
	s_mul_hi_u32 s3, s4, s6
	s_mul_i32 s6, s3, s2
	s_sub_i32 s4, s4, s6
	s_add_i32 s7, s3, 1
	s_sub_i32 s6, s4, s2
	s_cmp_ge_u32 s4, s2
	s_cselect_b32 s3, s7, s3
	s_cselect_b32 s4, s6, s4
	s_add_i32 s6, s3, 1
	s_cmp_ge_u32 s4, s2
	s_cselect_b32 s2, s6, s3
	s_abs_i32 s3, s9
	v_cvt_f32_u32_e32 v1, s3
	s_xor_b32 s2, s2, s1
	s_sub_i32 s4, 0, s3
	s_sub_i32 s6, s2, s1
	v_rcp_iflag_f32_e32 v1, v1
	s_mul_i32 s1, s6, s8
	s_sub_i32 s1, s0, s1
	s_abs_i32 s2, s1
	v_mul_f32_e32 v1, 0x4f7ffffe, v1
	v_cvt_u32_f32_e32 v1, v1
	s_xor_b32 s0, s1, s9
	s_ashr_i32 s0, s0, 31
	v_readfirstlane_b32 s7, v1
	s_mul_i32 s4, s4, s7
	s_mul_hi_u32 s4, s7, s4
	s_add_i32 s7, s7, s4
	s_mul_hi_u32 s4, s2, s7
	s_mul_i32 s7, s4, s3
	s_sub_i32 s2, s2, s7
	s_add_i32 s8, s4, 1
	s_sub_i32 s7, s2, s3
	s_cmp_ge_u32 s2, s3
	s_cselect_b32 s4, s8, s4
	s_cselect_b32 s2, s7, s2
	s_add_i32 s7, s4, 1
	s_cmp_ge_u32 s2, s3
	s_cselect_b32 s2, s7, s4
	s_xor_b32 s2, s2, s0
	s_sub_i32 s0, s2, s0
	s_mul_i32 s2, s0, s9
	s_sub_i32 s1, s1, s2
	s_ashr_i32 s2, s1, 31
	s_abs_i32 s1, s1
	s_mul_hi_u32 s3, s1, s48
	s_mul_i32 s4, s3, s83
	s_sub_i32 s1, s1, s4
	s_xor_b32 s2, s2, s38
	s_add_i32 s4, s3, 1
	s_sub_i32 s7, s1, s83
	s_cmp_ge_u32 s1, s83
	s_cselect_b32 s3, s4, s3
	s_cselect_b32 s1, s7, s1
	s_add_i32 s4, s3, 1
	s_cmp_ge_u32 s1, s83
	s_cselect_b32 s1, s4, s3
	s_abs_i32 s7, s54
	v_cvt_f32_u32_e32 v1, s7
	s_xor_b32 s1, s1, s2
	s_sub_i32 s1, s1, s2
	s_cmp_eq_u64 s[22:23], 0
	v_rcp_iflag_f32_e32 v1, v1
	v_mul_f32_e32 v1, 0x4f7ffffe, v1
	v_cvt_u32_f32_e32 v1, v1
	v_readfirstlane_b32 s10, v1
	s_cbranch_scc1 .LBB0_164
; %bb.163:
	v_readlane_b32 s2, v160, 0
	s_mul_i32 s2, s5, s2
	s_add_i32 s2, s1, s2
	s_ashr_i32 s3, s2, 31
	s_lshl_b64 s[2:3], s[2:3], 2
	s_add_u32 s2, s22, s2
	s_addc_u32 s3, s23, s3
	v_mov_b32_e32 v1, 0
	global_load_dword v1, v1, s[2:3]
	s_waitcnt vmcnt(0)
	v_ashrrev_i32_e32 v2, 31, v1
	v_lshrrev_b32_e32 v2, 26, v2
	v_add_u32_e32 v1, v1, v2
	v_ashrrev_i32_e32 v1, 6, v1
	v_min_i32_e32 v8, s81, v1
.LBB0_164:
	v_readlane_b32 s8, v160, 4
	v_readlane_b32 s9, v160, 5
	s_mul_i32 s2, s6, s33
	s_lshl_b32 s0, s0, 1
	s_mul_i32 s3, s5, s9
	s_add_i32 s2, s0, s2
	s_ashr_i32 s4, s3, 31
	s_add_u32 s3, s12, s3
	s_mul_i32 s2, s2, s8
	v_and_b32_e32 v32, 0x3ff, v0
	s_addc_u32 s4, s13, s4
	s_ashr_i32 s9, s2, 31
	v_lshrrev_b32_e32 v31, 5, v32
	s_add_u32 s8, s3, s2
	v_bfe_u32 v0, v32, 5, 1
	v_add_u16_e32 v1, v31, v29
	s_addc_u32 s9, s4, s9
	s_lshl_b32 s4, s1, 4
	v_lshrrev_b16_e32 v1, 1, v1
	v_or_b32_e32 v2, s0, v0
	v_add_u32_e32 v1, s4, v1
	v_cmp_gt_i32_e64 s[0:1], s33, v2
	v_cmp_le_i32_e32 vcc, s28, v1
	s_xor_b64 s[0:1], s[0:1], -1
	v_and_b32_e32 v30, 31, v32
	v_add_u32_e32 v24, v31, v29
	s_or_b64 s[2:3], vcc, s[0:1]
	s_and_saveexec_b64 s[12:13], s[2:3]
	s_xor_b64 s[2:3], exec, s[12:13]
	s_cbranch_execz .LBB0_166
; %bb.165:
	v_mad_u32_u24 v1, v24, 36, v30
	v_lshl_add_u32 v1, v1, 2, 0
	v_mov_b32_e32 v2, 0
	ds_write_b32 v1, v2
                                        ; implicit-def: $vgpr1
.LBB0_166:
	s_andn2_saveexec_b64 s[2:3], s[2:3]
	s_cbranch_execz .LBB0_168
; %bb.167:
	v_mul_lo_u32 v1, v1, s53
	v_mul_lo_u32 v2, v0, s50
	v_add3_u32 v2, v2, v30, v1
	v_ashrrev_i32_e32 v3, 31, v2
	v_lshlrev_b64 v[2:3], 3, v[2:3]
	v_mov_b32_e32 v1, s9
	v_add_co_u32_e32 v2, vcc, s8, v2
	v_addc_co_u32_e32 v3, vcc, v1, v3, vcc
	global_load_dwordx2 v[2:3], v[2:3], off
	s_waitcnt vmcnt(0)
	v_cvt_f16_f32_e32 v1, v2
	v_cvt_f16_f32_e32 v2, v3
	v_mad_u32_u24 v3, v24, 36, v30
	v_pack_b32_f16 v1, v1, v2
	v_pk_mul_f16 v1, v27, v1
	v_lshl_add_u32 v2, v3, 2, 0
	ds_write_b32 v2, v1
.LBB0_168:
	s_or_b64 exec, exec, s[2:3]
	v_add_u32_e32 v25, 8, v24
	v_lshrrev_b32_e32 v1, 1, v25
	v_add_u32_e32 v1, s4, v1
	v_cmp_le_i32_e32 vcc, s28, v1
	s_sub_i32 s11, 0, s7
	s_or_b64 s[2:3], vcc, s[0:1]
	s_and_saveexec_b64 s[12:13], s[2:3]
	s_xor_b64 s[2:3], exec, s[12:13]
	s_cbranch_execz .LBB0_170
; %bb.169:
	v_mad_u32_u24 v1, v25, 36, v30
	v_lshl_add_u32 v1, v1, 2, 0
	v_mov_b32_e32 v2, 0
	ds_write_b32 v1, v2
                                        ; implicit-def: $vgpr1
.LBB0_170:
	s_or_saveexec_b64 s[2:3], s[2:3]
	s_mul_i32 s11, s11, s10
	s_xor_b64 exec, exec, s[2:3]
	s_cbranch_execz .LBB0_172
; %bb.171:
	v_mul_lo_u32 v1, v1, s53
	v_mul_lo_u32 v2, v0, s50
	v_add3_u32 v2, v2, v30, v1
	v_ashrrev_i32_e32 v3, 31, v2
	v_lshlrev_b64 v[2:3], 3, v[2:3]
	v_mov_b32_e32 v1, s9
	v_add_co_u32_e32 v2, vcc, s8, v2
	v_addc_co_u32_e32 v3, vcc, v1, v3, vcc
	global_load_dwordx2 v[2:3], v[2:3], off
	s_waitcnt vmcnt(0)
	v_cvt_f16_f32_e32 v1, v2
	v_cvt_f16_f32_e32 v2, v3
	v_mad_u32_u24 v3, v25, 36, v30
	v_pack_b32_f16 v1, v1, v2
	v_pk_mul_f16 v1, v27, v1
	v_lshl_add_u32 v2, v3, 2, 0
	ds_write_b32 v2, v1
.LBB0_172:
	s_or_b64 exec, exec, s[2:3]
	v_add_u32_e32 v1, 16, v24
	v_lshrrev_b32_e32 v2, 1, v1
	v_add_u32_e32 v2, s4, v2
	v_cmp_le_i32_e32 vcc, s28, v2
	s_mul_hi_u32 s12, s10, s11
	s_or_b64 s[2:3], vcc, s[0:1]
	s_and_saveexec_b64 s[20:21], s[2:3]
	s_xor_b64 s[2:3], exec, s[20:21]
	s_cbranch_execz .LBB0_174
; %bb.173:
	v_mad_u32_u24 v1, v1, 36, v30
	v_lshl_add_u32 v1, v1, 2, 0
	v_mov_b32_e32 v2, 0
	ds_write_b32 v1, v2
                                        ; implicit-def: $vgpr2
                                        ; implicit-def: $vgpr1
.LBB0_174:
	s_or_saveexec_b64 s[2:3], s[2:3]
	s_abs_i32 s11, s5
	s_add_i32 s10, s10, s12
	s_xor_b64 exec, exec, s[2:3]
	s_cbranch_execz .LBB0_176
; %bb.175:
	v_mul_lo_u32 v2, v2, s53
	v_mul_lo_u32 v3, v0, s50
	v_add3_u32 v2, v3, v30, v2
	v_ashrrev_i32_e32 v3, 31, v2
	v_lshlrev_b64 v[2:3], 3, v[2:3]
	v_mov_b32_e32 v4, s9
	v_add_co_u32_e32 v2, vcc, s8, v2
	v_addc_co_u32_e32 v3, vcc, v4, v3, vcc
	global_load_dwordx2 v[2:3], v[2:3], off
	v_mad_u32_u24 v1, v1, 36, v30
	v_lshl_add_u32 v1, v1, 2, 0
	s_waitcnt vmcnt(0)
	v_cvt_f16_f32_e32 v2, v2
	v_cvt_f16_f32_e32 v3, v3
	v_pack_b32_f16 v2, v2, v3
	v_pk_mul_f16 v2, v27, v2
	ds_write_b32 v1, v2
.LBB0_176:
	s_or_b64 exec, exec, s[2:3]
	v_add_u32_e32 v1, 24, v24
	v_lshrrev_b32_e32 v2, 1, v1
	v_add_u32_e32 v2, s4, v2
	v_cmp_le_i32_e32 vcc, s28, v2
	s_mul_hi_u32 s2, s11, s10
	s_or_b64 s[0:1], vcc, s[0:1]
	s_and_saveexec_b64 s[12:13], s[0:1]
	s_xor_b64 s[0:1], exec, s[12:13]
	s_cbranch_execz .LBB0_178
; %bb.177:
	v_mad_u32_u24 v0, v1, 36, v30
	v_lshl_add_u32 v0, v0, 2, 0
	v_mov_b32_e32 v1, 0
	ds_write_b32 v0, v1
                                        ; implicit-def: $vgpr2
                                        ; implicit-def: $vgpr0
                                        ; implicit-def: $vgpr27
                                        ; implicit-def: $vgpr1
.LBB0_178:
	s_or_saveexec_b64 s[0:1], s[0:1]
	s_ashr_i32 s3, s5, 31
	s_xor_b64 exec, exec, s[0:1]
	s_cbranch_execz .LBB0_180
; %bb.179:
	v_mul_lo_u32 v2, v2, s53
	v_mul_lo_u32 v0, v0, s50
	v_add3_u32 v2, v0, v30, v2
	v_ashrrev_i32_e32 v3, 31, v2
	v_lshlrev_b64 v[2:3], 3, v[2:3]
	v_mov_b32_e32 v0, s9
	v_add_co_u32_e32 v2, vcc, s8, v2
	v_addc_co_u32_e32 v3, vcc, v0, v3, vcc
	global_load_dwordx2 v[2:3], v[2:3], off
	v_mad_u32_u24 v1, v1, 36, v30
	v_lshl_add_u32 v1, v1, 2, 0
	s_waitcnt vmcnt(0)
	v_cvt_f16_f32_e32 v0, v2
	v_cvt_f16_f32_e32 v2, v3
	v_pack_b32_f16 v0, v0, v2
	v_pk_mul_f16 v0, v27, v0
	ds_write_b32 v1, v0
.LBB0_180:
	s_or_b64 exec, exec, s[0:1]
	s_mul_i32 s0, s5, s37
	s_mul_hi_u32 s1, s5, s36
	s_add_i32 s0, s1, s0
	s_mul_i32 s1, s3, s36
	v_readlane_b32 s8, v160, 6
	s_add_i32 s0, s0, s1
	s_mul_i32 s1, s5, s36
	v_readlane_b32 s9, v160, 7
	s_add_u32 s1, s14, s1
	s_mul_i32 s8, s6, s9
	s_addc_u32 s0, s15, s0
	s_ashr_i32 s9, s8, 31
	s_add_u32 s29, s1, s8
	s_mul_i32 s2, s2, s7
	s_addc_u32 s31, s0, s9
	s_sub_i32 s0, s11, s2
	s_sub_i32 s1, s0, s7
	s_cmp_ge_u32 s0, s7
	s_cselect_b32 s0, s1, s0
	s_sub_i32 s1, s0, s7
	s_cmp_ge_u32 s0, s7
	s_cselect_b32 s0, s1, s0
	s_xor_b32 s0, s0, s3
	s_sub_i32 s0, s0, s3
	s_ashr_i32 s1, s0, 31
	s_mul_i32 s2, s0, s47
	s_mul_hi_u32 s7, s0, s46
	s_add_i32 s2, s7, s2
	s_mul_i32 s1, s1, s46
	s_add_i32 s2, s2, s1
	s_mul_i32 s0, s0, s46
	s_add_u32 s33, s18, s0
	s_mul_i32 s0, s5, s45
	s_mul_hi_u32 s1, s5, s44
	s_addc_u32 s35, s19, s2
	s_add_i32 s0, s1, s0
	s_mul_i32 s3, s3, s44
	s_add_i32 s0, s0, s3
	s_mul_i32 s5, s5, s44
	s_add_u32 s1, s16, s5
	s_mul_i32 s6, s6, s39
	s_addc_u32 s0, s17, s0
	s_ashr_i32 s2, s6, 31
	s_add_u32 s6, s1, s6
	v_lshrrev_b32_e32 v27, 3, v32
	s_addc_u32 s7, s0, s2
	v_and_b32_e32 v26, 0x1ff0, v45
	s_movk_i32 s0, 0x90
	v_and_b32_e32 v33, 15, v32
	v_and_b32_e32 v34, 0x7e, v27
	v_mad_u32_u24 v0, v26, s0, 0
	v_mul_u32_u24_e32 v52, 0x90, v33
	v_lshlrev_b32_e32 v51, 2, v34
	v_add3_u32 v0, v0, v52, v51
	s_waitcnt lgkmcnt(0)
	s_barrier
	ds_read2_b64 v[4:7], v0 offset1:4
	ds_read2_b64 v[0:3], v0 offset0:8 offset1:12
	v_add_u32_e32 v70, -1, v8
	v_cmp_lt_i32_e32 vcc, s74, v70
	v_lshlrev_b32_e32 v8, 1, v32
	s_mov_b32 s2, 0
	v_and_b32_e32 v28, 62, v8
	v_mov_b32_e32 v13, 0
	s_waitcnt lgkmcnt(0)
	s_barrier
	s_cbranch_vccnz .LBB0_183
; %bb.181:
	v_add_u32_e32 v8, s4, v24
	v_mul_hi_u32 v9, s40, v8
	v_add_u32_e32 v9, v8, v9
	v_lshrrev_b32_e32 v9, s41, v9
	v_mul_lo_u32 v9, v9, s28
	v_sub_u32_e32 v8, v8, v9
	v_mad_i64_i32 v[14:15], s[8:9], v8, s42, 0
	v_add_u32_e32 v8, s4, v25
	v_mul_hi_u32 v9, s40, v8
	v_add_u32_e32 v9, v8, v9
	v_lshrrev_b32_e32 v9, s41, v9
	v_mul_lo_u32 v9, v9, s28
	v_sub_u32_e32 v8, v8, v9
	v_mov_b32_e32 v9, 0x480
	v_mad_u32_u24 v54, v24, s0, v9
	v_lshlrev_b32_e32 v9, 2, v32
	v_lshlrev_b32_e32 v36, 4, v35
	v_lshrrev_b32_e32 v23, 2, v32
	v_and_b32_e32 v12, 28, v9
	v_and_b32_e32 v9, 16, v36
	;; [unrolled: 1-line block ×3, first 2 shown]
	v_mul_u32_u24_e32 v67, 0x90, v9
	v_add_u32_e32 v10, v29, v9
	v_add_u16_e32 v9, v29, v9
	v_lshrrev_b16_e32 v64, 1, v9
	v_add_u32_e32 v9, 32, v10
	v_lshrrev_b32_e32 v66, 1, v9
	v_add_u32_e32 v9, 34, v10
	v_mad_i64_i32 v[16:17], s[8:9], v8, s42, 0
	v_add_u32_e32 v8, v27, v45
	v_mov_b32_e32 v22, 0x1200
	v_lshrrev_b32_e32 v68, 1, v9
	v_mbcnt_lo_u32_b32 v9, -1, 0
	v_mul_u32_u24_e32 v56, 0x90, v8
	v_mul_lo_u32 v18, s34, v8
	v_mad_u32_u24 v59, v8, s0, v22
	v_and_or_b32 v11, v32, 14, v26
	v_mbcnt_hi_u32_b32 v55, -1, v9
	v_mul_lo_u32 v8, s30, v8
	v_mul_u32_u24_e32 v38, 0x48, v29
	v_lshl_add_u32 v20, s34, 5, v18
	v_lshrrev_b32_e32 v11, 1, v11
	v_and_b32_e32 v9, 64, v55
	v_lshl_add_u32 v10, s30, 5, v8
	v_and_b32_e32 v37, 8, v45
	v_or_b32_e32 v41, v38, v33
	v_or_b32_e32 v23, 3, v23
	s_movk_i32 s0, 0x120
	v_mul_u32_u24_e32 v53, 0x90, v24
	s_ashr_i32 s23, s34, 31
	v_ashrrev_i32_e32 v19, 31, v18
	v_ashrrev_i32_e32 v21, 31, v20
	v_mul_u32_u24_e32 v62, 0x90, v11
	v_or_b32_e32 v65, 1, v64
	v_add_u32_e32 v57, 64, v9
	v_xor_b32_e32 v69, 32, v55
	v_xor_b32_e32 v58, 16, v55
	s_ashr_i32 s21, s30, 31
	v_ashrrev_i32_e32 v9, 31, v8
	v_ashrrev_i32_e32 v11, 31, v10
	v_mul_u32_u24_e32 v38, 0x90, v29
	v_add_u32_e32 v42, 0x90, v41
	v_mul_u32_u24_e32 v39, 0x90, v23
	v_mul_u32_u24_e32 v43, 0x120, v37
	v_mad_u32_u24 v40, v37, s0, v22
	s_mov_b64 s[0:1], 0
	s_mov_b32 s3, 0xfeffffff
	s_branch .LBB0_184
.LBB0_182:
                                        ; implicit-def: $sgpr56_sgpr57
	s_load_dwordx2 s[40:41], s[4:5], 0x5c
	s_branch .LBB0_7
.LBB0_183:
	s_mov_b64 s[0:1], -1
                                        ; implicit-def: $sgpr2
                                        ; implicit-def: $sgpr3
                                        ; implicit-def: $vgpr53
                                        ; implicit-def: $vgpr14_vgpr15
                                        ; implicit-def: $vgpr54
                                        ; implicit-def: $vgpr16_vgpr17
                                        ; implicit-def: $vgpr56
                                        ; implicit-def: $vgpr12
                                        ; implicit-def: $vgpr18_vgpr19
                                        ; implicit-def: $vgpr59
                                        ; implicit-def: $vgpr20_vgpr21
                                        ; implicit-def: $vgpr36
                                        ; implicit-def: $vgpr67
                                        ; implicit-def: $vgpr62
                                        ; implicit-def: $vgpr64
                                        ; implicit-def: $vgpr65
                                        ; implicit-def: $vgpr66
                                        ; implicit-def: $vgpr68
                                        ; implicit-def: $vgpr55
                                        ; implicit-def: $vgpr57
                                        ; implicit-def: $vgpr69
                                        ; implicit-def: $vgpr58
                                        ; implicit-def: $vgpr8_vgpr9
                                        ; implicit-def: $vgpr10_vgpr11
                                        ; implicit-def: $vgpr41
                                        ; implicit-def: $vgpr38
                                        ; implicit-def: $vgpr42
                                        ; implicit-def: $vgpr39
                                        ; implicit-def: $vgpr43
                                        ; implicit-def: $vgpr40
                                        ; implicit-def: $sgpr22_sgpr23
                                        ; implicit-def: $sgpr20_sgpr21
.LBB0_184:
	s_andn2_b64 vcc, exec, s[0:1]
	v_mov_b32_e32 v44, s2
	v_mov_b32_e32 v23, s2
	;; [unrolled: 1-line block ×3, first 2 shown]
	v_lshlrev_b32_e32 v71, 1, v28
	v_lshlrev_b32_e32 v37, 1, v33
	v_mov_b32_e32 v46, s2
	v_mov_b32_e32 v48, s2
	v_mov_b32_e32 v49, s2
	v_mov_b32_e32 v50, s2
	v_mov_b32_e32 v60, s2
	v_mov_b32_e32 v61, s2
	v_mov_b32_e32 v63, s2
	s_cbranch_vccnz .LBB0_187
; %bb.185:
	v_mov_b32_e32 v8, s35
	v_add_co_u32_e32 v72, vcc, s33, v71
	v_addc_co_u32_e32 v73, vcc, 0, v8, vcc
	v_add_u32_e32 v8, s4, v24
	v_mul_hi_u32 v9, s40, v8
	v_add_u32_e32 v9, v8, v9
	v_lshrrev_b32_e32 v9, s41, v9
	v_mul_lo_u32 v9, v9, s28
	v_sub_u32_e32 v8, v8, v9
	v_mad_i64_i32 v[14:15], s[0:1], v8, s42, 0
	v_add_u32_e32 v8, s4, v25
	v_mul_hi_u32 v9, s40, v8
	v_add_u32_e32 v9, v8, v9
	v_lshrrev_b32_e32 v9, s41, v9
	v_mul_lo_u32 v9, v9, s28
	s_movk_i32 s2, 0x90
	v_sub_u32_e32 v8, v8, v9
	v_mov_b32_e32 v9, 0x480
	v_mad_u32_u24 v54, v24, s2, v9
	v_lshlrev_b32_e32 v9, 2, v32
	v_mad_i64_i32 v[16:17], s[0:1], v8, s42, 0
	v_add_u32_e32 v8, v27, v45
	v_and_b32_e32 v12, 28, v9
	v_mul_u32_u24_e32 v56, 0x90, v8
	v_lshlrev_b32_e32 v9, 2, v12
	v_lshlrev_b32_e32 v36, 4, v35
	v_lshrrev_b32_e32 v25, 2, v32
	v_add3_u32 v74, 0, v56, v9
	v_and_b32_e32 v9, 16, v36
	v_and_b32_e32 v27, 0xfc, v25
	v_and_or_b32 v11, v32, 14, v26
	v_mul_u32_u24_e32 v67, 0x90, v9
	v_add_u32_e32 v10, v27, v9
	v_lshrrev_b32_e32 v11, 1, v11
	v_add_u16_e32 v9, v27, v9
	v_mul_u32_u24_e32 v62, 0x90, v11
	v_mad_u32_u24 v11, v11, s2, 0
	v_lshrrev_b16_e32 v64, 1, v9
	v_add_u32_e32 v9, 32, v10
	v_lshrrev_b32_e32 v66, 1, v9
	v_lshl_add_u32 v76, v9, 1, v11
	v_add_u32_e32 v9, 34, v10
	v_lshrrev_b32_e32 v68, 1, v9
	v_lshl_add_u32 v77, v9, 1, v11
	v_mbcnt_lo_u32_b32 v9, -1, 0
	v_and_b32_e32 v28, 8, v45
	v_mul_u32_u24_e32 v29, 0x48, v27
	v_mov_b32_e32 v22, 0x1200
	v_mbcnt_hi_u32_b32 v55, -1, v9
	v_or_b32_e32 v41, v29, v33
	v_or_b32_e32 v25, 3, v25
	s_movk_i32 s1, 0x120
	v_mul_u32_u24_e32 v43, 0x120, v28
	v_mad_u32_u24 v59, v8, s2, v22
	v_and_b32_e32 v9, 64, v55
	v_mul_u32_u24_e32 v38, 0x90, v27
	v_mul_u32_u24_e32 v39, 0x90, v25
	v_mad_u32_u24 v25, v28, s1, 0
	v_lshlrev_b32_e32 v29, 1, v41
	v_mad_u32_u24 v40, v28, s1, v22
	v_add3_u32 v22, 0, 32, v43
	s_movk_i32 s0, 0x1200
	v_add_u32_e32 v57, 64, v9
	v_xor_b32_e32 v69, 32, v55
	v_add_u32_e32 v80, v25, v29
	v_add3_u32 v81, v25, v38, v37
	v_add3_u32 v82, v25, v39, v37
	v_add_u32_e32 v85, v22, v29
	v_mad_u32_u24 v25, v27, s2, v22
	v_add3_u32 v88, v22, v39, v37
	v_add3_u32 v22, 0, 64, v43
	s_add_i32 s3, 0, 0x60
	v_cmp_lt_i32_e32 vcc, v69, v57
	v_xor_b32_e32 v58, 16, v55
	v_add3_u32 v86, v25, v37, s0
	v_add_u32_e32 v90, v22, v29
	v_mad_u32_u24 v25, v27, s2, v22
	v_add3_u32 v93, v22, v39, v37
	v_mov_b32_e32 v22, s3
	v_mul_lo_u32 v18, s34, v8
	v_cndmask_b32_e32 v9, v55, v69, vcc
	v_cmp_lt_i32_e32 vcc, v58, v57
	v_mul_lo_u32 v8, s30, v8
	v_mad_u32_u24 v22, v28, s1, v22
	v_add_u32_e32 v23, 0, v71
	v_mov_b32_e32 v13, 0
	v_mul_u32_u24_e32 v53, 0x90, v24
	v_lshl_add_u32 v20, s34, 5, v18
	v_add3_u32 v24, 0, v52, v51
	v_lshl_add_u32 v26, v64, 2, v11
	v_lshlrev_b32_e32 v78, 2, v9
	v_cndmask_b32_e32 v9, v55, v58, vcc
	v_lshl_add_u32 v10, s30, 5, v8
	v_add3_u32 v91, v25, v37, s0
	v_add_u32_e32 v95, v22, v29
	v_mad_u32_u24 v25, v27, s2, v22
	s_ashr_i32 s23, s34, 31
	v_ashrrev_i32_e32 v19, 31, v18
	v_add_u32_e32 v75, 0x1200, v74
	v_ashrrev_i32_e32 v21, 31, v20
	v_or_b32_e32 v65, 1, v64
	v_lshlrev_b32_e32 v79, 2, v9
	s_ashr_i32 s21, s30, 31
	v_ashrrev_i32_e32 v9, 31, v8
	v_ashrrev_i32_e32 v11, 31, v10
	v_add_u32_e32 v42, 0x90, v41
	v_add_u32_e32 v83, 0x1200, v81
	;; [unrolled: 1-line block ×7, first 2 shown]
	v_add3_u32 v96, v25, v37, s0
	v_add_u32_e32 v97, 0x1200, v95
	v_add3_u32 v98, v22, v39, v37
	s_lshl_b32 s24, s74, 6
	v_mov_b32_e32 v22, 0xfeffffff
	v_add_u32_e32 v99, v23, v53
	v_lshlrev_b32_e32 v100, 2, v12
	v_add_u32_e32 v101, v24, v67
	v_add_u32_e32 v102, 0x2400, v26
	s_mov_b32 s20, 0x3fb8aa3b
	s_mov_b32 s22, 0xc2ce8ed0
	;; [unrolled: 1-line block ×5, first 2 shown]
	v_mov_b32_e32 v103, 0x7f800000
	v_mov_b32_e32 v23, v13
	;; [unrolled: 1-line block ×10, first 2 shown]
.LBB0_186:                              ; =>This Inner Loop Header: Depth=1
	s_ashr_i32 s25, s24, 31
	s_mul_hi_i32 s1, s24, s34
	s_mul_i32 s0, s24, s34
	s_lshl_b64 s[4:5], s[24:25], 1
	s_lshl_b64 s[0:1], s[0:1], 2
	v_mov_b32_e32 v106, s5
	v_add_co_u32_e32 v107, vcc, s4, v72
	v_mov_b32_e32 v105, v22
	v_mov_b32_e32 v104, v23
	v_lshlrev_b64 v[22:23], 1, v[14:15]
	v_lshlrev_b64 v[24:25], 1, v[16:17]
	s_add_u32 s5, s29, s0
	v_addc_co_u32_e32 v106, vcc, v73, v106, vcc
	v_add_co_u32_e32 v24, vcc, v107, v24
	s_addc_u32 s4, s31, s1
	v_add_co_u32_e64 v22, s[0:1], v107, v22
	v_lshlrev_b64 v[26:27], 2, v[18:19]
	v_lshlrev_b64 v[28:29], 2, v[20:21]
	v_addc_co_u32_e64 v23, s[0:1], v106, v23, s[0:1]
	v_addc_co_u32_e32 v25, vcc, v106, v25, vcc
	v_mov_b32_e32 v106, s4
	v_add_co_u32_e32 v26, vcc, s5, v26
	v_mov_b32_e32 v107, s4
	v_add_co_u32_e64 v28, s[0:1], s5, v28
	global_load_dword v110, v[22:23], off
	global_load_dword v111, v[24:25], off
	v_addc_co_u32_e32 v22, vcc, v106, v27, vcc
	v_addc_co_u32_e64 v23, vcc, v107, v29, s[0:1]
	v_add_co_u32_e64 v108, s[0:1], v26, v100
	v_add_co_u32_e32 v106, vcc, v28, v100
	v_addc_co_u32_e64 v109, s[0:1], 0, v22, s[0:1]
	v_addc_co_u32_e32 v107, vcc, 0, v23, vcc
	global_load_dwordx4 v[22:25], v[108:109], off
	global_load_dwordx4 v[26:29], v[106:107], off
	v_add_u32_e32 v118, 0x1000, v101
	s_mul_hi_i32 s3, s24, s30
	s_mul_i32 s2, s24, s30
	s_lshl_b64 s[2:3], s[2:3], 2
	s_add_u32 s2, s6, s2
	v_lshlrev_b64 v[116:117], 2, v[10:11]
	s_addc_u32 s3, s7, s3
	v_lshlrev_b64 v[114:115], 2, v[8:9]
	s_add_i32 s74, s74, 1
	v_mov_b32_e32 v120, s3
	v_add_co_u32_e32 v116, vcc, s2, v116
	v_mov_b32_e32 v119, s3
	v_cmp_lt_i32_e64 s[0:1], s74, v70
	s_add_i32 s24, s24, 64
	s_waitcnt vmcnt(3)
	ds_write_b32 v99, v110 offset:9216
	s_waitcnt vmcnt(2)
	ds_write_b32 v99, v111 offset:10368
	s_waitcnt vmcnt(1)
	ds_write_b128 v74, v[22:25]
	s_waitcnt vmcnt(0)
	ds_write_b128 v75, v[26:29]
	s_waitcnt lgkmcnt(0)
	s_barrier
	ds_read2_b64 v[22:25], v101 offset1:4
	ds_read2_b64 v[106:109], v118 offset0:64 offset1:68
	s_waitcnt lgkmcnt(1)
	v_mfma_f32_16x16x16f16 v[26:29], v[22:23], v[4:5], 0
	s_waitcnt lgkmcnt(0)
	v_mfma_f32_16x16x16f16 v[110:113], v[106:107], v[4:5], 0
	v_add_co_u32_e64 v106, s[2:3], s2, v114
	v_addc_co_u32_e32 v114, vcc, v120, v117, vcc
	v_addc_co_u32_e64 v107, s[2:3], v119, v115, s[2:3]
	s_and_b64 vcc, exec, s[0:1]
	v_add_co_u32_e64 v124, s[0:1], v106, v100
	v_mfma_f32_16x16x16f16 v[22:25], v[24:25], v[6:7], v[26:29]
	v_addc_co_u32_e64 v125, s[0:1], 0, v107, s[0:1]
	v_add_co_u32_e64 v122, s[2:3], v116, v100
	v_addc_co_u32_e64 v123, s[0:1], 0, v114, s[2:3]
	v_mfma_f32_16x16x16f16 v[26:29], v[108:109], v[6:7], v[110:113]
	ds_read2_b64 v[106:109], v101 offset0:8 offset1:12
	s_waitcnt lgkmcnt(0)
	v_mfma_f32_16x16x16f16 v[22:25], v[106:107], v[0:1], v[22:25]
	s_nop 3
	ds_read2_b64 v[110:113], v118 offset0:72 offset1:76
	s_waitcnt lgkmcnt(0)
	s_barrier
	ds_read2_b32 v[106:107], v102 offset1:1
	ds_read_b32 v126, v76 offset:9216
	ds_read_b32 v127, v77 offset:9216
	global_load_dwordx4 v[114:117], v[124:125], off
	global_load_dwordx4 v[118:121], v[122:123], off
	s_waitcnt vmcnt(1)
	ds_write_b128 v74, v[114:117]
	s_waitcnt vmcnt(0)
	ds_write_b128 v75, v[118:121]
	v_mfma_f32_16x16x16f16 v[26:29], v[110:111], v[0:1], v[26:29]
	s_waitcnt lgkmcnt(4)
	v_cvt_f32_f16_e32 v110, v106
	v_cvt_f32_f16_sdwa v111, v106 dst_sel:DWORD dst_unused:UNUSED_PAD src0_sel:WORD_1
	v_cvt_f32_f16_e32 v106, v107
	v_cvt_f32_f16_sdwa v107, v107 dst_sel:DWORD dst_unused:UNUSED_PAD src0_sel:WORD_1
	s_waitcnt lgkmcnt(3)
	v_cvt_f32_f16_sdwa v123, v126 dst_sel:DWORD dst_unused:UNUSED_PAD src0_sel:WORD_1
	v_cvt_f32_f16_e32 v122, v126
	s_waitcnt lgkmcnt(0)
	v_mfma_f32_16x16x16f16 v[22:25], v[108:109], v[2:3], v[22:25]
	v_cvt_f32_f16_sdwa v109, v127 dst_sel:DWORD dst_unused:UNUSED_PAD src0_sel:WORD_1
	v_cvt_f32_f16_e32 v108, v127
	s_barrier
	v_mfma_f32_16x16x16f16 v[26:29], v[112:113], v[2:3], v[26:29]
	s_nop 6
	v_pk_add_f32 v[110:111], v[22:23], v[110:111]
	v_pk_add_f32 v[24:25], v[24:25], v[106:107]
	v_add_f32_e32 v22, 0x40051340, v110
	v_add_f32_e32 v23, 0x40051340, v111
	;; [unrolled: 1-line block ×4, first 2 shown]
	v_max3_f32 v22, v105, v22, v23
	v_pk_add_f32 v[26:27], v[26:27], v[122:123]
	v_pk_add_f32 v[28:29], v[28:29], v[108:109]
	v_add_f32_e32 v108, 0x40051340, v26
	v_add_f32_e32 v109, 0x40051340, v27
	v_max3_f32 v22, v22, v112, v113
	v_add_f32_e32 v106, 0x40051340, v28
	v_add_f32_e32 v107, 0x40051340, v29
	v_max3_f32 v22, v22, v108, v109
	v_max3_f32 v22, v22, v106, v107
	ds_bpermute_b32 v23, v78, v22
	s_waitcnt lgkmcnt(0)
	v_max_f32_e32 v23, v23, v23
	v_max_f32_e32 v22, v22, v23
	ds_bpermute_b32 v23, v79, v22
	s_waitcnt lgkmcnt(0)
	v_max_f32_e32 v23, v23, v23
	v_max_f32_e32 v22, v22, v23
	v_pk_add_f32 v[106:107], v[110:111], v[22:23] op_sel_hi:[1,0] neg_lo:[0,1] neg_hi:[0,1]
	v_pk_add_f32 v[24:25], v[24:25], v[22:23] op_sel_hi:[1,0] neg_lo:[0,1] neg_hi:[0,1]
	;; [unrolled: 1-line block ×4, first 2 shown]
	v_sub_f32_e32 v23, v105, v22
	v_mul_f32_e32 v105, 0x3fb8aa3b, v107
	v_mul_f32_e32 v108, 0x3fb8aa3b, v106
	;; [unrolled: 1-line block ×9, first 2 shown]
	v_fma_f32 v124, v107, s20, -v105
	v_rndne_f32_e32 v125, v105
	v_fma_f32 v126, v106, s20, -v108
	v_rndne_f32_e32 v127, v108
	;; [unrolled: 2-line block ×9, first 2 shown]
	v_fmac_f32_e32 v124, 0x32a5705f, v107
	v_sub_f32_e32 v105, v105, v125
	v_fmac_f32_e32 v126, 0x32a5705f, v106
	v_sub_f32_e32 v108, v108, v127
	v_fmac_f32_e32 v128, 0x32a5705f, v25
	v_sub_f32_e32 v109, v109, v129
	v_fmac_f32_e32 v130, 0x32a5705f, v24
	v_sub_f32_e32 v110, v110, v131
	v_fmac_f32_e32 v132, 0x32a5705f, v27
	v_sub_f32_e32 v111, v111, v133
	v_fmac_f32_e32 v134, 0x32a5705f, v26
	v_sub_f32_e32 v112, v112, v135
	v_fmac_f32_e32 v136, 0x32a5705f, v29
	v_sub_f32_e32 v113, v113, v137
	v_fmac_f32_e32 v138, 0x32a5705f, v28
	v_sub_f32_e32 v122, v122, v139
	v_fmac_f32_e32 v140, 0x32a5705f, v23
	v_sub_f32_e32 v123, v123, v141
	v_add_f32_e32 v105, v105, v124
	v_add_f32_e32 v108, v108, v126
	v_cvt_i32_f32_e32 v125, v125
	v_cvt_i32_f32_e32 v127, v127
	v_add_f32_e32 v109, v109, v128
	v_add_f32_e32 v110, v110, v130
	;; [unrolled: 1-line block ×7, first 2 shown]
	v_exp_f32_e32 v105, v105
	v_exp_f32_e32 v108, v108
	v_cvt_i32_f32_e32 v129, v129
	v_cvt_i32_f32_e32 v131, v131
	;; [unrolled: 1-line block ×7, first 2 shown]
	v_exp_f32_e32 v109, v109
	v_exp_f32_e32 v110, v110
	;; [unrolled: 1-line block ×7, first 2 shown]
	v_ldexp_f32 v105, v105, v125
	v_ldexp_f32 v108, v108, v127
	v_cmp_ngt_f32_e64 s[0:1], s22, v106
	v_cmp_ngt_f32_e64 s[18:19], s22, v107
	v_ldexp_f32 v109, v109, v129
	v_cmp_ngt_f32_e64 s[2:3], s22, v25
	v_ldexp_f32 v110, v110, v131
	;; [unrolled: 2-line block ×7, first 2 shown]
	v_cmp_ngt_f32_e64 s[16:17], s22, v23
	v_cndmask_b32_e64 v105, 0, v105, s[18:19]
	v_cndmask_b32_e64 v108, 0, v108, s[0:1]
	v_cmp_nlt_f32_e64 s[0:1], s28, v106
	v_cmp_nlt_f32_e64 s[18:19], s28, v107
	v_cndmask_b32_e64 v106, 0, v109, s[2:3]
	v_cmp_nlt_f32_e64 s[2:3], s28, v25
	v_cndmask_b32_e64 v25, 0, v110, s[4:5]
	;; [unrolled: 2-line block ×8, first 2 shown]
	v_cndmask_b32_e64 v107, v103, v108, s[0:1]
	v_cndmask_b32_e64 v25, v103, v25, s[4:5]
	v_cndmask_b32_e64 v28, v103, v28, s[16:17]
	v_cmp_le_f32_e64 s[0:1], s36, v23
	v_add_f32_e32 v23, v107, v105
	v_cndmask_b32_e64 v106, v103, v106, s[2:3]
	v_cndmask_b32_e64 v128, 0, v28, s[0:1]
	v_add_f32_e32 v23, v25, v23
	v_cndmask_b32_e64 v24, v103, v24, s[8:9]
	v_cndmask_b32_e64 v27, v103, v27, s[10:11]
	;; [unrolled: 1-line block ×4, first 2 shown]
	v_cvt_f16_f32_e32 v28, v107
	v_cvt_f16_f32_e32 v107, v25
	;; [unrolled: 1-line block ×3, first 2 shown]
	v_add_f32_e32 v23, v106, v23
	v_cvt_f16_f32_e32 v29, v105
	v_cvt_f16_f32_e32 v105, v106
	;; [unrolled: 1-line block ×6, first 2 shown]
	v_add_f32_e32 v23, v27, v23
	v_add_f32_e32 v23, v24, v23
	;; [unrolled: 1-line block ×3, first 2 shown]
	v_pk_mul_f16 v27, v25, v63 op_sel_hi:[0,1]
	v_pk_mul_f16 v61, v25, v61 op_sel_hi:[0,1]
	;; [unrolled: 1-line block ×7, first 2 shown]
	v_add_f32_e32 v23, v26, v23
	v_pack_b32_f16 v28, v28, v29
	v_pack_b32_f16 v29, v107, v105
	;; [unrolled: 1-line block ×4, first 2 shown]
	v_pk_mul_f16 v49, v25, v49 op_sel_hi:[0,1]
	v_cvt_f32_f16_e32 v24, v27
	v_cvt_f32_f16_sdwa v25, v27 dst_sel:DWORD dst_unused:UNUSED_PAD src0_sel:WORD_1
	v_cvt_f32_f16_e32 v26, v61
	v_cvt_f32_f16_sdwa v27, v61 dst_sel:DWORD dst_unused:UNUSED_PAD src0_sel:WORD_1
	;; [unrolled: 2-line block ×7, first 2 shown]
	v_fmac_f32_e32 v23, v104, v128
	ds_read_u16 v44, v81 offset:288
	ds_read_u16 v46, v82
	ds_read_u16 v50, v83 offset:288
	ds_read_u16 v60, v84 offset:144
	;; [unrolled: 1-line block ×3, first 2 shown]
	ds_read_u16 v48, v80
	ds_read_u16 v63, v80 offset:32
	ds_read_u16 v114, v80 offset:64
	;; [unrolled: 1-line block ×26, first 2 shown]
	v_cvt_f32_f16_e32 v110, v49
	v_cvt_f32_f16_sdwa v111, v49 dst_sel:DWORD dst_unused:UNUSED_PAD src0_sel:WORD_1
	s_waitcnt lgkmcnt(14)
	v_perm_b32 v49, v46, v44, s37
	s_waitcnt lgkmcnt(13)
	v_perm_b32 v48, v105, v48, s37
	v_perm_b32 v117, v119, v117, s37
	;; [unrolled: 1-line block ×3, first 2 shown]
	v_mfma_f32_16x16x16f16 v[24:27], v[48:49], v[28:29], v[24:27]
	v_perm_b32 v49, v104, v61, s37
	v_perm_b32 v48, v60, v63, s37
	s_waitcnt lgkmcnt(9)
	v_perm_b32 v61, v133, v50, s37
	v_perm_b32 v60, v132, v130, s37
	s_waitcnt lgkmcnt(6)
	v_perm_b32 v119, v136, v135, s37
	v_perm_b32 v118, v129, v128, s37
	s_waitcnt lgkmcnt(0)
	v_mfma_f32_16x16x16f16 v[104:107], v[48:49], v[28:29], v[106:109]
	v_perm_b32 v49, v115, v121, s37
	v_perm_b32 v48, v120, v114, s37
	v_cvt_f16_f32_e32 v24, v24
	v_cvt_f16_f32_e32 v25, v25
	;; [unrolled: 1-line block ×4, first 2 shown]
	v_perm_b32 v121, v142, v141, s37
	v_mfma_f32_16x16x16f16 v[108:111], v[48:49], v[28:29], v[110:113]
	v_perm_b32 v49, v134, v138, s37
	v_perm_b32 v48, v137, v131, s37
	s_nop 0
	v_cvt_f16_f32_e32 v44, v106
	v_cvt_f16_f32_e32 v46, v107
	v_perm_b32 v120, v140, v139, s37
	v_cvt_f32_f16_e32 v24, v24
	v_cvt_f32_f16_e32 v25, v25
	v_mfma_f32_16x16x16f16 v[112:115], v[48:49], v[28:29], v[122:125]
	v_cvt_f16_f32_e32 v28, v104
	v_cvt_f16_f32_e32 v29, v105
	;; [unrolled: 1-line block ×6, first 2 shown]
	v_cvt_f32_f16_e32 v26, v26
	s_nop 3
	v_cvt_f16_f32_e32 v112, v112
	v_cvt_f16_f32_e32 v113, v113
	;; [unrolled: 1-line block ×4, first 2 shown]
	v_cvt_f32_f16_e32 v27, v27
	v_cvt_f32_f16_e32 v104, v28
	;; [unrolled: 1-line block ×13, first 2 shown]
	v_mfma_f32_16x16x16f16 v[24:27], v[60:61], v[126:127], v[24:27]
	s_barrier
	v_mfma_f32_16x16x16f16 v[104:107], v[116:117], v[126:127], v[104:107]
	s_nop 7
	s_nop 0
	v_cvt_f16_f32_e32 v24, v24
	v_cvt_f16_f32_e32 v25, v25
	;; [unrolled: 1-line block ×4, first 2 shown]
	v_pack_b32_f16 v63, v24, v25
	v_cvt_f16_f32_e32 v28, v104
	v_mfma_f32_16x16x16f16 v[108:111], v[118:119], v[126:127], v[108:111]
	v_cvt_f16_f32_e32 v29, v105
	v_cvt_f16_f32_e32 v44, v106
	;; [unrolled: 1-line block ×3, first 2 shown]
	v_pack_b32_f16 v61, v26, v27
	v_pack_b32_f16 v60, v28, v29
	;; [unrolled: 1-line block ×3, first 2 shown]
	v_mfma_f32_16x16x16f16 v[112:115], v[120:121], v[126:127], v[112:115]
	s_nop 3
	v_cvt_f16_f32_e32 v48, v108
	v_cvt_f16_f32_e32 v49, v109
	;; [unrolled: 1-line block ×4, first 2 shown]
	v_pack_b32_f16 v49, v48, v49
	s_nop 1
	v_cvt_f16_f32_e32 v106, v112
	v_cvt_f16_f32_e32 v107, v113
	;; [unrolled: 1-line block ×4, first 2 shown]
	v_pack_b32_f16 v48, v104, v105
	v_pack_b32_f16 v46, v106, v107
	;; [unrolled: 1-line block ×3, first 2 shown]
	s_cbranch_vccnz .LBB0_186
.LBB0_187:
	s_lshl_b32 s0, s74, 6
	s_ashr_i32 s1, s0, 31
	s_lshl_b64 s[2:3], s[0:1], 1
	s_add_u32 s2, s33, s2
	s_addc_u32 s3, s35, s3
	v_mov_b32_e32 v24, s3
	v_add_co_u32_e32 v25, vcc, s2, v71
	s_mul_i32 s2, s34, s1
	s_mul_hi_u32 s3, s34, s0
	v_addc_co_u32_e32 v24, vcc, 0, v24, vcc
	v_lshlrev_b64 v[14:15], 1, v[14:15]
	s_add_i32 s2, s3, s2
	s_mul_i32 s3, s23, s0
	v_add_co_u32_e32 v14, vcc, v25, v14
	s_add_i32 s3, s2, s3
	s_mul_i32 s2, s34, s0
	v_addc_co_u32_e32 v15, vcc, v24, v15, vcc
	v_lshlrev_b64 v[16:17], 1, v[16:17]
	s_lshl_b64 s[2:3], s[2:3], 2
	v_add_co_u32_e32 v16, vcc, v25, v16
	s_add_u32 s2, s29, s2
	v_addc_co_u32_e32 v17, vcc, v24, v17, vcc
	global_load_dword v70, v[14:15], off
	global_load_dword v72, v[16:17], off
	s_addc_u32 s3, s31, s3
	v_lshlrev_b64 v[14:15], 2, v[18:19]
	v_mov_b32_e32 v16, s3
	v_add_co_u32_e32 v17, vcc, s2, v14
	v_addc_co_u32_e32 v16, vcc, v16, v15, vcc
	v_lshlrev_b64 v[14:15], 2, v[12:13]
	v_add_co_u32_e32 v28, vcc, v17, v14
	v_addc_co_u32_e32 v29, vcc, v16, v15, vcc
	v_lshlrev_b64 v[16:17], 2, v[20:21]
	v_mov_b32_e32 v13, s3
	v_add_co_u32_e32 v16, vcc, s2, v16
	v_addc_co_u32_e32 v13, vcc, v13, v17, vcc
	v_add_co_u32_e32 v20, vcc, v16, v14
	v_addc_co_u32_e32 v21, vcc, v13, v15, vcc
	global_load_dwordx4 v[16:19], v[28:29], off
	global_load_dwordx4 v[24:27], v[20:21], off
	v_add_u32_e32 v13, 0, v71
	v_lshlrev_b32_e32 v12, 2, v12
	v_add_u32_e32 v20, 0, v52
	v_add_u32_e32 v21, v13, v53
	;; [unrolled: 1-line block ×3, first 2 shown]
	v_add3_u32 v28, 0, v56, v12
	v_add3_u32 v29, 0, v59, v12
	;; [unrolled: 1-line block ×3, first 2 shown]
	v_cmp_lt_i32_e32 vcc, v69, v57
	s_mov_b32 s4, 0x3fb8aa3b
	s_mov_b32 s2, 0xc2ce8ed0
	;; [unrolled: 1-line block ×3, first 2 shown]
	s_mul_i32 s1, s30, s1
	s_mul_hi_u32 s5, s30, s0
	s_add_i32 s1, s5, s1
	s_mul_i32 s5, s21, s0
	s_add_i32 s1, s1, s5
	s_mul_i32 s0, s30, s0
	s_lshl_b64 s[0:1], s[0:1], 2
	s_add_u32 s0, s6, s0
	s_addc_u32 s1, s7, s1
	s_waitcnt vmcnt(3)
	ds_write_b32 v21, v70 offset:9216
	s_waitcnt vmcnt(2)
	ds_write_b32 v13, v72 offset:9216
	s_waitcnt vmcnt(1)
	ds_write_b128 v28, v[16:19]
	s_waitcnt vmcnt(0)
	ds_write_b128 v29, v[24:27]
	s_waitcnt lgkmcnt(0)
	s_barrier
	ds_read2_b64 v[16:19], v12 offset1:4
	v_add_u32_e32 v13, 0x1000, v12
	ds_read2_b64 v[70:73], v13 offset0:64 offset1:68
	s_waitcnt lgkmcnt(1)
	v_mfma_f32_16x16x16f16 v[24:27], v[16:17], v[4:5], 0
	s_waitcnt lgkmcnt(0)
	v_mfma_f32_16x16x16f16 v[74:77], v[70:71], v[4:5], 0
	v_mfma_f32_16x16x16f16 v[16:19], v[18:19], v[6:7], v[24:27]
	s_nop 7
	ds_read2_b64 v[24:27], v12 offset0:8 offset1:12
	v_mfma_f32_16x16x16f16 v[4:7], v[72:73], v[6:7], v[74:77]
	ds_read2_b64 v[70:73], v13 offset0:72 offset1:76
	v_add_u32_e32 v12, 0, v62
	v_lshl_add_u32 v20, v64, 2, v12
	v_lshl_add_u32 v13, v65, 2, v12
	s_waitcnt lgkmcnt(0)
	s_barrier
	v_mfma_f32_16x16x16f16 v[74:77], v[24:25], v[0:1], v[16:19]
	v_mfma_f32_16x16x16f16 v[4:7], v[70:71], v[0:1], v[4:7]
	s_nop 5
	v_lshl_add_u32 v16, v66, 2, v12
	v_lshl_add_u32 v12, v68, 2, v12
	ds_read_b32 v12, v12 offset:9216
	ds_read_b32 v19, v20 offset:9216
	;; [unrolled: 1-line block ×4, first 2 shown]
	v_cndmask_b32_e32 v0, v55, v69, vcc
	v_lshlrev_b32_e32 v18, 2, v0
	s_waitcnt lgkmcnt(2)
	v_cvt_f32_f16_e32 v20, v19
	v_mfma_f32_16x16x16f16 v[24:27], v[26:27], v[2:3], v[74:77]
	v_cvt_f32_f16_sdwa v21, v19 dst_sel:DWORD dst_unused:UNUSED_PAD src0_sel:WORD_1
	v_cvt_f32_f16_e32 v0, v12
	v_cvt_f32_f16_sdwa v1, v12 dst_sel:DWORD dst_unused:UNUSED_PAD src0_sel:WORD_1
	s_waitcnt lgkmcnt(1)
	v_cvt_f32_f16_e32 v16, v17
	v_cvt_f32_f16_sdwa v17, v17 dst_sel:DWORD dst_unused:UNUSED_PAD src0_sel:WORD_1
	s_waitcnt lgkmcnt(0)
	v_cvt_f32_f16_e32 v12, v13
	v_cvt_f32_f16_sdwa v13, v13 dst_sel:DWORD dst_unused:UNUSED_PAD src0_sel:WORD_1
	v_mfma_f32_16x16x16f16 v[2:5], v[72:73], v[2:3], v[4:7]
	v_cmp_lt_i32_e32 vcc, v58, v57
	s_nop 5
	v_pk_add_f32 v[6:7], v[24:25], v[20:21]
	s_nop 2
	v_pk_add_f32 v[0:1], v[4:5], v[0:1]
	v_pk_add_f32 v[4:5], v[26:27], v[16:17]
	v_add_f32_e32 v21, 0x40051340, v6
	v_add_f32_e32 v24, 0x40051340, v7
	v_pk_add_f32 v[2:3], v[2:3], v[12:13]
	v_add_f32_e32 v19, 0x40051340, v4
	v_add_f32_e32 v20, 0x40051340, v5
	v_max3_f32 v21, v22, v21, v24
	v_add_f32_e32 v16, 0x40051340, v2
	v_add_f32_e32 v17, 0x40051340, v3
	v_max3_f32 v19, v21, v19, v20
	;; [unrolled: 3-line block ×3, first 2 shown]
	v_max3_f32 v12, v16, v12, v13
	ds_bpermute_b32 v13, v18, v12
	v_cndmask_b32_e32 v16, v55, v58, vcc
	v_lshlrev_b32_e32 v17, 2, v16
	v_mov_b32_e32 v19, 0x7f800000
	s_waitcnt lgkmcnt(0)
	v_max_f32_e32 v13, v13, v13
	v_max_f32_e32 v12, v12, v13
	ds_bpermute_b32 v13, v17, v12
	s_waitcnt lgkmcnt(0)
	v_max_f32_e32 v13, v13, v13
	v_max_f32_e32 v16, v12, v13
	v_pk_add_f32 v[6:7], v[6:7], v[16:17] op_sel_hi:[1,0] neg_lo:[0,1] neg_hi:[0,1]
	v_pk_add_f32 v[12:13], v[4:5], v[16:17] op_sel_hi:[1,0] neg_lo:[0,1] neg_hi:[0,1]
	v_mul_f32_e32 v4, 0x3fb8aa3b, v7
	v_fma_f32 v21, v7, s4, -v4
	v_rndne_f32_e32 v24, v4
	v_mul_f32_e32 v5, 0x3fb8aa3b, v6
	v_fmac_f32_e32 v21, 0x32a5705f, v7
	v_sub_f32_e32 v4, v4, v24
	v_fma_f32 v25, v6, s4, -v5
	v_rndne_f32_e32 v26, v5
	v_add_f32_e32 v4, v4, v21
	v_cvt_i32_f32_e32 v24, v24
	v_fmac_f32_e32 v25, 0x32a5705f, v6
	v_sub_f32_e32 v5, v5, v26
	v_exp_f32_e32 v4, v4
	v_add_f32_e32 v5, v5, v25
	v_mul_f32_e32 v20, 0x3fb8aa3b, v13
	v_cvt_i32_f32_e32 v26, v26
	v_exp_f32_e32 v5, v5
	v_fma_f32 v27, v13, s4, -v20
	v_rndne_f32_e32 v51, v20
	v_fmac_f32_e32 v27, 0x32a5705f, v13
	v_sub_f32_e32 v20, v20, v51
	v_ldexp_f32 v4, v4, v24
	v_cmp_ngt_f32_e32 vcc, s2, v7
	v_add_f32_e32 v20, v20, v27
	v_cndmask_b32_e32 v4, 0, v4, vcc
	v_cmp_nlt_f32_e32 vcc, s3, v7
	v_exp_f32_e32 v20, v20
	v_ldexp_f32 v5, v5, v26
	v_cndmask_b32_e32 v26, v19, v4, vcc
	v_cvt_i32_f32_e32 v4, v51
	v_cmp_ngt_f32_e32 vcc, s2, v6
	v_cndmask_b32_e32 v5, 0, v5, vcc
	v_cmp_nlt_f32_e32 vcc, s3, v6
	v_ldexp_f32 v4, v20, v4
	v_pk_add_f32 v[20:21], v[2:3], v[16:17] op_sel_hi:[1,0] neg_lo:[0,1] neg_hi:[0,1]
	v_mul_f32_e32 v2, 0x3fb8aa3b, v21
	v_fma_f32 v3, v21, s4, -v2
	v_rndne_f32_e32 v52, v2
	v_fmac_f32_e32 v3, 0x32a5705f, v21
	v_sub_f32_e32 v2, v2, v52
	v_cndmask_b32_e32 v27, v19, v5, vcc
	v_cmp_ngt_f32_e32 vcc, s2, v13
	v_add_f32_e32 v2, v2, v3
	v_mul_f32_e32 v5, 0x3fb8aa3b, v12
	v_cndmask_b32_e32 v4, 0, v4, vcc
	v_cmp_nlt_f32_e32 vcc, s3, v13
	v_exp_f32_e32 v53, v2
	v_lshlrev_b64 v[2:3], 2, v[8:9]
	v_fma_f32 v6, v12, s4, -v5
	v_rndne_f32_e32 v7, v5
	v_cndmask_b32_e32 v51, v19, v4, vcc
	v_mov_b32_e32 v4, s1
	v_add_co_u32_e32 v2, vcc, s0, v2
	v_fmac_f32_e32 v6, 0x32a5705f, v12
	v_sub_f32_e32 v5, v5, v7
	v_addc_co_u32_e32 v3, vcc, v4, v3, vcc
	v_add_f32_e32 v5, v5, v6
	v_add_co_u32_e32 v24, vcc, v2, v14
	v_exp_f32_e32 v5, v5
	v_cvt_i32_f32_e32 v6, v7
	v_addc_co_u32_e32 v25, vcc, v3, v15, vcc
	v_lshlrev_b64 v[2:3], 2, v[10:11]
	v_add_co_u32_e32 v2, vcc, s0, v2
	v_addc_co_u32_e32 v3, vcc, v4, v3, vcc
	v_add_co_u32_e32 v10, vcc, v2, v14
	v_ldexp_f32 v13, v5, v6
	v_addc_co_u32_e32 v11, vcc, v3, v15, vcc
	global_load_dwordx4 v[2:5], v[24:25], off
	global_load_dwordx4 v[6:9], v[10:11], off
	v_cmp_ngt_f32_e32 vcc, s2, v12
	v_cndmask_b32_e32 v11, 0, v13, vcc
	v_cmp_nlt_f32_e32 vcc, s3, v12
	v_cndmask_b32_e32 v24, v19, v11, vcc
	v_mul_f32_e32 v11, 0x3fb8aa3b, v20
	v_fma_f32 v12, v20, s4, -v11
	v_rndne_f32_e32 v13, v11
	v_cvt_i32_f32_e32 v10, v52
	v_fmac_f32_e32 v12, 0x32a5705f, v20
	v_sub_f32_e32 v11, v11, v13
	v_add_f32_e32 v11, v11, v12
	v_exp_f32_e32 v11, v11
	v_cvt_i32_f32_e32 v12, v13
	v_ldexp_f32 v10, v53, v10
	v_cmp_ngt_f32_e32 vcc, s2, v21
	v_cndmask_b32_e32 v10, 0, v10, vcc
	v_cmp_nlt_f32_e32 vcc, s3, v21
	v_pk_add_f32 v[0:1], v[0:1], v[16:17] op_sel_hi:[1,0] neg_lo:[0,1] neg_hi:[0,1]
	v_cndmask_b32_e32 v25, v19, v10, vcc
	v_ldexp_f32 v10, v11, v12
	v_mul_f32_e32 v11, 0x3fb8aa3b, v1
	v_fma_f32 v12, v1, s4, -v11
	v_rndne_f32_e32 v13, v11
	v_fmac_f32_e32 v12, 0x32a5705f, v1
	v_sub_f32_e32 v11, v11, v13
	v_add_f32_e32 v11, v11, v12
	v_exp_f32_e32 v11, v11
	v_cvt_i32_f32_e32 v12, v13
	v_cmp_ngt_f32_e32 vcc, s2, v20
	v_cndmask_b32_e32 v10, 0, v10, vcc
	v_cmp_nlt_f32_e32 vcc, s3, v20
	v_cndmask_b32_e32 v52, v19, v10, vcc
	v_ldexp_f32 v10, v11, v12
	v_mul_f32_e32 v11, 0x3fb8aa3b, v0
	v_fma_f32 v12, v0, s4, -v11
	v_rndne_f32_e32 v13, v11
	v_fmac_f32_e32 v12, 0x32a5705f, v0
	v_sub_f32_e32 v11, v11, v13
	v_add_f32_e32 v11, v11, v12
	v_cvt_i32_f32_e32 v12, v13
	v_sub_f32_e32 v13, v22, v16
	v_mul_f32_e32 v14, 0x3fb8aa3b, v13
	v_fma_f32 v15, v13, s4, -v14
	v_rndne_f32_e32 v20, v14
	v_fmac_f32_e32 v15, 0x32a5705f, v13
	v_sub_f32_e32 v14, v14, v20
	v_add_f32_e32 v14, v14, v15
	v_exp_f32_e32 v14, v14
	v_cvt_i32_f32_e32 v15, v20
	v_cmp_ngt_f32_e32 vcc, s2, v1
	v_cndmask_b32_e32 v10, 0, v10, vcc
	v_exp_f32_e32 v11, v11
	v_cmp_nlt_f32_e32 vcc, s3, v1
	v_cndmask_b32_e32 v22, v19, v10, vcc
	v_ldexp_f32 v10, v14, v15
	v_cmp_ngt_f32_e32 vcc, s2, v13
	v_cndmask_b32_e32 v10, 0, v10, vcc
	v_cmp_nlt_f32_e32 vcc, s3, v13
	s_mov_b32 s0, 0xc1a00000
	v_cndmask_b32_e32 v10, v19, v10, vcc
	v_cmp_le_f32_e32 vcc, s0, v13
	v_ldexp_f32 v1, v11, v12
	v_cndmask_b32_e32 v53, 0, v10, vcc
	v_cmp_ngt_f32_e32 vcc, s2, v0
	v_cndmask_b32_e32 v1, 0, v1, vcc
	v_cmp_nlt_f32_e32 vcc, s3, v0
	v_cvt_f16_f32_e32 v0, v26
	v_cvt_f16_f32_e32 v10, v27
	;; [unrolled: 1-line block ×5, first 2 shown]
	v_pack_b32_f16 v12, v10, v0
	s_waitcnt vmcnt(1)
	ds_write_b128 v28, v[2:5]
	s_waitcnt vmcnt(0)
	ds_write_b128 v29, v[6:9]
	v_add_u32_e32 v0, 0, v43
	v_lshlrev_b32_e32 v7, 1, v42
	v_lshlrev_b32_e32 v6, 1, v41
	v_add_u32_e32 v5, v0, v7
	v_pack_b32_f16 v13, v13, v11
	s_waitcnt lgkmcnt(0)
	s_barrier
	v_add_u32_e32 v3, v0, v6
	v_add3_u32 v8, v0, v39, v37
	s_mov_b32 s0, 0x5040100
	ds_read_u16 v9, v5
	ds_read_u16 v11, v5 offset:32
	ds_read_u16 v28, v5 offset:64
	ds_read_u16 v20, v8
	ds_read_u16 v29, v8 offset:32
	ds_read_u16 v41, v8 offset:64
	;; [unrolled: 1-line block ×4, first 2 shown]
	v_pk_mul_f16 v15, v54, v60 op_sel_hi:[0,1]
	v_add3_u32 v4, v0, v38, v37
	s_waitcnt lgkmcnt(4)
	v_perm_b32 v5, v20, v9, s0
	ds_read_u16 v8, v3
	ds_read_u16 v55, v3 offset:32
	ds_read_u16 v56, v3 offset:64
	;; [unrolled: 1-line block ×7, first 2 shown]
	v_cndmask_b32_e32 v19, v19, v1, vcc
	v_pk_mul_f16 v1, v54, v63 op_sel_hi:[0,1]
	v_pk_mul_f16 v14, v54, v61 op_sel_hi:[0,1]
	s_waitcnt lgkmcnt(4)
	v_perm_b32 v4, v9, v8, s0
	v_cvt_f32_f16_e32 v0, v1
	v_cvt_f32_f16_sdwa v1, v1 dst_sel:DWORD dst_unused:UNUSED_PAD src0_sel:WORD_1
	v_cvt_f32_f16_e32 v2, v14
	v_cvt_f32_f16_sdwa v3, v14 dst_sel:DWORD dst_unused:UNUSED_PAD src0_sel:WORD_1
	v_cvt_f16_f32_e32 v10, v25
	v_cvt_f16_f32_e32 v8, v52
	v_mfma_f32_16x16x16f16 v[0:3], v[4:5], v[12:13], v[0:3]
	v_add_u32_e32 v4, 0, v40
	v_add_u32_e32 v5, v4, v7
	;; [unrolled: 1-line block ×3, first 2 shown]
	v_add3_u32 v20, v4, v38, v37
	v_add3_u32 v4, v4, v39, v37
	ds_read_u16 v7, v5
	ds_read_u16 v37, v5 offset:32
	ds_read_u16 v38, v5 offset:64
	ds_read_u16 v21, v4
	ds_read_u16 v39, v4 offset:32
	ds_read_u16 v40, v4 offset:64
	;; [unrolled: 1-line block ×4, first 2 shown]
	s_waitcnt lgkmcnt(4)
	v_perm_b32 v5, v21, v7, s0
	v_cvt_f16_f32_e32 v0, v0
	v_cvt_f16_f32_e32 v1, v1
	;; [unrolled: 1-line block ×4, first 2 shown]
	ds_read_u16 v4, v6
	ds_read_u16 v63, v6 offset:32
	ds_read_u16 v64, v6 offset:64
	;; [unrolled: 1-line block ×7, first 2 shown]
	v_cvt_f16_f32_e32 v9, v22
	v_cvt_f16_f32_e32 v14, v19
	s_waitcnt lgkmcnt(4)
	v_perm_b32 v4, v7, v4, s0
	v_cvt_f32_f16_e32 v0, v0
	v_cvt_f32_f16_e32 v1, v1
	;; [unrolled: 1-line block ×4, first 2 shown]
	v_pk_mul_f16 v7, v54, v50 op_sel_hi:[0,1]
	v_pack_b32_f16 v20, v8, v10
	v_pack_b32_f16 v21, v14, v9
	v_perm_b32 v9, v29, v11, s0
	v_perm_b32 v8, v57, v55, s0
	v_mfma_f32_16x16x16f16 v[0:3], v[4:5], v[20:21], v[0:3]
	v_cvt_f32_f16_e32 v4, v15
	v_cvt_f32_f16_sdwa v5, v15 dst_sel:DWORD dst_unused:UNUSED_PAD src0_sel:WORD_1
	v_cvt_f32_f16_e32 v6, v7
	v_cvt_f32_f16_sdwa v7, v7 dst_sel:DWORD dst_unused:UNUSED_PAD src0_sel:WORD_1
	v_pk_mul_f16 v10, v54, v49 op_sel_hi:[0,1]
	v_pk_mul_f16 v11, v54, v48 op_sel_hi:[0,1]
	v_perm_b32 v15, v41, v28, s0
	v_mfma_f32_16x16x16f16 v[4:7], v[8:9], v[12:13], v[4:7]
	v_perm_b32 v9, v39, v37, s0
	s_waitcnt lgkmcnt(3)
	v_perm_b32 v8, v65, v63, s0
	v_perm_b32 v14, v58, v56, s0
	v_add_f32_e32 v26, v27, v26
	v_add_f32_e32 v24, v24, v26
	;; [unrolled: 1-line block ×4, first 2 shown]
	s_nop 2
	v_cvt_f16_f32_e32 v4, v4
	v_cvt_f16_f32_e32 v5, v5
	;; [unrolled: 1-line block ×4, first 2 shown]
	v_cvt_f32_f16_e32 v4, v4
	v_cvt_f32_f16_e32 v5, v5
	;; [unrolled: 1-line block ×4, first 2 shown]
	v_add_f32_e32 v28, v25, v24
	v_pk_mul_f16 v25, v54, v46 op_sel_hi:[0,1]
	v_mfma_f32_16x16x16f16 v[4:7], v[8:9], v[20:21], v[4:7]
	v_cvt_f32_f16_e32 v8, v10
	v_cvt_f32_f16_sdwa v9, v10 dst_sel:DWORD dst_unused:UNUSED_PAD src0_sel:WORD_1
	v_cvt_f32_f16_e32 v10, v11
	v_cvt_f32_f16_sdwa v11, v11 dst_sel:DWORD dst_unused:UNUSED_PAD src0_sel:WORD_1
	v_pk_mul_f16 v27, v54, v44 op_sel_hi:[0,1]
	v_cvt_f32_f16_e32 v24, v25
	v_cvt_f32_f16_sdwa v25, v25 dst_sel:DWORD dst_unused:UNUSED_PAD src0_sel:WORD_1
	v_mfma_f32_16x16x16f16 v[8:11], v[14:15], v[12:13], v[8:11]
	v_perm_b32 v15, v40, v38, s0
	s_waitcnt lgkmcnt(2)
	v_perm_b32 v14, v66, v64, s0
	v_cvt_f32_f16_e32 v26, v27
	v_cvt_f32_f16_sdwa v27, v27 dst_sel:DWORD dst_unused:UNUSED_PAD src0_sel:WORD_1
	v_add_f32_e32 v19, v19, v28
	v_add_f32_e32 v19, v22, v19
	v_fmac_f32_e32 v19, v23, v53
	s_nop 2
	v_cvt_f16_f32_e32 v8, v8
	v_cvt_f16_f32_e32 v9, v9
	;; [unrolled: 1-line block ×4, first 2 shown]
	v_cvt_f32_f16_e32 v8, v8
	v_cvt_f32_f16_e32 v9, v9
	;; [unrolled: 1-line block ×4, first 2 shown]
	v_perm_b32 v23, v61, v62, s0
	s_waitcnt lgkmcnt(0)
	v_perm_b32 v22, v67, v68, s0
	v_mfma_f32_16x16x16f16 v[8:11], v[14:15], v[20:21], v[8:11]
	v_perm_b32 v15, v42, v43, s0
	v_perm_b32 v14, v59, v60, s0
	ds_bpermute_b32 v18, v18, v19
	v_cmp_gt_u32_e64 s[0:1], 16, v32
	s_waitcnt lgkmcnt(0)
	s_barrier
	v_mfma_f32_16x16x16f16 v[12:15], v[14:15], v[12:13], v[24:27]
	v_add_f32_e32 v18, v19, v18
	ds_bpermute_b32 v19, v17, v18
	s_nop 7
	s_nop 0
	v_cvt_f16_f32_e32 v12, v12
	v_cvt_f16_f32_e32 v13, v13
	;; [unrolled: 1-line block ×4, first 2 shown]
	v_cvt_f32_f16_e32 v12, v12
	v_cvt_f32_f16_e32 v13, v13
	;; [unrolled: 1-line block ×4, first 2 shown]
	s_nop 1
	v_mfma_f32_16x16x16f16 v[12:15], v[22:23], v[20:21], v[12:15]
	s_and_saveexec_b64 s[2:3], s[0:1]
	s_cbranch_execz .LBB0_189
; %bb.188:
	s_waitcnt lgkmcnt(0)
	v_add_f32_e32 v18, v18, v19
	v_or_b32_e32 v19, v36, v32
	s_movk_i32 s4, 0x90
	v_mad_i32_i24 v19, v19, s4, 0
	ds_write2_b32 v19, v16, v18 offset0:32 offset1:33
.LBB0_189:
	s_or_b64 exec, exec, s[2:3]
	v_cmp_eq_u32_e32 vcc, 0, v47
	v_cmp_eq_u32_e64 s[2:3], 1, v47
	s_waitcnt lgkmcnt(0)
	s_barrier
	s_and_saveexec_b64 s[4:5], s[2:3]
	s_xor_b64 s[2:3], exec, s[4:5]
	s_cbranch_execz .LBB0_191
; %bb.190:
	s_barrier
	s_waitcnt lgkmcnt(0)
                                        ; implicit-def: $vgpr45
                                        ; implicit-def: $vgpr32
                                        ; implicit-def: $vgpr17
.LBB0_191:
	s_andn2_saveexec_b64 s[4:5], s[2:3]
	s_cbranch_execz .LBB0_197
; %bb.192:
	v_add_u32_e32 v20, v36, v30
	s_movk_i32 s2, 0x90
	v_mad_i32_i24 v16, v20, s2, 0
	ds_read_b64 v[22:23], v16 offset:128
	s_mov_b32 s2, 0x3fb8aa3b
	s_mov_b32 s6, 0x42b17218
	s_waitcnt lgkmcnt(0)
	s_barrier
	ds_bpermute_b32 v16, v17, v22
	v_max_f32_e32 v18, v22, v22
	s_waitcnt lgkmcnt(0)
	v_max_f32_e32 v16, v16, v16
	v_max_f32_e32 v16, v18, v16
	v_sub_f32_e32 v18, v22, v16
	v_mul_f32_e32 v19, 0x3fb8aa3b, v18
	v_fma_f32 v21, v18, s2, -v19
	v_rndne_f32_e32 v22, v19
	v_fmac_f32_e32 v21, 0x32a5705f, v18
	v_sub_f32_e32 v19, v19, v22
	v_add_f32_e32 v19, v19, v21
	v_cvt_i32_f32_e32 v22, v22
	v_exp_f32_e32 v19, v19
	s_mov_b32 s2, 0xc2ce8ed0
	v_cmp_ngt_f32_e64 s[2:3], s2, v18
	v_mov_b32_e32 v21, 0x7f800000
	v_ldexp_f32 v19, v19, v22
	v_cndmask_b32_e64 v19, 0, v19, s[2:3]
	v_cmp_nlt_f32_e64 s[2:3], s6, v18
	v_cndmask_b32_e64 v18, v21, v19, s[2:3]
	v_mul_f32_e32 v19, v23, v18
	ds_bpermute_b32 v19, v17, v19
	v_cmp_gt_u32_e64 s[2:3], 32, v32
	s_waitcnt lgkmcnt(0)
	v_fmac_f32_e32 v19, v23, v18
	s_and_saveexec_b64 s[8:9], s[2:3]
	s_cbranch_execz .LBB0_194
; %bb.193:
	v_mul_i32_i24_e32 v17, 0x90, v20
	v_add_u32_e32 v17, 0, v17
	ds_write_b64 v17, v[18:19] offset:128
.LBB0_194:
	s_or_b64 exec, exec, s[8:9]
	s_and_saveexec_b64 s[2:3], s[0:1]
	s_cbranch_execz .LBB0_196
; %bb.195:
	s_add_i32 s0, s43, s49
	s_lshl_b32 s0, s0, 5
	s_mov_b32 s1, 0
	s_lshl_b64 s[0:1], s[0:1], 3
	s_add_u32 s0, s26, s0
	v_or_b32_e32 v17, v45, v32
	s_addc_u32 s1, s27, s1
	v_lshlrev_b32_e32 v18, 3, v17
	v_mov_b32_e32 v17, v19
	global_store_dwordx2 v18, v[16:17], s[0:1]
.LBB0_196:
	s_or_b64 exec, exec, s[2:3]
.LBB0_197:
	s_or_b64 exec, exec, s[4:5]
	v_cvt_f16_f32_e32 v0, v0
	v_cvt_f16_f32_e32 v1, v1
	;; [unrolled: 1-line block ×8, first 2 shown]
	v_pack_b32_f16 v2, v2, v3
	v_pack_b32_f16 v0, v0, v1
	;; [unrolled: 1-line block ×4, first 2 shown]
	v_cvt_f16_f32_e32 v4, v8
	v_cvt_f16_f32_e32 v6, v10
	;; [unrolled: 1-line block ×8, first 2 shown]
	v_pack_b32_f16 v6, v6, v7
	v_pack_b32_f16 v7, v8, v11
	v_or_b32_e32 v8, v36, v33
	v_mad_i32_i24 v8, v8, 36, v34
	s_mov_b32 s3, 0
	v_lshl_add_u32 v8, v8, 2, 0
	v_pack_b32_f16 v4, v4, v5
	v_pack_b32_f16 v5, v9, v10
	ds_write2_b32 v8, v0, v2 offset1:1
	ds_write2_b32 v8, v3, v1 offset0:8 offset1:9
	ds_write2_b32 v8, v4, v6 offset0:16 offset1:17
	;; [unrolled: 1-line block ×3, first 2 shown]
	s_waitcnt lgkmcnt(0)
	s_barrier
	s_and_saveexec_b64 s[0:1], vcc
	s_cbranch_execz .LBB0_199
; %bb.198:
	s_lshl_b32 s2, s43, 6
	s_lshl_b64 s[4:5], s[2:3], 3
	v_add_u32_e32 v12, v31, v35
	s_add_u32 s6, s26, s4
	v_lshlrev_b32_e32 v0, 1, v12
	v_and_b32_e32 v13, 15, v12
	s_movk_i32 s4, 0xfe0
	v_and_or_b32 v0, v0, s4, v13
	s_movk_i32 s4, 0x90
	v_mad_u32_u24 v2, v0, s4, 0
	v_lshlrev_b32_e32 v14, 2, v30
	v_add_u32_e32 v0, v2, v14
	ds_read2st64_b32 v[0:1], v0 offset1:9
	v_add_u32_e32 v2, 0x80, v2
	ds_read2st64_b32 v[2:3], v2 offset1:9
	s_addc_u32 s5, s27, s5
	s_lshl_b32 s2, s49, 10
	s_waitcnt lgkmcnt(1)
	v_cvt_f32_f16_e32 v4, v0
	v_cvt_f32_f16_sdwa v5, v0 dst_sel:DWORD dst_unused:UNUSED_PAD src0_sel:WORD_1
	s_lshl_b64 s[2:3], s[2:3], 3
	s_add_u32 s2, s6, s2
	v_add_u32_e32 v17, 4, v12
	s_addc_u32 s3, s5, s3
	s_waitcnt lgkmcnt(0)
	v_pk_fma_f32 v[4:5], v[2:3], v[4:5], 0 op_sel_hi:[0,1,0]
	v_lshlrev_b32_e32 v2, 1, v17
	v_and_b32_e32 v6, 15, v17
	s_movk_i32 s5, 0x1fe0
	v_and_or_b32 v2, v2, s5, v6
	v_mad_u32_u24 v8, v2, s4, 0
	v_add_u32_e32 v2, v8, v14
	ds_read2st64_b32 v[6:7], v2 offset1:9
	v_cvt_f32_f16_e32 v0, v1
	v_cvt_f32_f16_sdwa v1, v1 dst_sel:DWORD dst_unused:UNUSED_PAD src0_sel:WORD_1
	v_mov_b32_e32 v2, v3
	v_add_u32_e32 v3, 0x80, v8
	v_lshlrev_b32_e32 v15, 3, v30
	ds_read2st64_b32 v[8:9], v3 offset1:9
	v_lshl_or_b32 v16, v12, 8, v15
	s_waitcnt lgkmcnt(1)
	v_cvt_f32_f16_e32 v10, v6
	v_cvt_f32_f16_sdwa v11, v6 dst_sel:DWORD dst_unused:UNUSED_PAD src0_sel:WORD_1
	v_pk_fma_f32 v[0:1], v[2:3], v[0:1], v[4:5] op_sel_hi:[0,1,1]
	global_store_dwordx2 v16, v[0:1], s[2:3]
	v_lshl_or_b32 v16, v17, 8, v15
	v_add_u32_e32 v17, 8, v12
	v_lshlrev_b32_e32 v3, 1, v17
	v_and_b32_e32 v4, 15, v17
	v_and_or_b32 v3, v3, s5, v4
	s_waitcnt lgkmcnt(0)
	v_pk_fma_f32 v[0:1], v[8:9], v[10:11], 0 op_sel_hi:[0,1,0]
	v_mad_u32_u24 v8, v3, s4, 0
	v_add_u32_e32 v3, v8, v14
	ds_read2st64_b32 v[4:5], v3 offset1:9
	v_cvt_f32_f16_e32 v2, v7
	v_cvt_f32_f16_sdwa v3, v7 dst_sel:DWORD dst_unused:UNUSED_PAD src0_sel:WORD_1
	v_add_u32_e32 v7, 0x80, v8
	v_mov_b32_e32 v6, v9
	ds_read2st64_b32 v[8:9], v7 offset1:9
	s_waitcnt lgkmcnt(1)
	v_cvt_f32_f16_e32 v10, v4
	v_cvt_f32_f16_sdwa v11, v4 dst_sel:DWORD dst_unused:UNUSED_PAD src0_sel:WORD_1
	v_pk_fma_f32 v[0:1], v[6:7], v[2:3], v[0:1] op_sel_hi:[0,1,1]
	global_store_dwordx2 v16, v[0:1], s[2:3]
	v_lshl_or_b32 v16, v17, 8, v15
	v_add_u32_e32 v17, 12, v12
	v_lshlrev_b32_e32 v3, 1, v17
	v_and_b32_e32 v4, 15, v17
	v_and_or_b32 v3, v3, s5, v4
	s_waitcnt lgkmcnt(0)
	v_pk_fma_f32 v[0:1], v[8:9], v[10:11], 0 op_sel_hi:[0,1,0]
	v_mad_u32_u24 v8, v3, s4, 0
	v_add_u32_e32 v3, v8, v14
	ds_read2st64_b32 v[6:7], v3 offset1:9
	v_cvt_f32_f16_e32 v2, v5
	v_cvt_f32_f16_sdwa v3, v5 dst_sel:DWORD dst_unused:UNUSED_PAD src0_sel:WORD_1
	v_add_u32_e32 v5, 0x80, v8
	v_mov_b32_e32 v4, v9
	ds_read2st64_b32 v[8:9], v5 offset1:9
	s_waitcnt lgkmcnt(1)
	v_cvt_f32_f16_e32 v10, v6
	v_cvt_f32_f16_sdwa v11, v6 dst_sel:DWORD dst_unused:UNUSED_PAD src0_sel:WORD_1
	v_pk_fma_f32 v[0:1], v[4:5], v[2:3], v[0:1] op_sel_hi:[0,1,1]
	global_store_dwordx2 v16, v[0:1], s[2:3]
	v_lshl_or_b32 v16, v17, 8, v15
	v_add_u32_e32 v17, 16, v12
	v_lshlrev_b32_e32 v3, 1, v17
	v_and_or_b32 v3, v3, s5, v13
	s_waitcnt lgkmcnt(0)
	v_pk_fma_f32 v[0:1], v[8:9], v[10:11], 0 op_sel_hi:[0,1,0]
	v_mad_u32_u24 v8, v3, s4, 0
	v_add_u32_e32 v3, v8, v14
	ds_read2st64_b32 v[4:5], v3 offset1:9
	v_cvt_f32_f16_e32 v2, v7
	v_cvt_f32_f16_sdwa v3, v7 dst_sel:DWORD dst_unused:UNUSED_PAD src0_sel:WORD_1
	v_add_u32_e32 v7, 0x80, v8
	v_mov_b32_e32 v6, v9
	ds_read2st64_b32 v[8:9], v7 offset1:9
	s_waitcnt lgkmcnt(1)
	v_cvt_f32_f16_e32 v10, v4
	v_cvt_f32_f16_sdwa v11, v4 dst_sel:DWORD dst_unused:UNUSED_PAD src0_sel:WORD_1
	v_pk_fma_f32 v[0:1], v[6:7], v[2:3], v[0:1] op_sel_hi:[0,1,1]
	global_store_dwordx2 v16, v[0:1], s[2:3]
	v_add_u32_e32 v16, 20, v12
	v_lshlrev_b32_e32 v3, 1, v16
	v_and_b32_e32 v4, 15, v16
	v_and_or_b32 v3, v3, s5, v4
	s_waitcnt lgkmcnt(0)
	v_pk_fma_f32 v[0:1], v[8:9], v[10:11], 0 op_sel_hi:[0,1,0]
	v_mad_u32_u24 v8, v3, s4, 0
	v_add_u32_e32 v3, v8, v14
	ds_read2st64_b32 v[6:7], v3 offset1:9
	v_cvt_f32_f16_e32 v2, v5
	v_cvt_f32_f16_sdwa v3, v5 dst_sel:DWORD dst_unused:UNUSED_PAD src0_sel:WORD_1
	v_add_u32_e32 v5, 0x80, v8
	v_mov_b32_e32 v4, v9
	ds_read2st64_b32 v[8:9], v5 offset1:9
	v_lshl_or_b32 v13, v17, 8, v15
	s_waitcnt lgkmcnt(1)
	v_cvt_f32_f16_e32 v10, v6
	v_cvt_f32_f16_sdwa v11, v6 dst_sel:DWORD dst_unused:UNUSED_PAD src0_sel:WORD_1
	v_pk_fma_f32 v[0:1], v[4:5], v[2:3], v[0:1] op_sel_hi:[0,1,1]
	global_store_dwordx2 v13, v[0:1], s[2:3]
	v_lshl_or_b32 v13, v16, 8, v15
	v_add_u32_e32 v16, 24, v12
	v_lshlrev_b32_e32 v3, 1, v16
	v_and_b32_e32 v4, 15, v16
	v_and_or_b32 v3, v3, s5, v4
	s_waitcnt lgkmcnt(0)
	v_pk_fma_f32 v[0:1], v[8:9], v[10:11], 0 op_sel_hi:[0,1,0]
	v_mad_u32_u24 v8, v3, s4, 0
	v_add_u32_e32 v3, v8, v14
	ds_read2st64_b32 v[4:5], v3 offset1:9
	v_cvt_f32_f16_e32 v2, v7
	v_cvt_f32_f16_sdwa v3, v7 dst_sel:DWORD dst_unused:UNUSED_PAD src0_sel:WORD_1
	v_add_u32_e32 v7, 0x80, v8
	v_mov_b32_e32 v6, v9
	ds_read2st64_b32 v[8:9], v7 offset1:9
	s_waitcnt lgkmcnt(1)
	v_cvt_f32_f16_e32 v10, v4
	v_cvt_f32_f16_sdwa v11, v4 dst_sel:DWORD dst_unused:UNUSED_PAD src0_sel:WORD_1
	v_pk_fma_f32 v[0:1], v[6:7], v[2:3], v[0:1] op_sel_hi:[0,1,1]
	global_store_dwordx2 v13, v[0:1], s[2:3]
	v_cvt_f32_f16_e32 v2, v5
	s_waitcnt lgkmcnt(0)
	v_pk_fma_f32 v[0:1], v[8:9], v[10:11], 0 op_sel_hi:[0,1,0]
	v_add_u32_e32 v8, 28, v12
	v_cvt_f32_f16_sdwa v3, v5 dst_sel:DWORD dst_unused:UNUSED_PAD src0_sel:WORD_1
	v_lshlrev_b32_e32 v5, 1, v8
	v_and_b32_e32 v6, 15, v8
	v_and_or_b32 v5, v5, s5, v6
	v_mad_u32_u24 v5, v5, s4, 0
	v_add_u32_e32 v6, v5, v14
	ds_read2st64_b32 v[6:7], v6 offset1:9
	v_mov_b32_e32 v4, v9
	v_lshl_or_b32 v13, v16, 8, v15
	v_pk_fma_f32 v[0:1], v[4:5], v[2:3], v[0:1] op_sel_hi:[0,1,1]
	global_store_dwordx2 v13, v[0:1], s[2:3]
	v_add_u32_e32 v0, 0x80, v5
	ds_read2st64_b32 v[0:1], v0 offset1:9
	s_waitcnt lgkmcnt(1)
	v_cvt_f32_f16_e32 v2, v6
	v_cvt_f32_f16_sdwa v3, v6 dst_sel:DWORD dst_unused:UNUSED_PAD src0_sel:WORD_1
	v_cvt_f32_f16_e32 v4, v7
	v_cvt_f32_f16_sdwa v5, v7 dst_sel:DWORD dst_unused:UNUSED_PAD src0_sel:WORD_1
	v_lshl_or_b32 v6, v8, 8, v15
	s_waitcnt lgkmcnt(0)
	v_pk_fma_f32 v[2:3], v[0:1], v[2:3], 0 op_sel_hi:[0,1,0]
	v_mov_b32_e32 v0, v1
	v_pk_fma_f32 v[0:1], v[0:1], v[4:5], v[2:3] op_sel_hi:[0,1,1]
	global_store_dwordx2 v6, v[0:1], s[2:3]
.LBB0_199:
	s_or_b64 exec, exec, s[0:1]
	s_barrier
	s_endpgm
	.section	.rodata,"a",@progbits
	.p2align	6, 0x0
	.amdhsa_kernel _ZL18flash_attn_ext_f16ILi64ELi64ELi16ELi2ELb0ELb0EEvPKcS1_S1_S1_S1_PKiPfP15HIP_vector_typeIfLj2EEffffjfiS5_IjLj3EEiiiiiiiiiiiliiliiiiil
		.amdhsa_group_segment_fixed_size 0
		.amdhsa_private_segment_fixed_size 0
		.amdhsa_kernarg_size 464
		.amdhsa_user_sgpr_count 6
		.amdhsa_user_sgpr_private_segment_buffer 1
		.amdhsa_user_sgpr_dispatch_ptr 0
		.amdhsa_user_sgpr_queue_ptr 0
		.amdhsa_user_sgpr_kernarg_segment_ptr 1
		.amdhsa_user_sgpr_dispatch_id 0
		.amdhsa_user_sgpr_flat_scratch_init 0
		.amdhsa_user_sgpr_kernarg_preload_length 0
		.amdhsa_user_sgpr_kernarg_preload_offset 0
		.amdhsa_user_sgpr_private_segment_size 0
		.amdhsa_uses_dynamic_stack 0
		.amdhsa_system_sgpr_private_segment_wavefront_offset 0
		.amdhsa_system_sgpr_workgroup_id_x 1
		.amdhsa_system_sgpr_workgroup_id_y 0
		.amdhsa_system_sgpr_workgroup_id_z 0
		.amdhsa_system_sgpr_workgroup_info 0
		.amdhsa_system_vgpr_workitem_id 1
		.amdhsa_next_free_vgpr 161
		.amdhsa_next_free_sgpr 96
		.amdhsa_accum_offset 164
		.amdhsa_reserve_vcc 1
		.amdhsa_reserve_flat_scratch 0
		.amdhsa_float_round_mode_32 0
		.amdhsa_float_round_mode_16_64 0
		.amdhsa_float_denorm_mode_32 3
		.amdhsa_float_denorm_mode_16_64 3
		.amdhsa_dx10_clamp 1
		.amdhsa_ieee_mode 1
		.amdhsa_fp16_overflow 0
		.amdhsa_tg_split 0
		.amdhsa_exception_fp_ieee_invalid_op 0
		.amdhsa_exception_fp_denorm_src 0
		.amdhsa_exception_fp_ieee_div_zero 0
		.amdhsa_exception_fp_ieee_overflow 0
		.amdhsa_exception_fp_ieee_underflow 0
		.amdhsa_exception_fp_ieee_inexact 0
		.amdhsa_exception_int_div_zero 0
	.end_amdhsa_kernel
	.section	.text._ZL18flash_attn_ext_f16ILi64ELi64ELi16ELi2ELb0ELb0EEvPKcS1_S1_S1_S1_PKiPfP15HIP_vector_typeIfLj2EEffffjfiS5_IjLj3EEiiiiiiiiiiiliiliiiiil,"axG",@progbits,_ZL18flash_attn_ext_f16ILi64ELi64ELi16ELi2ELb0ELb0EEvPKcS1_S1_S1_S1_PKiPfP15HIP_vector_typeIfLj2EEffffjfiS5_IjLj3EEiiiiiiiiiiiliiliiiiil,comdat
.Lfunc_end0:
	.size	_ZL18flash_attn_ext_f16ILi64ELi64ELi16ELi2ELb0ELb0EEvPKcS1_S1_S1_S1_PKiPfP15HIP_vector_typeIfLj2EEffffjfiS5_IjLj3EEiiiiiiiiiiiliiliiiiil, .Lfunc_end0-_ZL18flash_attn_ext_f16ILi64ELi64ELi16ELi2ELb0ELb0EEvPKcS1_S1_S1_S1_PKiPfP15HIP_vector_typeIfLj2EEffffjfiS5_IjLj3EEiiiiiiiiiiiliiliiiiil
                                        ; -- End function
	.section	.AMDGPU.csdata,"",@progbits
; Kernel info:
; codeLenInByte = 31492
; NumSgprs: 100
; NumVgprs: 161
; NumAgprs: 0
; TotalNumVgprs: 161
; ScratchSize: 0
; MemoryBound: 0
; FloatMode: 240
; IeeeMode: 1
; LDSByteSize: 0 bytes/workgroup (compile time only)
; SGPRBlocks: 12
; VGPRBlocks: 20
; NumSGPRsForWavesPerEU: 100
; NumVGPRsForWavesPerEU: 161
; AccumOffset: 164
; Occupancy: 3
; WaveLimiterHint : 0
; COMPUTE_PGM_RSRC2:SCRATCH_EN: 0
; COMPUTE_PGM_RSRC2:USER_SGPR: 6
; COMPUTE_PGM_RSRC2:TRAP_HANDLER: 0
; COMPUTE_PGM_RSRC2:TGID_X_EN: 1
; COMPUTE_PGM_RSRC2:TGID_Y_EN: 0
; COMPUTE_PGM_RSRC2:TGID_Z_EN: 0
; COMPUTE_PGM_RSRC2:TIDIG_COMP_CNT: 1
; COMPUTE_PGM_RSRC3_GFX90A:ACCUM_OFFSET: 40
; COMPUTE_PGM_RSRC3_GFX90A:TG_SPLIT: 0
	.text
	.p2align	2                               ; -- Begin function __ockl_printf_append_string_n
	.type	__ockl_printf_append_string_n,@function
__ockl_printf_append_string_n:          ; @__ockl_printf_append_string_n
; %bb.0:
	s_waitcnt vmcnt(0) expcnt(0) lgkmcnt(0)
	v_mov_b32_e32 v7, v3
	v_mov_b32_e32 v6, v2
	;; [unrolled: 1-line block ×3, first 2 shown]
	s_mov_b64 s[6:7], 0
	v_cmp_ne_u64_e32 vcc, 0, v[6:7]
	v_mbcnt_lo_u32_b32 v2, -1, 0
	s_and_saveexec_b64 s[4:5], vcc
	s_xor_b64 s[10:11], exec, s[4:5]
	s_cbranch_execz .LBB1_86
; %bb.1:
	s_load_dwordx2 s[12:13], s[8:9], 0x50
	v_and_b32_e32 v28, 2, v3
	s_mov_b32 s22, 0
	v_mov_b32_e32 v31, 0
	v_and_b32_e32 v0, -3, v3
	v_mbcnt_hi_u32_b32 v32, -1, v2
	s_movk_i32 s23, 0xff1f
	v_mov_b32_e32 v10, 2
	v_mov_b32_e32 v11, 1
	s_branch .LBB1_3
.LBB1_2:                                ;   in Loop: Header=BB1_3 Depth=1
	s_or_b64 exec, exec, s[16:17]
	v_sub_co_u32_e32 v4, vcc, v4, v34
	v_subb_co_u32_e32 v5, vcc, v5, v35, vcc
	v_cmp_eq_u64_e32 vcc, 0, v[4:5]
	s_or_b64 s[6:7], vcc, s[6:7]
	v_add_co_u32_e32 v6, vcc, v6, v34
	v_addc_co_u32_e32 v7, vcc, v7, v35, vcc
	s_andn2_b64 exec, exec, s[6:7]
	s_cbranch_execz .LBB1_85
.LBB1_3:                                ; =>This Loop Header: Depth=1
                                        ;     Child Loop BB1_6 Depth 2
                                        ;     Child Loop BB1_14 Depth 2
	;; [unrolled: 1-line block ×11, first 2 shown]
	v_cmp_gt_u64_e32 vcc, 56, v[4:5]
	v_cndmask_b32_e32 v35, 0, v5, vcc
	v_cndmask_b32_e32 v34, 56, v4, vcc
	v_cmp_gt_u64_e32 vcc, 8, v[4:5]
                                        ; implicit-def: $vgpr2_vgpr3
                                        ; implicit-def: $sgpr14
	s_and_saveexec_b64 s[4:5], vcc
	s_xor_b64 s[4:5], exec, s[4:5]
	s_cbranch_execz .LBB1_9
; %bb.4:                                ;   in Loop: Header=BB1_3 Depth=1
	s_mov_b64 s[16:17], 0
	v_cmp_ne_u64_e32 vcc, 0, v[4:5]
	s_waitcnt vmcnt(0)
	v_pk_mov_b32 v[2:3], 0, 0
	s_and_saveexec_b64 s[14:15], vcc
	s_cbranch_execz .LBB1_8
; %bb.5:                                ;   in Loop: Header=BB1_3 Depth=1
	v_lshlrev_b64 v[8:9], 3, v[34:35]
	v_pk_mov_b32 v[2:3], 0, 0
	v_pk_mov_b32 v[12:13], v[6:7], v[6:7] op_sel:[0,1]
	s_mov_b64 s[18:19], 0
.LBB1_6:                                ;   Parent Loop BB1_3 Depth=1
                                        ; =>  This Inner Loop Header: Depth=2
	flat_load_ubyte v9, v[12:13]
	v_mov_b32_e32 v15, s22
	v_add_co_u32_e32 v12, vcc, 1, v12
	v_addc_co_u32_e32 v13, vcc, 0, v13, vcc
	s_waitcnt vmcnt(0) lgkmcnt(0)
	v_and_b32_e32 v14, 0xffff, v9
	v_lshlrev_b64 v[14:15], s18, v[14:15]
	s_add_u32 s18, s18, 8
	s_addc_u32 s19, s19, 0
	v_cmp_eq_u32_e32 vcc, s18, v8
	v_or_b32_e32 v3, v15, v3
	s_or_b64 s[16:17], vcc, s[16:17]
	v_or_b32_e32 v2, v14, v2
	s_andn2_b64 exec, exec, s[16:17]
	s_cbranch_execnz .LBB1_6
; %bb.7:                                ;   in Loop: Header=BB1_3 Depth=1
	s_or_b64 exec, exec, s[16:17]
.LBB1_8:                                ;   in Loop: Header=BB1_3 Depth=1
	s_or_b64 exec, exec, s[14:15]
	s_mov_b32 s14, 0
.LBB1_9:                                ;   in Loop: Header=BB1_3 Depth=1
	s_or_saveexec_b64 s[4:5], s[4:5]
	v_mov_b32_e32 v14, s14
	v_pk_mov_b32 v[8:9], v[6:7], v[6:7] op_sel:[0,1]
	s_xor_b64 exec, exec, s[4:5]
	s_cbranch_execz .LBB1_11
; %bb.10:                               ;   in Loop: Header=BB1_3 Depth=1
	s_waitcnt vmcnt(0)
	flat_load_dwordx2 v[2:3], v[6:7]
	v_add_u32_e32 v14, -8, v34
	s_waitcnt vmcnt(0) lgkmcnt(0)
	v_and_b32_e32 v8, 0xff, v3
	v_and_b32_e32 v9, 0xff00, v3
	;; [unrolled: 1-line block ×4, first 2 shown]
	v_or_b32_e32 v8, v8, v9
	v_or3_b32 v3, v8, v12, v3
	v_add_co_u32_e32 v8, vcc, 8, v6
	v_or3_b32 v2, v2, 0, 0
	v_addc_co_u32_e32 v9, vcc, 0, v7, vcc
.LBB1_11:                               ;   in Loop: Header=BB1_3 Depth=1
	s_or_b64 exec, exec, s[4:5]
	v_cmp_gt_u32_e32 vcc, 8, v14
                                        ; implicit-def: $vgpr12_vgpr13
                                        ; implicit-def: $sgpr14
	s_and_saveexec_b64 s[4:5], vcc
	s_xor_b64 s[4:5], exec, s[4:5]
	s_cbranch_execz .LBB1_17
; %bb.12:                               ;   in Loop: Header=BB1_3 Depth=1
	v_cmp_ne_u32_e32 vcc, 0, v14
	v_pk_mov_b32 v[12:13], 0, 0
	s_and_saveexec_b64 s[14:15], vcc
	s_cbranch_execz .LBB1_16
; %bb.13:                               ;   in Loop: Header=BB1_3 Depth=1
	s_mov_b64 s[16:17], 0
	v_pk_mov_b32 v[12:13], 0, 0
	s_mov_b64 s[18:19], 0
	s_mov_b64 s[20:21], 0
.LBB1_14:                               ;   Parent Loop BB1_3 Depth=1
                                        ; =>  This Inner Loop Header: Depth=2
	v_mov_b32_e32 v15, s21
	v_add_co_u32_e32 v16, vcc, s20, v8
	v_addc_co_u32_e32 v17, vcc, v9, v15, vcc
	flat_load_ubyte v15, v[16:17]
	s_add_u32 s20, s20, 1
	v_mov_b32_e32 v17, s22
	s_addc_u32 s21, s21, 0
	v_cmp_eq_u32_e32 vcc, s20, v14
	s_waitcnt vmcnt(0) lgkmcnt(0)
	v_and_b32_e32 v16, 0xffff, v15
	v_lshlrev_b64 v[16:17], s18, v[16:17]
	s_add_u32 s18, s18, 8
	s_addc_u32 s19, s19, 0
	v_or_b32_e32 v13, v17, v13
	s_or_b64 s[16:17], vcc, s[16:17]
	v_or_b32_e32 v12, v16, v12
	s_andn2_b64 exec, exec, s[16:17]
	s_cbranch_execnz .LBB1_14
; %bb.15:                               ;   in Loop: Header=BB1_3 Depth=1
	s_or_b64 exec, exec, s[16:17]
.LBB1_16:                               ;   in Loop: Header=BB1_3 Depth=1
	s_or_b64 exec, exec, s[14:15]
	s_mov_b32 s14, 0
                                        ; implicit-def: $vgpr14
.LBB1_17:                               ;   in Loop: Header=BB1_3 Depth=1
	s_or_saveexec_b64 s[4:5], s[4:5]
	v_mov_b32_e32 v16, s14
	s_xor_b64 exec, exec, s[4:5]
	s_cbranch_execz .LBB1_19
; %bb.18:                               ;   in Loop: Header=BB1_3 Depth=1
	flat_load_dwordx2 v[12:13], v[8:9]
	v_add_u32_e32 v16, -8, v14
	v_add_co_u32_e32 v8, vcc, 8, v8
	v_addc_co_u32_e32 v9, vcc, 0, v9, vcc
	s_waitcnt vmcnt(0) lgkmcnt(0)
	v_and_b32_e32 v14, 0xff, v13
	v_and_b32_e32 v15, 0xff00, v13
	;; [unrolled: 1-line block ×4, first 2 shown]
	v_or_b32_e32 v14, v14, v15
	v_or3_b32 v12, v12, 0, 0
	v_or3_b32 v13, v14, v17, v13
.LBB1_19:                               ;   in Loop: Header=BB1_3 Depth=1
	s_or_b64 exec, exec, s[4:5]
	v_cmp_gt_u32_e32 vcc, 8, v16
                                        ; implicit-def: $sgpr14
	s_and_saveexec_b64 s[4:5], vcc
	s_xor_b64 s[4:5], exec, s[4:5]
	s_cbranch_execz .LBB1_25
; %bb.20:                               ;   in Loop: Header=BB1_3 Depth=1
	v_cmp_ne_u32_e32 vcc, 0, v16
	v_pk_mov_b32 v[14:15], 0, 0
	s_and_saveexec_b64 s[14:15], vcc
	s_cbranch_execz .LBB1_24
; %bb.21:                               ;   in Loop: Header=BB1_3 Depth=1
	s_mov_b64 s[16:17], 0
	v_pk_mov_b32 v[14:15], 0, 0
	s_mov_b64 s[18:19], 0
	s_mov_b64 s[20:21], 0
.LBB1_22:                               ;   Parent Loop BB1_3 Depth=1
                                        ; =>  This Inner Loop Header: Depth=2
	v_mov_b32_e32 v17, s21
	v_add_co_u32_e32 v18, vcc, s20, v8
	v_addc_co_u32_e32 v19, vcc, v9, v17, vcc
	flat_load_ubyte v17, v[18:19]
	s_add_u32 s20, s20, 1
	v_mov_b32_e32 v19, s22
	s_addc_u32 s21, s21, 0
	v_cmp_eq_u32_e32 vcc, s20, v16
	s_waitcnt vmcnt(0) lgkmcnt(0)
	v_and_b32_e32 v18, 0xffff, v17
	v_lshlrev_b64 v[18:19], s18, v[18:19]
	s_add_u32 s18, s18, 8
	s_addc_u32 s19, s19, 0
	v_or_b32_e32 v15, v19, v15
	s_or_b64 s[16:17], vcc, s[16:17]
	v_or_b32_e32 v14, v18, v14
	s_andn2_b64 exec, exec, s[16:17]
	s_cbranch_execnz .LBB1_22
; %bb.23:                               ;   in Loop: Header=BB1_3 Depth=1
	s_or_b64 exec, exec, s[16:17]
.LBB1_24:                               ;   in Loop: Header=BB1_3 Depth=1
	s_or_b64 exec, exec, s[14:15]
	s_mov_b32 s14, 0
                                        ; implicit-def: $vgpr16
.LBB1_25:                               ;   in Loop: Header=BB1_3 Depth=1
	s_or_saveexec_b64 s[4:5], s[4:5]
	v_mov_b32_e32 v18, s14
	s_xor_b64 exec, exec, s[4:5]
	s_cbranch_execz .LBB1_27
; %bb.26:                               ;   in Loop: Header=BB1_3 Depth=1
	flat_load_dwordx2 v[14:15], v[8:9]
	v_add_u32_e32 v18, -8, v16
	v_add_co_u32_e32 v8, vcc, 8, v8
	v_addc_co_u32_e32 v9, vcc, 0, v9, vcc
	s_waitcnt vmcnt(0) lgkmcnt(0)
	v_and_b32_e32 v16, 0xff, v15
	v_and_b32_e32 v17, 0xff00, v15
	;; [unrolled: 1-line block ×4, first 2 shown]
	v_or_b32_e32 v16, v16, v17
	v_or3_b32 v14, v14, 0, 0
	v_or3_b32 v15, v16, v19, v15
.LBB1_27:                               ;   in Loop: Header=BB1_3 Depth=1
	s_or_b64 exec, exec, s[4:5]
	v_cmp_gt_u32_e32 vcc, 8, v18
                                        ; implicit-def: $vgpr16_vgpr17
                                        ; implicit-def: $sgpr14
	s_and_saveexec_b64 s[4:5], vcc
	s_xor_b64 s[4:5], exec, s[4:5]
	s_cbranch_execz .LBB1_33
; %bb.28:                               ;   in Loop: Header=BB1_3 Depth=1
	v_cmp_ne_u32_e32 vcc, 0, v18
	v_pk_mov_b32 v[16:17], 0, 0
	s_and_saveexec_b64 s[14:15], vcc
	s_cbranch_execz .LBB1_32
; %bb.29:                               ;   in Loop: Header=BB1_3 Depth=1
	s_mov_b64 s[16:17], 0
	v_pk_mov_b32 v[16:17], 0, 0
	s_mov_b64 s[18:19], 0
	s_mov_b64 s[20:21], 0
.LBB1_30:                               ;   Parent Loop BB1_3 Depth=1
                                        ; =>  This Inner Loop Header: Depth=2
	v_mov_b32_e32 v19, s21
	v_add_co_u32_e32 v20, vcc, s20, v8
	v_addc_co_u32_e32 v21, vcc, v9, v19, vcc
	flat_load_ubyte v19, v[20:21]
	s_add_u32 s20, s20, 1
	v_mov_b32_e32 v21, s22
	s_addc_u32 s21, s21, 0
	v_cmp_eq_u32_e32 vcc, s20, v18
	s_waitcnt vmcnt(0) lgkmcnt(0)
	v_and_b32_e32 v20, 0xffff, v19
	v_lshlrev_b64 v[20:21], s18, v[20:21]
	s_add_u32 s18, s18, 8
	s_addc_u32 s19, s19, 0
	v_or_b32_e32 v17, v21, v17
	s_or_b64 s[16:17], vcc, s[16:17]
	v_or_b32_e32 v16, v20, v16
	s_andn2_b64 exec, exec, s[16:17]
	s_cbranch_execnz .LBB1_30
; %bb.31:                               ;   in Loop: Header=BB1_3 Depth=1
	s_or_b64 exec, exec, s[16:17]
.LBB1_32:                               ;   in Loop: Header=BB1_3 Depth=1
	s_or_b64 exec, exec, s[14:15]
	s_mov_b32 s14, 0
                                        ; implicit-def: $vgpr18
.LBB1_33:                               ;   in Loop: Header=BB1_3 Depth=1
	s_or_saveexec_b64 s[4:5], s[4:5]
	v_mov_b32_e32 v20, s14
	s_xor_b64 exec, exec, s[4:5]
	s_cbranch_execz .LBB1_35
; %bb.34:                               ;   in Loop: Header=BB1_3 Depth=1
	flat_load_dwordx2 v[16:17], v[8:9]
	v_add_u32_e32 v20, -8, v18
	v_add_co_u32_e32 v8, vcc, 8, v8
	v_addc_co_u32_e32 v9, vcc, 0, v9, vcc
	s_waitcnt vmcnt(0) lgkmcnt(0)
	v_and_b32_e32 v18, 0xff, v17
	v_and_b32_e32 v19, 0xff00, v17
	;; [unrolled: 1-line block ×4, first 2 shown]
	v_or_b32_e32 v18, v18, v19
	v_or3_b32 v16, v16, 0, 0
	v_or3_b32 v17, v18, v21, v17
.LBB1_35:                               ;   in Loop: Header=BB1_3 Depth=1
	s_or_b64 exec, exec, s[4:5]
	v_cmp_gt_u32_e32 vcc, 8, v20
                                        ; implicit-def: $sgpr14
	s_and_saveexec_b64 s[4:5], vcc
	s_xor_b64 s[4:5], exec, s[4:5]
	s_cbranch_execz .LBB1_41
; %bb.36:                               ;   in Loop: Header=BB1_3 Depth=1
	v_cmp_ne_u32_e32 vcc, 0, v20
	v_pk_mov_b32 v[18:19], 0, 0
	s_and_saveexec_b64 s[14:15], vcc
	s_cbranch_execz .LBB1_40
; %bb.37:                               ;   in Loop: Header=BB1_3 Depth=1
	s_mov_b64 s[16:17], 0
	v_pk_mov_b32 v[18:19], 0, 0
	s_mov_b64 s[18:19], 0
	s_mov_b64 s[20:21], 0
.LBB1_38:                               ;   Parent Loop BB1_3 Depth=1
                                        ; =>  This Inner Loop Header: Depth=2
	v_mov_b32_e32 v21, s21
	v_add_co_u32_e32 v22, vcc, s20, v8
	v_addc_co_u32_e32 v23, vcc, v9, v21, vcc
	flat_load_ubyte v21, v[22:23]
	s_add_u32 s20, s20, 1
	v_mov_b32_e32 v23, s22
	s_addc_u32 s21, s21, 0
	v_cmp_eq_u32_e32 vcc, s20, v20
	s_waitcnt vmcnt(0) lgkmcnt(0)
	v_and_b32_e32 v22, 0xffff, v21
	v_lshlrev_b64 v[22:23], s18, v[22:23]
	s_add_u32 s18, s18, 8
	s_addc_u32 s19, s19, 0
	v_or_b32_e32 v19, v23, v19
	s_or_b64 s[16:17], vcc, s[16:17]
	v_or_b32_e32 v18, v22, v18
	s_andn2_b64 exec, exec, s[16:17]
	s_cbranch_execnz .LBB1_38
; %bb.39:                               ;   in Loop: Header=BB1_3 Depth=1
	s_or_b64 exec, exec, s[16:17]
.LBB1_40:                               ;   in Loop: Header=BB1_3 Depth=1
	s_or_b64 exec, exec, s[14:15]
	s_mov_b32 s14, 0
                                        ; implicit-def: $vgpr20
.LBB1_41:                               ;   in Loop: Header=BB1_3 Depth=1
	s_or_saveexec_b64 s[4:5], s[4:5]
	v_mov_b32_e32 v22, s14
	s_xor_b64 exec, exec, s[4:5]
	s_cbranch_execz .LBB1_43
; %bb.42:                               ;   in Loop: Header=BB1_3 Depth=1
	flat_load_dwordx2 v[18:19], v[8:9]
	v_add_u32_e32 v22, -8, v20
	v_add_co_u32_e32 v8, vcc, 8, v8
	v_addc_co_u32_e32 v9, vcc, 0, v9, vcc
	s_waitcnt vmcnt(0) lgkmcnt(0)
	v_and_b32_e32 v20, 0xff, v19
	v_and_b32_e32 v21, 0xff00, v19
	;; [unrolled: 1-line block ×4, first 2 shown]
	v_or_b32_e32 v20, v20, v21
	v_or3_b32 v18, v18, 0, 0
	v_or3_b32 v19, v20, v23, v19
.LBB1_43:                               ;   in Loop: Header=BB1_3 Depth=1
	s_or_b64 exec, exec, s[4:5]
	v_cmp_gt_u32_e32 vcc, 8, v22
                                        ; implicit-def: $vgpr20_vgpr21
                                        ; implicit-def: $sgpr14
	s_and_saveexec_b64 s[4:5], vcc
	s_xor_b64 s[4:5], exec, s[4:5]
	s_cbranch_execz .LBB1_49
; %bb.44:                               ;   in Loop: Header=BB1_3 Depth=1
	v_cmp_ne_u32_e32 vcc, 0, v22
	v_pk_mov_b32 v[20:21], 0, 0
	s_and_saveexec_b64 s[14:15], vcc
	s_cbranch_execz .LBB1_48
; %bb.45:                               ;   in Loop: Header=BB1_3 Depth=1
	s_mov_b64 s[16:17], 0
	v_pk_mov_b32 v[20:21], 0, 0
	s_mov_b64 s[18:19], 0
	s_mov_b64 s[20:21], 0
.LBB1_46:                               ;   Parent Loop BB1_3 Depth=1
                                        ; =>  This Inner Loop Header: Depth=2
	v_mov_b32_e32 v23, s21
	v_add_co_u32_e32 v24, vcc, s20, v8
	v_addc_co_u32_e32 v25, vcc, v9, v23, vcc
	flat_load_ubyte v23, v[24:25]
	s_add_u32 s20, s20, 1
	v_mov_b32_e32 v25, s22
	s_addc_u32 s21, s21, 0
	v_cmp_eq_u32_e32 vcc, s20, v22
	s_waitcnt vmcnt(0) lgkmcnt(0)
	v_and_b32_e32 v24, 0xffff, v23
	v_lshlrev_b64 v[24:25], s18, v[24:25]
	s_add_u32 s18, s18, 8
	s_addc_u32 s19, s19, 0
	v_or_b32_e32 v21, v25, v21
	s_or_b64 s[16:17], vcc, s[16:17]
	v_or_b32_e32 v20, v24, v20
	s_andn2_b64 exec, exec, s[16:17]
	s_cbranch_execnz .LBB1_46
; %bb.47:                               ;   in Loop: Header=BB1_3 Depth=1
	s_or_b64 exec, exec, s[16:17]
.LBB1_48:                               ;   in Loop: Header=BB1_3 Depth=1
	s_or_b64 exec, exec, s[14:15]
	s_mov_b32 s14, 0
                                        ; implicit-def: $vgpr22
.LBB1_49:                               ;   in Loop: Header=BB1_3 Depth=1
	s_or_saveexec_b64 s[4:5], s[4:5]
	v_mov_b32_e32 v24, s14
	s_xor_b64 exec, exec, s[4:5]
	s_cbranch_execz .LBB1_51
; %bb.50:                               ;   in Loop: Header=BB1_3 Depth=1
	flat_load_dwordx2 v[20:21], v[8:9]
	v_add_u32_e32 v24, -8, v22
	v_add_co_u32_e32 v8, vcc, 8, v8
	v_addc_co_u32_e32 v9, vcc, 0, v9, vcc
	s_waitcnt vmcnt(0) lgkmcnt(0)
	v_and_b32_e32 v22, 0xff, v21
	v_and_b32_e32 v23, 0xff00, v21
	;; [unrolled: 1-line block ×4, first 2 shown]
	v_or_b32_e32 v22, v22, v23
	v_or3_b32 v20, v20, 0, 0
	v_or3_b32 v21, v22, v25, v21
.LBB1_51:                               ;   in Loop: Header=BB1_3 Depth=1
	s_or_b64 exec, exec, s[4:5]
	v_cmp_gt_u32_e32 vcc, 8, v24
	s_and_saveexec_b64 s[4:5], vcc
	s_xor_b64 s[4:5], exec, s[4:5]
	s_cbranch_execz .LBB1_57
; %bb.52:                               ;   in Loop: Header=BB1_3 Depth=1
	v_cmp_ne_u32_e32 vcc, 0, v24
	v_pk_mov_b32 v[22:23], 0, 0
	s_and_saveexec_b64 s[14:15], vcc
	s_cbranch_execz .LBB1_56
; %bb.53:                               ;   in Loop: Header=BB1_3 Depth=1
	s_mov_b64 s[16:17], 0
	v_pk_mov_b32 v[22:23], 0, 0
	s_mov_b64 s[18:19], 0
.LBB1_54:                               ;   Parent Loop BB1_3 Depth=1
                                        ; =>  This Inner Loop Header: Depth=2
	flat_load_ubyte v25, v[8:9]
	v_mov_b32_e32 v27, s22
	v_add_co_u32_e32 v8, vcc, 1, v8
	v_add_u32_e32 v24, -1, v24
	v_addc_co_u32_e32 v9, vcc, 0, v9, vcc
	v_cmp_eq_u32_e32 vcc, 0, v24
	s_waitcnt vmcnt(0) lgkmcnt(0)
	v_and_b32_e32 v26, 0xffff, v25
	v_lshlrev_b64 v[26:27], s18, v[26:27]
	s_add_u32 s18, s18, 8
	s_addc_u32 s19, s19, 0
	v_or_b32_e32 v23, v27, v23
	s_or_b64 s[16:17], vcc, s[16:17]
	v_or_b32_e32 v22, v26, v22
	s_andn2_b64 exec, exec, s[16:17]
	s_cbranch_execnz .LBB1_54
; %bb.55:                               ;   in Loop: Header=BB1_3 Depth=1
	s_or_b64 exec, exec, s[16:17]
.LBB1_56:                               ;   in Loop: Header=BB1_3 Depth=1
	s_or_b64 exec, exec, s[14:15]
                                        ; implicit-def: $vgpr8_vgpr9
.LBB1_57:                               ;   in Loop: Header=BB1_3 Depth=1
	s_andn2_saveexec_b64 s[4:5], s[4:5]
	s_cbranch_execz .LBB1_59
; %bb.58:                               ;   in Loop: Header=BB1_3 Depth=1
	flat_load_dwordx2 v[8:9], v[8:9]
	s_waitcnt vmcnt(0) lgkmcnt(0)
	v_and_b32_e32 v22, 0xff, v9
	v_and_b32_e32 v23, 0xff00, v9
	;; [unrolled: 1-line block ×4, first 2 shown]
	v_or_b32_e32 v22, v22, v23
	v_or3_b32 v23, v22, v24, v9
	v_or3_b32 v22, v8, 0, 0
.LBB1_59:                               ;   in Loop: Header=BB1_3 Depth=1
	s_or_b64 exec, exec, s[4:5]
	v_readfirstlane_b32 s4, v32
	v_cmp_eq_u32_e64 s[4:5], s4, v32
	v_pk_mov_b32 v[8:9], 0, 0
	s_and_saveexec_b64 s[14:15], s[4:5]
	s_cbranch_execz .LBB1_65
; %bb.60:                               ;   in Loop: Header=BB1_3 Depth=1
	s_waitcnt lgkmcnt(0)
	global_load_dwordx2 v[26:27], v31, s[12:13] offset:24 glc
	s_waitcnt vmcnt(0)
	buffer_invl2
	buffer_wbinvl1_vol
	global_load_dwordx2 v[8:9], v31, s[12:13] offset:40
	global_load_dwordx2 v[24:25], v31, s[12:13]
	s_waitcnt vmcnt(1)
	v_and_b32_e32 v8, v8, v26
	v_and_b32_e32 v9, v9, v27
	v_mul_lo_u32 v9, v9, 24
	v_mul_hi_u32 v29, v8, 24
	v_mul_lo_u32 v8, v8, 24
	v_add_u32_e32 v9, v29, v9
	s_waitcnt vmcnt(0)
	v_add_co_u32_e32 v8, vcc, v24, v8
	v_addc_co_u32_e32 v9, vcc, v25, v9, vcc
	global_load_dwordx2 v[24:25], v[8:9], off glc
	s_waitcnt vmcnt(0)
	global_atomic_cmpswap_x2 v[8:9], v31, v[24:27], s[12:13] offset:24 glc
	s_waitcnt vmcnt(0)
	buffer_invl2
	buffer_wbinvl1_vol
	v_cmp_ne_u64_e32 vcc, v[8:9], v[26:27]
	s_and_saveexec_b64 s[16:17], vcc
	s_cbranch_execz .LBB1_64
; %bb.61:                               ;   in Loop: Header=BB1_3 Depth=1
	s_mov_b64 s[18:19], 0
.LBB1_62:                               ;   Parent Loop BB1_3 Depth=1
                                        ; =>  This Inner Loop Header: Depth=2
	s_sleep 1
	global_load_dwordx2 v[24:25], v31, s[12:13] offset:40
	global_load_dwordx2 v[36:37], v31, s[12:13]
	v_pk_mov_b32 v[26:27], v[8:9], v[8:9] op_sel:[0,1]
	s_waitcnt vmcnt(1)
	v_and_b32_e32 v8, v24, v26
	s_waitcnt vmcnt(0)
	v_mad_u64_u32 v[8:9], s[20:21], v8, 24, v[36:37]
	v_and_b32_e32 v25, v25, v27
	v_mov_b32_e32 v24, v9
	v_mad_u64_u32 v[24:25], s[20:21], v25, 24, v[24:25]
	v_mov_b32_e32 v9, v24
	global_load_dwordx2 v[24:25], v[8:9], off glc
	s_waitcnt vmcnt(0)
	global_atomic_cmpswap_x2 v[8:9], v31, v[24:27], s[12:13] offset:24 glc
	s_waitcnt vmcnt(0)
	buffer_invl2
	buffer_wbinvl1_vol
	v_cmp_eq_u64_e32 vcc, v[8:9], v[26:27]
	s_or_b64 s[18:19], vcc, s[18:19]
	s_andn2_b64 exec, exec, s[18:19]
	s_cbranch_execnz .LBB1_62
; %bb.63:                               ;   in Loop: Header=BB1_3 Depth=1
	s_or_b64 exec, exec, s[18:19]
.LBB1_64:                               ;   in Loop: Header=BB1_3 Depth=1
	s_or_b64 exec, exec, s[16:17]
.LBB1_65:                               ;   in Loop: Header=BB1_3 Depth=1
	s_or_b64 exec, exec, s[14:15]
	s_waitcnt lgkmcnt(0)
	global_load_dwordx2 v[36:37], v31, s[12:13] offset:40
	global_load_dwordx4 v[24:27], v31, s[12:13]
	v_readfirstlane_b32 s14, v8
	v_readfirstlane_b32 s15, v9
	s_mov_b64 s[16:17], exec
	s_waitcnt vmcnt(1)
	v_readfirstlane_b32 s18, v36
	v_readfirstlane_b32 s19, v37
	s_and_b64 s[18:19], s[14:15], s[18:19]
	s_mul_i32 s20, s19, 24
	s_mul_hi_u32 s21, s18, 24
	s_mul_i32 s24, s18, 24
	s_add_i32 s20, s21, s20
	v_mov_b32_e32 v8, s20
	s_waitcnt vmcnt(0)
	v_add_co_u32_e32 v36, vcc, s24, v24
	v_addc_co_u32_e32 v37, vcc, v25, v8, vcc
	s_and_saveexec_b64 s[20:21], s[4:5]
	s_cbranch_execz .LBB1_67
; %bb.66:                               ;   in Loop: Header=BB1_3 Depth=1
	v_pk_mov_b32 v[8:9], s[16:17], s[16:17] op_sel:[0,1]
	global_store_dwordx4 v[36:37], v[8:11], off offset:8
.LBB1_67:                               ;   in Loop: Header=BB1_3 Depth=1
	s_or_b64 exec, exec, s[20:21]
	s_lshl_b64 s[16:17], s[18:19], 12
	v_mov_b32_e32 v9, s17
	v_add_co_u32_e32 v8, vcc, s16, v26
	v_addc_co_u32_e32 v9, vcc, v27, v9, vcc
	v_or_b32_e32 v26, 0, v1
	v_cmp_lt_u64_e32 vcc, 56, v[4:5]
	v_or_b32_e32 v27, v0, v28
	v_cndmask_b32_e32 v1, v26, v1, vcc
	v_lshl_add_u32 v26, v34, 2, 28
	v_cndmask_b32_e32 v0, v27, v0, vcc
	v_and_b32_e32 v26, 0x1e0, v26
	v_and_or_b32 v0, v0, s23, v26
	v_lshlrev_b32_e32 v26, 6, v32
	v_readfirstlane_b32 s16, v8
	v_readfirstlane_b32 s17, v9
	s_nop 4
	global_store_dwordx4 v26, v[0:3], s[16:17]
	global_store_dwordx4 v26, v[12:15], s[16:17] offset:16
	global_store_dwordx4 v26, v[16:19], s[16:17] offset:32
	global_store_dwordx4 v26, v[20:23], s[16:17] offset:48
	s_and_saveexec_b64 s[16:17], s[4:5]
	s_cbranch_execz .LBB1_75
; %bb.68:                               ;   in Loop: Header=BB1_3 Depth=1
	global_load_dwordx2 v[16:17], v31, s[12:13] offset:32 glc
	global_load_dwordx2 v[0:1], v31, s[12:13] offset:40
	v_mov_b32_e32 v14, s14
	v_mov_b32_e32 v15, s15
	s_waitcnt vmcnt(0)
	v_readfirstlane_b32 s18, v0
	v_readfirstlane_b32 s19, v1
	s_and_b64 s[18:19], s[18:19], s[14:15]
	s_mul_i32 s19, s19, 24
	s_mul_hi_u32 s20, s18, 24
	s_mul_i32 s18, s18, 24
	s_add_i32 s19, s20, s19
	v_mov_b32_e32 v0, s19
	v_add_co_u32_e32 v12, vcc, s18, v24
	v_addc_co_u32_e32 v13, vcc, v25, v0, vcc
	global_store_dwordx2 v[12:13], v[16:17], off
	buffer_wbl2
	s_waitcnt vmcnt(0)
	global_atomic_cmpswap_x2 v[2:3], v31, v[14:17], s[12:13] offset:32 glc
	s_waitcnt vmcnt(0)
	v_cmp_ne_u64_e32 vcc, v[2:3], v[16:17]
	s_and_saveexec_b64 s[18:19], vcc
	s_cbranch_execz .LBB1_71
; %bb.69:                               ;   in Loop: Header=BB1_3 Depth=1
	s_mov_b64 s[20:21], 0
.LBB1_70:                               ;   Parent Loop BB1_3 Depth=1
                                        ; =>  This Inner Loop Header: Depth=2
	s_sleep 1
	global_store_dwordx2 v[12:13], v[2:3], off
	v_mov_b32_e32 v0, s14
	v_mov_b32_e32 v1, s15
	buffer_wbl2
	s_waitcnt vmcnt(0)
	global_atomic_cmpswap_x2 v[0:1], v31, v[0:3], s[12:13] offset:32 glc
	s_waitcnt vmcnt(0)
	v_cmp_eq_u64_e32 vcc, v[0:1], v[2:3]
	s_or_b64 s[20:21], vcc, s[20:21]
	v_pk_mov_b32 v[2:3], v[0:1], v[0:1] op_sel:[0,1]
	s_andn2_b64 exec, exec, s[20:21]
	s_cbranch_execnz .LBB1_70
.LBB1_71:                               ;   in Loop: Header=BB1_3 Depth=1
	s_or_b64 exec, exec, s[18:19]
	global_load_dwordx2 v[0:1], v31, s[12:13] offset:16
	s_mov_b64 s[20:21], exec
	v_mbcnt_lo_u32_b32 v2, s20, 0
	v_mbcnt_hi_u32_b32 v2, s21, v2
	v_cmp_eq_u32_e32 vcc, 0, v2
	s_and_saveexec_b64 s[18:19], vcc
	s_cbranch_execz .LBB1_73
; %bb.72:                               ;   in Loop: Header=BB1_3 Depth=1
	s_bcnt1_i32_b64 s20, s[20:21]
	v_mov_b32_e32 v30, s20
	buffer_wbl2
	s_waitcnt vmcnt(0)
	global_atomic_add_x2 v[0:1], v[30:31], off offset:8
.LBB1_73:                               ;   in Loop: Header=BB1_3 Depth=1
	s_or_b64 exec, exec, s[18:19]
	s_waitcnt vmcnt(0)
	global_load_dwordx2 v[2:3], v[0:1], off offset:16
	s_waitcnt vmcnt(0)
	v_cmp_eq_u64_e32 vcc, 0, v[2:3]
	s_cbranch_vccnz .LBB1_75
; %bb.74:                               ;   in Loop: Header=BB1_3 Depth=1
	global_load_dword v30, v[0:1], off offset:24
	s_waitcnt vmcnt(0)
	v_and_b32_e32 v0, 0xffffff, v30
	v_readfirstlane_b32 m0, v0
	buffer_wbl2
	global_store_dwordx2 v[2:3], v[30:31], off
	s_sendmsg sendmsg(MSG_INTERRUPT)
.LBB1_75:                               ;   in Loop: Header=BB1_3 Depth=1
	s_or_b64 exec, exec, s[16:17]
	v_add_co_u32_e32 v0, vcc, v8, v26
	v_addc_co_u32_e32 v1, vcc, 0, v9, vcc
	s_branch .LBB1_79
.LBB1_76:                               ;   in Loop: Header=BB1_79 Depth=2
	s_or_b64 exec, exec, s[16:17]
	v_readfirstlane_b32 s16, v2
	s_cmp_eq_u32 s16, 0
	s_cbranch_scc1 .LBB1_78
; %bb.77:                               ;   in Loop: Header=BB1_79 Depth=2
	s_sleep 1
	s_cbranch_execnz .LBB1_79
	s_branch .LBB1_81
.LBB1_78:                               ;   in Loop: Header=BB1_3 Depth=1
	s_branch .LBB1_81
.LBB1_79:                               ;   Parent Loop BB1_3 Depth=1
                                        ; =>  This Inner Loop Header: Depth=2
	v_mov_b32_e32 v2, 1
	s_and_saveexec_b64 s[16:17], s[4:5]
	s_cbranch_execz .LBB1_76
; %bb.80:                               ;   in Loop: Header=BB1_79 Depth=2
	global_load_dword v2, v[36:37], off offset:20 glc
	s_waitcnt vmcnt(0)
	buffer_invl2
	buffer_wbinvl1_vol
	v_and_b32_e32 v2, 1, v2
	s_branch .LBB1_76
.LBB1_81:                               ;   in Loop: Header=BB1_3 Depth=1
	global_load_dwordx4 v[0:3], v[0:1], off
	s_and_saveexec_b64 s[16:17], s[4:5]
	s_cbranch_execz .LBB1_2
; %bb.82:                               ;   in Loop: Header=BB1_3 Depth=1
	global_load_dwordx2 v[2:3], v31, s[12:13] offset:40
	global_load_dwordx2 v[8:9], v31, s[12:13] offset:24 glc
	global_load_dwordx2 v[16:17], v31, s[12:13]
	v_mov_b32_e32 v13, s15
	s_waitcnt vmcnt(2)
	v_add_co_u32_e32 v15, vcc, 1, v2
	v_addc_co_u32_e32 v18, vcc, 0, v3, vcc
	v_add_co_u32_e32 v12, vcc, s14, v15
	v_addc_co_u32_e32 v13, vcc, v18, v13, vcc
	v_cmp_eq_u64_e32 vcc, 0, v[12:13]
	v_cndmask_b32_e32 v13, v13, v18, vcc
	v_cndmask_b32_e32 v12, v12, v15, vcc
	v_and_b32_e32 v3, v13, v3
	v_and_b32_e32 v2, v12, v2
	v_mul_lo_u32 v3, v3, 24
	v_mul_hi_u32 v15, v2, 24
	v_mul_lo_u32 v2, v2, 24
	v_add_u32_e32 v3, v15, v3
	s_waitcnt vmcnt(0)
	v_add_co_u32_e32 v2, vcc, v16, v2
	v_addc_co_u32_e32 v3, vcc, v17, v3, vcc
	v_mov_b32_e32 v14, v8
	global_store_dwordx2 v[2:3], v[8:9], off
	v_mov_b32_e32 v15, v9
	buffer_wbl2
	s_waitcnt vmcnt(0)
	global_atomic_cmpswap_x2 v[14:15], v31, v[12:15], s[12:13] offset:24 glc
	s_waitcnt vmcnt(0)
	v_cmp_ne_u64_e32 vcc, v[14:15], v[8:9]
	s_and_b64 exec, exec, vcc
	s_cbranch_execz .LBB1_2
; %bb.83:                               ;   in Loop: Header=BB1_3 Depth=1
	s_mov_b64 s[4:5], 0
.LBB1_84:                               ;   Parent Loop BB1_3 Depth=1
                                        ; =>  This Inner Loop Header: Depth=2
	s_sleep 1
	global_store_dwordx2 v[2:3], v[14:15], off
	buffer_wbl2
	s_waitcnt vmcnt(0)
	global_atomic_cmpswap_x2 v[8:9], v31, v[12:15], s[12:13] offset:24 glc
	s_waitcnt vmcnt(0)
	v_cmp_eq_u64_e32 vcc, v[8:9], v[14:15]
	s_or_b64 s[4:5], vcc, s[4:5]
	v_pk_mov_b32 v[14:15], v[8:9], v[8:9] op_sel:[0,1]
	s_andn2_b64 exec, exec, s[4:5]
	s_cbranch_execnz .LBB1_84
	s_branch .LBB1_2
.LBB1_85:
	s_or_b64 exec, exec, s[6:7]
                                        ; implicit-def: $vgpr3
                                        ; implicit-def: $vgpr2
.LBB1_86:
	s_andn2_saveexec_b64 s[6:7], s[10:11]
	s_cbranch_execz .LBB1_109
; %bb.87:
	s_load_dwordx2 s[8:9], s[8:9], 0x50
	s_waitcnt vmcnt(0)
	v_mbcnt_hi_u32_b32 v10, -1, v2
	v_readfirstlane_b32 s4, v10
	v_cmp_eq_u32_e64 s[4:5], s4, v10
	v_pk_mov_b32 v[8:9], 0, 0
	s_and_saveexec_b64 s[10:11], s[4:5]
	s_cbranch_execz .LBB1_93
; %bb.88:
	v_mov_b32_e32 v0, 0
	s_waitcnt lgkmcnt(0)
	global_load_dwordx2 v[6:7], v0, s[8:9] offset:24 glc
	s_waitcnt vmcnt(0)
	buffer_invl2
	buffer_wbinvl1_vol
	global_load_dwordx2 v[4:5], v0, s[8:9] offset:40
	global_load_dwordx2 v[8:9], v0, s[8:9]
	s_waitcnt vmcnt(1)
	v_and_b32_e32 v2, v4, v6
	v_and_b32_e32 v4, v5, v7
	v_mul_lo_u32 v4, v4, 24
	v_mul_hi_u32 v5, v2, 24
	v_mul_lo_u32 v2, v2, 24
	v_add_u32_e32 v5, v5, v4
	s_waitcnt vmcnt(0)
	v_add_co_u32_e32 v4, vcc, v8, v2
	v_addc_co_u32_e32 v5, vcc, v9, v5, vcc
	global_load_dwordx2 v[4:5], v[4:5], off glc
	s_waitcnt vmcnt(0)
	global_atomic_cmpswap_x2 v[8:9], v0, v[4:7], s[8:9] offset:24 glc
	s_waitcnt vmcnt(0)
	buffer_invl2
	buffer_wbinvl1_vol
	v_cmp_ne_u64_e32 vcc, v[8:9], v[6:7]
	s_and_saveexec_b64 s[12:13], vcc
	s_cbranch_execz .LBB1_92
; %bb.89:
	s_mov_b64 s[14:15], 0
.LBB1_90:                               ; =>This Inner Loop Header: Depth=1
	s_sleep 1
	global_load_dwordx2 v[4:5], v0, s[8:9] offset:40
	global_load_dwordx2 v[12:13], v0, s[8:9]
	v_pk_mov_b32 v[6:7], v[8:9], v[8:9] op_sel:[0,1]
	s_waitcnt vmcnt(1)
	v_and_b32_e32 v2, v4, v6
	v_and_b32_e32 v8, v5, v7
	s_waitcnt vmcnt(0)
	v_mad_u64_u32 v[4:5], s[16:17], v2, 24, v[12:13]
	v_mov_b32_e32 v2, v5
	v_mad_u64_u32 v[8:9], s[16:17], v8, 24, v[2:3]
	v_mov_b32_e32 v5, v8
	global_load_dwordx2 v[4:5], v[4:5], off glc
	s_waitcnt vmcnt(0)
	global_atomic_cmpswap_x2 v[8:9], v0, v[4:7], s[8:9] offset:24 glc
	s_waitcnt vmcnt(0)
	buffer_invl2
	buffer_wbinvl1_vol
	v_cmp_eq_u64_e32 vcc, v[8:9], v[6:7]
	s_or_b64 s[14:15], vcc, s[14:15]
	s_andn2_b64 exec, exec, s[14:15]
	s_cbranch_execnz .LBB1_90
; %bb.91:
	s_or_b64 exec, exec, s[14:15]
.LBB1_92:
	s_or_b64 exec, exec, s[12:13]
.LBB1_93:
	s_or_b64 exec, exec, s[10:11]
	v_mov_b32_e32 v2, 0
	s_waitcnt lgkmcnt(0)
	global_load_dwordx2 v[12:13], v2, s[8:9] offset:40
	global_load_dwordx4 v[4:7], v2, s[8:9]
	v_readfirstlane_b32 s10, v8
	v_readfirstlane_b32 s11, v9
	s_mov_b64 s[12:13], exec
	s_waitcnt vmcnt(1)
	v_readfirstlane_b32 s14, v12
	v_readfirstlane_b32 s15, v13
	s_and_b64 s[14:15], s[10:11], s[14:15]
	s_mul_i32 s16, s15, 24
	s_mul_hi_u32 s17, s14, 24
	s_mul_i32 s18, s14, 24
	s_add_i32 s16, s17, s16
	v_mov_b32_e32 v0, s16
	s_waitcnt vmcnt(0)
	v_add_co_u32_e32 v8, vcc, s18, v4
	v_addc_co_u32_e32 v9, vcc, v5, v0, vcc
	s_and_saveexec_b64 s[16:17], s[4:5]
	s_cbranch_execz .LBB1_95
; %bb.94:
	v_pk_mov_b32 v[12:13], s[12:13], s[12:13] op_sel:[0,1]
	v_mov_b32_e32 v14, 2
	v_mov_b32_e32 v15, 1
	global_store_dwordx4 v[8:9], v[12:15], off offset:8
.LBB1_95:
	s_or_b64 exec, exec, s[16:17]
	s_lshl_b64 s[12:13], s[14:15], 12
	v_mov_b32_e32 v0, s13
	v_add_co_u32_e32 v12, vcc, s12, v6
	s_movk_i32 s12, 0xff1f
	v_addc_co_u32_e32 v11, vcc, v7, v0, vcc
	v_and_or_b32 v0, v3, s12, 32
	s_mov_b32 s12, 0
	v_lshlrev_b32_e32 v10, 6, v10
	v_mov_b32_e32 v3, v2
	v_readfirstlane_b32 s16, v12
	v_readfirstlane_b32 s17, v11
	s_mov_b32 s13, s12
	v_add_co_u32_e32 v6, vcc, v12, v10
	s_mov_b32 s14, s12
	s_mov_b32 s15, s12
	s_nop 0
	global_store_dwordx4 v10, v[0:3], s[16:17]
	v_addc_co_u32_e32 v7, vcc, 0, v11, vcc
	v_pk_mov_b32 v[0:1], s[12:13], s[12:13] op_sel:[0,1]
	v_pk_mov_b32 v[2:3], s[14:15], s[14:15] op_sel:[0,1]
	global_store_dwordx4 v10, v[0:3], s[16:17] offset:16
	global_store_dwordx4 v10, v[0:3], s[16:17] offset:32
	;; [unrolled: 1-line block ×3, first 2 shown]
	s_and_saveexec_b64 s[12:13], s[4:5]
	s_cbranch_execz .LBB1_103
; %bb.96:
	v_mov_b32_e32 v10, 0
	global_load_dwordx2 v[14:15], v10, s[8:9] offset:32 glc
	global_load_dwordx2 v[0:1], v10, s[8:9] offset:40
	v_mov_b32_e32 v12, s10
	v_mov_b32_e32 v13, s11
	s_waitcnt vmcnt(0)
	v_and_b32_e32 v0, s10, v0
	v_and_b32_e32 v1, s11, v1
	v_mul_lo_u32 v1, v1, 24
	v_mul_hi_u32 v2, v0, 24
	v_mul_lo_u32 v0, v0, 24
	v_add_u32_e32 v1, v2, v1
	v_add_co_u32_e32 v4, vcc, v4, v0
	v_addc_co_u32_e32 v5, vcc, v5, v1, vcc
	global_store_dwordx2 v[4:5], v[14:15], off
	buffer_wbl2
	s_waitcnt vmcnt(0)
	global_atomic_cmpswap_x2 v[2:3], v10, v[12:15], s[8:9] offset:32 glc
	s_waitcnt vmcnt(0)
	v_cmp_ne_u64_e32 vcc, v[2:3], v[14:15]
	s_and_saveexec_b64 s[14:15], vcc
	s_cbranch_execz .LBB1_99
; %bb.97:
	s_mov_b64 s[16:17], 0
.LBB1_98:                               ; =>This Inner Loop Header: Depth=1
	s_sleep 1
	global_store_dwordx2 v[4:5], v[2:3], off
	v_mov_b32_e32 v0, s10
	v_mov_b32_e32 v1, s11
	buffer_wbl2
	s_waitcnt vmcnt(0)
	global_atomic_cmpswap_x2 v[0:1], v10, v[0:3], s[8:9] offset:32 glc
	s_waitcnt vmcnt(0)
	v_cmp_eq_u64_e32 vcc, v[0:1], v[2:3]
	s_or_b64 s[16:17], vcc, s[16:17]
	v_pk_mov_b32 v[2:3], v[0:1], v[0:1] op_sel:[0,1]
	s_andn2_b64 exec, exec, s[16:17]
	s_cbranch_execnz .LBB1_98
.LBB1_99:
	s_or_b64 exec, exec, s[14:15]
	v_mov_b32_e32 v3, 0
	global_load_dwordx2 v[0:1], v3, s[8:9] offset:16
	s_mov_b64 s[14:15], exec
	v_mbcnt_lo_u32_b32 v2, s14, 0
	v_mbcnt_hi_u32_b32 v2, s15, v2
	v_cmp_eq_u32_e32 vcc, 0, v2
	s_and_saveexec_b64 s[16:17], vcc
	s_cbranch_execz .LBB1_101
; %bb.100:
	s_bcnt1_i32_b64 s14, s[14:15]
	v_mov_b32_e32 v2, s14
	buffer_wbl2
	s_waitcnt vmcnt(0)
	global_atomic_add_x2 v[0:1], v[2:3], off offset:8
.LBB1_101:
	s_or_b64 exec, exec, s[16:17]
	s_waitcnt vmcnt(0)
	global_load_dwordx2 v[2:3], v[0:1], off offset:16
	s_waitcnt vmcnt(0)
	v_cmp_eq_u64_e32 vcc, 0, v[2:3]
	s_cbranch_vccnz .LBB1_103
; %bb.102:
	global_load_dword v0, v[0:1], off offset:24
	v_mov_b32_e32 v1, 0
	buffer_wbl2
	s_waitcnt vmcnt(0)
	global_store_dwordx2 v[2:3], v[0:1], off
	v_and_b32_e32 v0, 0xffffff, v0
	v_readfirstlane_b32 m0, v0
	s_sendmsg sendmsg(MSG_INTERRUPT)
.LBB1_103:
	s_or_b64 exec, exec, s[12:13]
	s_branch .LBB1_107
.LBB1_104:                              ;   in Loop: Header=BB1_107 Depth=1
	s_or_b64 exec, exec, s[12:13]
	v_readfirstlane_b32 s12, v0
	s_cmp_eq_u32 s12, 0
	s_cbranch_scc1 .LBB1_106
; %bb.105:                              ;   in Loop: Header=BB1_107 Depth=1
	s_sleep 1
	s_cbranch_execnz .LBB1_107
	s_branch .LBB1_110
.LBB1_106:
	s_branch .LBB1_110
.LBB1_107:                              ; =>This Inner Loop Header: Depth=1
	v_mov_b32_e32 v0, 1
	s_and_saveexec_b64 s[12:13], s[4:5]
	s_cbranch_execz .LBB1_104
; %bb.108:                              ;   in Loop: Header=BB1_107 Depth=1
	global_load_dword v0, v[8:9], off offset:20 glc
	s_waitcnt vmcnt(0)
	buffer_invl2
	buffer_wbinvl1_vol
	v_and_b32_e32 v0, 1, v0
	s_branch .LBB1_104
.LBB1_109:
	s_or_b64 exec, exec, s[6:7]
	s_waitcnt vmcnt(0) lgkmcnt(0)
	s_setpc_b64 s[30:31]
.LBB1_110:
	global_load_dwordx2 v[0:1], v[6:7], off
	s_and_saveexec_b64 s[12:13], s[4:5]
	s_cbranch_execz .LBB1_113
; %bb.111:
	v_mov_b32_e32 v8, 0
	global_load_dwordx2 v[6:7], v8, s[8:9] offset:40
	global_load_dwordx2 v[10:11], v8, s[8:9] offset:24 glc
	global_load_dwordx2 v[12:13], v8, s[8:9]
	v_mov_b32_e32 v3, s11
	s_mov_b64 s[4:5], 0
	s_waitcnt vmcnt(2)
	v_add_co_u32_e32 v5, vcc, 1, v6
	v_addc_co_u32_e32 v9, vcc, 0, v7, vcc
	v_add_co_u32_e32 v2, vcc, s10, v5
	v_addc_co_u32_e32 v3, vcc, v9, v3, vcc
	v_cmp_eq_u64_e32 vcc, 0, v[2:3]
	v_cndmask_b32_e32 v3, v3, v9, vcc
	v_cndmask_b32_e32 v2, v2, v5, vcc
	v_and_b32_e32 v5, v3, v7
	v_and_b32_e32 v6, v2, v6
	v_mul_lo_u32 v5, v5, 24
	v_mul_hi_u32 v7, v6, 24
	v_mul_lo_u32 v6, v6, 24
	v_add_u32_e32 v5, v7, v5
	s_waitcnt vmcnt(0)
	v_add_co_u32_e32 v6, vcc, v12, v6
	v_addc_co_u32_e32 v7, vcc, v13, v5, vcc
	v_mov_b32_e32 v4, v10
	global_store_dwordx2 v[6:7], v[10:11], off
	v_mov_b32_e32 v5, v11
	buffer_wbl2
	s_waitcnt vmcnt(0)
	global_atomic_cmpswap_x2 v[4:5], v8, v[2:5], s[8:9] offset:24 glc
	s_waitcnt vmcnt(0)
	v_cmp_ne_u64_e32 vcc, v[4:5], v[10:11]
	s_and_b64 exec, exec, vcc
	s_cbranch_execz .LBB1_113
.LBB1_112:                              ; =>This Inner Loop Header: Depth=1
	s_sleep 1
	global_store_dwordx2 v[6:7], v[4:5], off
	buffer_wbl2
	s_waitcnt vmcnt(0)
	global_atomic_cmpswap_x2 v[10:11], v8, v[2:5], s[8:9] offset:24 glc
	s_waitcnt vmcnt(0)
	v_cmp_eq_u64_e32 vcc, v[10:11], v[4:5]
	s_or_b64 s[4:5], vcc, s[4:5]
	v_pk_mov_b32 v[4:5], v[10:11], v[10:11] op_sel:[0,1]
	s_andn2_b64 exec, exec, s[4:5]
	s_cbranch_execnz .LBB1_112
.LBB1_113:
	s_or_b64 exec, exec, s[12:13]
	s_or_b64 exec, exec, s[6:7]
	s_waitcnt vmcnt(0) lgkmcnt(0)
	s_setpc_b64 s[30:31]
.Lfunc_end1:
	.size	__ockl_printf_append_string_n, .Lfunc_end1-__ockl_printf_append_string_n
                                        ; -- End function
	.section	.AMDGPU.csdata,"",@progbits
; Function info:
; codeLenInByte = 4376
; NumSgprs: 36
; NumVgprs: 38
; NumAgprs: 0
; TotalNumVgprs: 38
; ScratchSize: 0
; MemoryBound: 0
	.text
	.p2align	2                               ; -- Begin function __ockl_printf_append_args
	.type	__ockl_printf_append_args,@function
__ockl_printf_append_args:              ; @__ockl_printf_append_args
; %bb.0:
	s_waitcnt vmcnt(0) expcnt(0) lgkmcnt(0)
	s_load_dwordx2 s[6:7], s[8:9], 0x50
	v_mbcnt_lo_u32_b32 v5, -1, 0
	v_mbcnt_hi_u32_b32 v5, -1, v5
	v_readfirstlane_b32 s4, v5
	v_cmp_eq_u32_e64 s[4:5], s4, v5
	v_pk_mov_b32 v[10:11], 0, 0
	s_and_saveexec_b64 s[8:9], s[4:5]
	s_cbranch_execz .LBB2_6
; %bb.1:
	v_mov_b32_e32 v6, 0
	s_waitcnt lgkmcnt(0)
	global_load_dwordx2 v[12:13], v6, s[6:7] offset:24 glc
	s_waitcnt vmcnt(0)
	buffer_invl2
	buffer_wbinvl1_vol
	global_load_dwordx2 v[8:9], v6, s[6:7] offset:40
	global_load_dwordx2 v[10:11], v6, s[6:7]
	s_waitcnt vmcnt(1)
	v_and_b32_e32 v7, v8, v12
	v_and_b32_e32 v8, v9, v13
	v_mul_lo_u32 v8, v8, 24
	v_mul_hi_u32 v9, v7, 24
	v_mul_lo_u32 v7, v7, 24
	v_add_u32_e32 v9, v9, v8
	s_waitcnt vmcnt(0)
	v_add_co_u32_e32 v8, vcc, v10, v7
	v_addc_co_u32_e32 v9, vcc, v11, v9, vcc
	global_load_dwordx2 v[10:11], v[8:9], off glc
	s_waitcnt vmcnt(0)
	global_atomic_cmpswap_x2 v[10:11], v6, v[10:13], s[6:7] offset:24 glc
	s_waitcnt vmcnt(0)
	buffer_invl2
	buffer_wbinvl1_vol
	v_cmp_ne_u64_e32 vcc, v[10:11], v[12:13]
	s_and_saveexec_b64 s[10:11], vcc
	s_cbranch_execz .LBB2_5
; %bb.2:
	s_mov_b64 s[12:13], 0
.LBB2_3:                                ; =>This Inner Loop Header: Depth=1
	s_sleep 1
	global_load_dwordx2 v[8:9], v6, s[6:7] offset:40
	global_load_dwordx2 v[14:15], v6, s[6:7]
	v_pk_mov_b32 v[12:13], v[10:11], v[10:11] op_sel:[0,1]
	s_waitcnt vmcnt(1)
	v_and_b32_e32 v8, v8, v12
	v_and_b32_e32 v7, v9, v13
	s_waitcnt vmcnt(0)
	v_mad_u64_u32 v[8:9], s[14:15], v8, 24, v[14:15]
	v_mov_b32_e32 v10, v9
	v_mad_u64_u32 v[10:11], s[14:15], v7, 24, v[10:11]
	v_mov_b32_e32 v9, v10
	global_load_dwordx2 v[10:11], v[8:9], off glc
	s_waitcnt vmcnt(0)
	global_atomic_cmpswap_x2 v[10:11], v6, v[10:13], s[6:7] offset:24 glc
	s_waitcnt vmcnt(0)
	buffer_invl2
	buffer_wbinvl1_vol
	v_cmp_eq_u64_e32 vcc, v[10:11], v[12:13]
	s_or_b64 s[12:13], vcc, s[12:13]
	s_andn2_b64 exec, exec, s[12:13]
	s_cbranch_execnz .LBB2_3
; %bb.4:
	s_or_b64 exec, exec, s[12:13]
.LBB2_5:
	s_or_b64 exec, exec, s[10:11]
.LBB2_6:
	s_or_b64 exec, exec, s[8:9]
	v_mov_b32_e32 v14, 0
	s_waitcnt lgkmcnt(0)
	global_load_dwordx2 v[12:13], v14, s[6:7] offset:40
	global_load_dwordx4 v[6:9], v14, s[6:7]
	v_readfirstlane_b32 s8, v10
	v_readfirstlane_b32 s9, v11
	s_mov_b64 s[10:11], exec
	s_waitcnt vmcnt(1)
	v_readfirstlane_b32 s12, v12
	v_readfirstlane_b32 s13, v13
	s_and_b64 s[12:13], s[8:9], s[12:13]
	s_mul_i32 s14, s13, 24
	s_mul_hi_u32 s15, s12, 24
	s_mul_i32 s16, s12, 24
	s_add_i32 s14, s15, s14
	v_mov_b32_e32 v11, s14
	s_waitcnt vmcnt(0)
	v_add_co_u32_e32 v10, vcc, s16, v6
	v_addc_co_u32_e32 v11, vcc, v7, v11, vcc
	s_and_saveexec_b64 s[14:15], s[4:5]
	s_cbranch_execz .LBB2_8
; %bb.7:
	v_pk_mov_b32 v[12:13], s[10:11], s[10:11] op_sel:[0,1]
	v_mov_b32_e32 v14, 2
	v_mov_b32_e32 v15, 1
	global_store_dwordx4 v[10:11], v[12:15], off offset:8
.LBB2_8:
	s_or_b64 exec, exec, s[14:15]
	s_lshl_b64 s[10:11], s[12:13], 12
	v_mov_b32_e32 v12, s11
	v_add_co_u32_e32 v8, vcc, s10, v8
	v_addc_co_u32_e32 v9, vcc, v9, v12, vcc
	v_or_b32_e32 v12, 2, v0
	v_cmp_eq_u32_e32 vcc, 0, v4
	s_mov_b32 s12, 0
	v_cndmask_b32_e32 v0, v12, v0, vcc
	s_movk_i32 s10, 0xff1f
	v_and_or_b32 v0, v0, s10, 32
	v_lshlrev_b32_e32 v4, 6, v5
	v_readfirstlane_b32 s10, v8
	v_readfirstlane_b32 s11, v9
	s_mov_b32 s13, s12
	s_mov_b32 s14, s12
	;; [unrolled: 1-line block ×3, first 2 shown]
	s_nop 1
	global_store_dwordx4 v4, v[0:3], s[10:11]
	s_nop 0
	v_pk_mov_b32 v[0:1], s[12:13], s[12:13] op_sel:[0,1]
	v_pk_mov_b32 v[2:3], s[14:15], s[14:15] op_sel:[0,1]
	global_store_dwordx4 v4, v[0:3], s[10:11] offset:16
	global_store_dwordx4 v4, v[0:3], s[10:11] offset:32
	;; [unrolled: 1-line block ×3, first 2 shown]
	s_and_saveexec_b64 s[10:11], s[4:5]
	s_cbranch_execz .LBB2_16
; %bb.9:
	v_mov_b32_e32 v8, 0
	global_load_dwordx2 v[14:15], v8, s[6:7] offset:32 glc
	global_load_dwordx2 v[0:1], v8, s[6:7] offset:40
	v_mov_b32_e32 v12, s8
	v_mov_b32_e32 v13, s9
	s_waitcnt vmcnt(0)
	v_and_b32_e32 v0, s8, v0
	v_and_b32_e32 v1, s9, v1
	v_mul_lo_u32 v1, v1, 24
	v_mul_hi_u32 v2, v0, 24
	v_mul_lo_u32 v0, v0, 24
	v_add_u32_e32 v1, v2, v1
	v_add_co_u32_e32 v4, vcc, v6, v0
	v_addc_co_u32_e32 v5, vcc, v7, v1, vcc
	global_store_dwordx2 v[4:5], v[14:15], off
	buffer_wbl2
	s_waitcnt vmcnt(0)
	global_atomic_cmpswap_x2 v[2:3], v8, v[12:15], s[6:7] offset:32 glc
	s_waitcnt vmcnt(0)
	v_cmp_ne_u64_e32 vcc, v[2:3], v[14:15]
	s_and_saveexec_b64 s[12:13], vcc
	s_cbranch_execz .LBB2_12
; %bb.10:
	s_mov_b64 s[14:15], 0
.LBB2_11:                               ; =>This Inner Loop Header: Depth=1
	s_sleep 1
	global_store_dwordx2 v[4:5], v[2:3], off
	v_mov_b32_e32 v0, s8
	v_mov_b32_e32 v1, s9
	buffer_wbl2
	s_waitcnt vmcnt(0)
	global_atomic_cmpswap_x2 v[0:1], v8, v[0:3], s[6:7] offset:32 glc
	s_waitcnt vmcnt(0)
	v_cmp_eq_u64_e32 vcc, v[0:1], v[2:3]
	s_or_b64 s[14:15], vcc, s[14:15]
	v_pk_mov_b32 v[2:3], v[0:1], v[0:1] op_sel:[0,1]
	s_andn2_b64 exec, exec, s[14:15]
	s_cbranch_execnz .LBB2_11
.LBB2_12:
	s_or_b64 exec, exec, s[12:13]
	v_mov_b32_e32 v3, 0
	global_load_dwordx2 v[0:1], v3, s[6:7] offset:16
	s_mov_b64 s[12:13], exec
	v_mbcnt_lo_u32_b32 v2, s12, 0
	v_mbcnt_hi_u32_b32 v2, s13, v2
	v_cmp_eq_u32_e32 vcc, 0, v2
	s_and_saveexec_b64 s[14:15], vcc
	s_cbranch_execz .LBB2_14
; %bb.13:
	s_bcnt1_i32_b64 s12, s[12:13]
	v_mov_b32_e32 v2, s12
	buffer_wbl2
	s_waitcnt vmcnt(0)
	global_atomic_add_x2 v[0:1], v[2:3], off offset:8
.LBB2_14:
	s_or_b64 exec, exec, s[14:15]
	s_waitcnt vmcnt(0)
	global_load_dwordx2 v[2:3], v[0:1], off offset:16
	s_waitcnt vmcnt(0)
	v_cmp_eq_u64_e32 vcc, 0, v[2:3]
	s_cbranch_vccnz .LBB2_16
; %bb.15:
	global_load_dword v0, v[0:1], off offset:24
	v_mov_b32_e32 v1, 0
	buffer_wbl2
	s_waitcnt vmcnt(0)
	global_store_dwordx2 v[2:3], v[0:1], off
	v_and_b32_e32 v0, 0xffffff, v0
	v_readfirstlane_b32 m0, v0
	s_sendmsg sendmsg(MSG_INTERRUPT)
.LBB2_16:
	s_or_b64 exec, exec, s[10:11]
	s_branch .LBB2_20
.LBB2_17:                               ;   in Loop: Header=BB2_20 Depth=1
	s_or_b64 exec, exec, s[10:11]
	v_readfirstlane_b32 s10, v0
	s_cmp_eq_u32 s10, 0
	s_cbranch_scc1 .LBB2_19
; %bb.18:                               ;   in Loop: Header=BB2_20 Depth=1
	s_sleep 1
	s_cbranch_execnz .LBB2_20
	s_branch .LBB2_22
.LBB2_19:
	s_branch .LBB2_22
.LBB2_20:                               ; =>This Inner Loop Header: Depth=1
	v_mov_b32_e32 v0, 1
	s_and_saveexec_b64 s[10:11], s[4:5]
	s_cbranch_execz .LBB2_17
; %bb.21:                               ;   in Loop: Header=BB2_20 Depth=1
	global_load_dword v0, v[10:11], off offset:20 glc
	s_waitcnt vmcnt(0)
	buffer_invl2
	buffer_wbinvl1_vol
	v_and_b32_e32 v0, 1, v0
	s_branch .LBB2_17
.LBB2_22:
	s_and_saveexec_b64 s[10:11], s[4:5]
	s_cbranch_execz .LBB2_25
; %bb.23:
	v_mov_b32_e32 v6, 0
	global_load_dwordx2 v[4:5], v6, s[6:7] offset:40
	global_load_dwordx2 v[8:9], v6, s[6:7] offset:24 glc
	global_load_dwordx2 v[10:11], v6, s[6:7]
	v_mov_b32_e32 v1, s9
	s_mov_b64 s[4:5], 0
	s_waitcnt vmcnt(2)
	v_add_co_u32_e32 v3, vcc, 1, v4
	v_addc_co_u32_e32 v7, vcc, 0, v5, vcc
	v_add_co_u32_e32 v0, vcc, s8, v3
	v_addc_co_u32_e32 v1, vcc, v7, v1, vcc
	v_cmp_eq_u64_e32 vcc, 0, v[0:1]
	v_cndmask_b32_e32 v1, v1, v7, vcc
	v_cndmask_b32_e32 v0, v0, v3, vcc
	v_and_b32_e32 v3, v1, v5
	v_and_b32_e32 v4, v0, v4
	v_mul_lo_u32 v3, v3, 24
	v_mul_hi_u32 v5, v4, 24
	v_mul_lo_u32 v4, v4, 24
	v_add_u32_e32 v3, v5, v3
	s_waitcnt vmcnt(0)
	v_add_co_u32_e32 v4, vcc, v10, v4
	v_addc_co_u32_e32 v5, vcc, v11, v3, vcc
	v_mov_b32_e32 v2, v8
	global_store_dwordx2 v[4:5], v[8:9], off
	v_mov_b32_e32 v3, v9
	buffer_wbl2
	s_waitcnt vmcnt(0)
	global_atomic_cmpswap_x2 v[2:3], v6, v[0:3], s[6:7] offset:24 glc
	s_waitcnt vmcnt(0)
	v_cmp_ne_u64_e32 vcc, v[2:3], v[8:9]
	s_and_b64 exec, exec, vcc
	s_cbranch_execz .LBB2_25
.LBB2_24:                               ; =>This Inner Loop Header: Depth=1
	s_sleep 1
	global_store_dwordx2 v[4:5], v[2:3], off
	buffer_wbl2
	s_waitcnt vmcnt(0)
	global_atomic_cmpswap_x2 v[8:9], v6, v[0:3], s[6:7] offset:24 glc
	s_waitcnt vmcnt(0)
	v_cmp_eq_u64_e32 vcc, v[8:9], v[2:3]
	s_or_b64 s[4:5], vcc, s[4:5]
	v_pk_mov_b32 v[2:3], v[8:9], v[8:9] op_sel:[0,1]
	s_andn2_b64 exec, exec, s[4:5]
	s_cbranch_execnz .LBB2_24
.LBB2_25:
	s_or_b64 exec, exec, s[10:11]
	s_waitcnt vmcnt(0) lgkmcnt(0)
	s_setpc_b64 s[30:31]
.Lfunc_end2:
	.size	__ockl_printf_append_args, .Lfunc_end2-__ockl_printf_append_args
                                        ; -- End function
	.section	.AMDGPU.csdata,"",@progbits
; Function info:
; codeLenInByte = 1284
; NumSgprs: 36
; NumVgprs: 16
; NumAgprs: 0
; TotalNumVgprs: 16
; ScratchSize: 0
; MemoryBound: 0
	.text
	.p2align	2                               ; -- Begin function _ZL14no_device_codePKciS0_iS0_
	.type	_ZL14no_device_codePKciS0_iS0_,@function
_ZL14no_device_codePKciS0_iS0_:         ; @_ZL14no_device_codePKciS0_iS0_
; %bb.0:
	s_waitcnt vmcnt(0) expcnt(0) lgkmcnt(0)
	s_mov_b32 s25, s33
	s_mov_b32 s33, s32
	s_xor_saveexec_b64 s[4:5], -1
	buffer_store_dword v38, off, s[0:3], s33 ; 4-byte Folded Spill
	s_mov_b64 exec, s[4:5]
	v_writelane_b32 v38, s30, 0
	s_addk_i32 s32, 0x400
	v_writelane_b32 v38, s31, 1
	s_load_dwordx2 s[6:7], s[8:9], 0x50
	v_mbcnt_lo_u32_b32 v0, -1, 0
	v_mbcnt_hi_u32_b32 v35, -1, v0
	v_readfirstlane_b32 s4, v35
	s_mov_b64 s[26:27], s[8:9]
	v_cmp_eq_u32_e64 s[4:5], s4, v35
	v_pk_mov_b32 v[6:7], 0, 0
	s_and_saveexec_b64 s[10:11], s[4:5]
	s_cbranch_execz .LBB3_6
; %bb.1:
	v_mov_b32_e32 v0, 0
	s_waitcnt lgkmcnt(0)
	global_load_dwordx2 v[4:5], v0, s[6:7] offset:24 glc
	s_waitcnt vmcnt(0)
	buffer_invl2
	buffer_wbinvl1_vol
	global_load_dwordx2 v[2:3], v0, s[6:7] offset:40
	global_load_dwordx2 v[6:7], v0, s[6:7]
	s_waitcnt vmcnt(1)
	v_and_b32_e32 v1, v2, v4
	v_and_b32_e32 v2, v3, v5
	v_mul_lo_u32 v2, v2, 24
	v_mul_hi_u32 v3, v1, 24
	v_mul_lo_u32 v1, v1, 24
	v_add_u32_e32 v3, v3, v2
	s_waitcnt vmcnt(0)
	v_add_co_u32_e32 v2, vcc, v6, v1
	v_addc_co_u32_e32 v3, vcc, v7, v3, vcc
	global_load_dwordx2 v[2:3], v[2:3], off glc
	s_waitcnt vmcnt(0)
	global_atomic_cmpswap_x2 v[6:7], v0, v[2:5], s[6:7] offset:24 glc
	s_waitcnt vmcnt(0)
	buffer_invl2
	buffer_wbinvl1_vol
	v_cmp_ne_u64_e32 vcc, v[6:7], v[4:5]
	s_and_saveexec_b64 s[12:13], vcc
	s_cbranch_execz .LBB3_5
; %bb.2:
	s_mov_b64 s[14:15], 0
.LBB3_3:                                ; =>This Inner Loop Header: Depth=1
	s_sleep 1
	global_load_dwordx2 v[2:3], v0, s[6:7] offset:40
	global_load_dwordx2 v[8:9], v0, s[6:7]
	v_pk_mov_b32 v[4:5], v[6:7], v[6:7] op_sel:[0,1]
	s_waitcnt vmcnt(1)
	v_and_b32_e32 v2, v2, v4
	v_and_b32_e32 v1, v3, v5
	s_waitcnt vmcnt(0)
	v_mad_u64_u32 v[2:3], s[16:17], v2, 24, v[8:9]
	v_mov_b32_e32 v6, v3
	v_mad_u64_u32 v[6:7], s[16:17], v1, 24, v[6:7]
	v_mov_b32_e32 v3, v6
	global_load_dwordx2 v[2:3], v[2:3], off glc
	s_waitcnt vmcnt(0)
	global_atomic_cmpswap_x2 v[6:7], v0, v[2:5], s[6:7] offset:24 glc
	s_waitcnt vmcnt(0)
	buffer_invl2
	buffer_wbinvl1_vol
	v_cmp_eq_u64_e32 vcc, v[6:7], v[4:5]
	s_or_b64 s[14:15], vcc, s[14:15]
	s_andn2_b64 exec, exec, s[14:15]
	s_cbranch_execnz .LBB3_3
; %bb.4:
	s_or_b64 exec, exec, s[14:15]
.LBB3_5:
	s_or_b64 exec, exec, s[12:13]
.LBB3_6:
	s_or_b64 exec, exec, s[10:11]
	v_mov_b32_e32 v5, 0
	s_waitcnt lgkmcnt(0)
	global_load_dwordx2 v[8:9], v5, s[6:7] offset:40
	global_load_dwordx4 v[0:3], v5, s[6:7]
	v_readfirstlane_b32 s10, v6
	v_readfirstlane_b32 s11, v7
	s_mov_b64 s[12:13], exec
	s_waitcnt vmcnt(1)
	v_readfirstlane_b32 s14, v8
	v_readfirstlane_b32 s15, v9
	s_and_b64 s[14:15], s[10:11], s[14:15]
	s_mul_i32 s16, s15, 24
	s_mul_hi_u32 s17, s14, 24
	s_mul_i32 s18, s14, 24
	s_add_i32 s16, s17, s16
	v_mov_b32_e32 v4, s16
	s_waitcnt vmcnt(0)
	v_add_co_u32_e32 v8, vcc, s18, v0
	v_addc_co_u32_e32 v9, vcc, v1, v4, vcc
	s_and_saveexec_b64 s[16:17], s[4:5]
	s_cbranch_execz .LBB3_8
; %bb.7:
	v_pk_mov_b32 v[10:11], s[12:13], s[12:13] op_sel:[0,1]
	v_mov_b32_e32 v12, 2
	v_mov_b32_e32 v13, 1
	global_store_dwordx4 v[8:9], v[10:13], off offset:8
.LBB3_8:
	s_or_b64 exec, exec, s[16:17]
	s_lshl_b64 s[12:13], s[14:15], 12
	v_mov_b32_e32 v4, s13
	v_add_co_u32_e32 v2, vcc, s12, v2
	v_addc_co_u32_e32 v3, vcc, v3, v4, vcc
	s_mov_b32 s12, 0
	v_lshlrev_b32_e32 v34, 6, v35
	v_add_co_u32_e32 v10, vcc, v2, v34
	v_mov_b32_e32 v4, 33
	v_mov_b32_e32 v6, v5
	;; [unrolled: 1-line block ×3, first 2 shown]
	v_readfirstlane_b32 s16, v2
	v_readfirstlane_b32 s17, v3
	s_mov_b32 s13, s12
	v_addc_co_u32_e32 v11, vcc, 0, v3, vcc
	s_mov_b32 s14, s12
	s_mov_b32 s15, s12
	s_nop 0
	global_store_dwordx4 v34, v[4:7], s[16:17]
	v_pk_mov_b32 v[2:3], s[12:13], s[12:13] op_sel:[0,1]
	v_pk_mov_b32 v[4:5], s[14:15], s[14:15] op_sel:[0,1]
	global_store_dwordx4 v34, v[2:5], s[16:17] offset:16
	global_store_dwordx4 v34, v[2:5], s[16:17] offset:32
	;; [unrolled: 1-line block ×3, first 2 shown]
	s_and_saveexec_b64 s[12:13], s[4:5]
	s_cbranch_execz .LBB3_16
; %bb.9:
	v_mov_b32_e32 v6, 0
	global_load_dwordx2 v[14:15], v6, s[6:7] offset:32 glc
	global_load_dwordx2 v[2:3], v6, s[6:7] offset:40
	v_mov_b32_e32 v12, s10
	v_mov_b32_e32 v13, s11
	s_waitcnt vmcnt(0)
	v_and_b32_e32 v2, s10, v2
	v_and_b32_e32 v3, s11, v3
	v_mul_lo_u32 v3, v3, 24
	v_mul_hi_u32 v4, v2, 24
	v_mul_lo_u32 v2, v2, 24
	v_add_u32_e32 v3, v4, v3
	v_add_co_u32_e32 v4, vcc, v0, v2
	v_addc_co_u32_e32 v5, vcc, v1, v3, vcc
	global_store_dwordx2 v[4:5], v[14:15], off
	buffer_wbl2
	s_waitcnt vmcnt(0)
	global_atomic_cmpswap_x2 v[2:3], v6, v[12:15], s[6:7] offset:32 glc
	s_waitcnt vmcnt(0)
	v_cmp_ne_u64_e32 vcc, v[2:3], v[14:15]
	s_and_saveexec_b64 s[14:15], vcc
	s_cbranch_execz .LBB3_12
; %bb.10:
	s_mov_b64 s[16:17], 0
.LBB3_11:                               ; =>This Inner Loop Header: Depth=1
	s_sleep 1
	global_store_dwordx2 v[4:5], v[2:3], off
	v_mov_b32_e32 v0, s10
	v_mov_b32_e32 v1, s11
	buffer_wbl2
	s_waitcnt vmcnt(0)
	global_atomic_cmpswap_x2 v[0:1], v6, v[0:3], s[6:7] offset:32 glc
	s_waitcnt vmcnt(0)
	v_cmp_eq_u64_e32 vcc, v[0:1], v[2:3]
	s_or_b64 s[16:17], vcc, s[16:17]
	v_pk_mov_b32 v[2:3], v[0:1], v[0:1] op_sel:[0,1]
	s_andn2_b64 exec, exec, s[16:17]
	s_cbranch_execnz .LBB3_11
.LBB3_12:
	s_or_b64 exec, exec, s[14:15]
	v_mov_b32_e32 v3, 0
	global_load_dwordx2 v[0:1], v3, s[6:7] offset:16
	s_mov_b64 s[14:15], exec
	v_mbcnt_lo_u32_b32 v2, s14, 0
	v_mbcnt_hi_u32_b32 v2, s15, v2
	v_cmp_eq_u32_e32 vcc, 0, v2
	s_and_saveexec_b64 s[16:17], vcc
	s_cbranch_execz .LBB3_14
; %bb.13:
	s_bcnt1_i32_b64 s14, s[14:15]
	v_mov_b32_e32 v2, s14
	buffer_wbl2
	s_waitcnt vmcnt(0)
	global_atomic_add_x2 v[0:1], v[2:3], off offset:8
.LBB3_14:
	s_or_b64 exec, exec, s[16:17]
	s_waitcnt vmcnt(0)
	global_load_dwordx2 v[2:3], v[0:1], off offset:16
	s_waitcnt vmcnt(0)
	v_cmp_eq_u64_e32 vcc, 0, v[2:3]
	s_cbranch_vccnz .LBB3_16
; %bb.15:
	global_load_dword v0, v[0:1], off offset:24
	v_mov_b32_e32 v1, 0
	buffer_wbl2
	s_waitcnt vmcnt(0)
	global_store_dwordx2 v[2:3], v[0:1], off
	v_and_b32_e32 v0, 0xffffff, v0
	v_readfirstlane_b32 m0, v0
	s_sendmsg sendmsg(MSG_INTERRUPT)
.LBB3_16:
	s_or_b64 exec, exec, s[12:13]
	s_branch .LBB3_20
.LBB3_17:                               ;   in Loop: Header=BB3_20 Depth=1
	s_or_b64 exec, exec, s[12:13]
	v_readfirstlane_b32 s12, v0
	s_cmp_eq_u32 s12, 0
	s_cbranch_scc1 .LBB3_19
; %bb.18:                               ;   in Loop: Header=BB3_20 Depth=1
	s_sleep 1
	s_cbranch_execnz .LBB3_20
	s_branch .LBB3_22
.LBB3_19:
	s_branch .LBB3_22
.LBB3_20:                               ; =>This Inner Loop Header: Depth=1
	v_mov_b32_e32 v0, 1
	s_and_saveexec_b64 s[12:13], s[4:5]
	s_cbranch_execz .LBB3_17
; %bb.21:                               ;   in Loop: Header=BB3_20 Depth=1
	global_load_dword v0, v[8:9], off offset:20 glc
	s_waitcnt vmcnt(0)
	buffer_invl2
	buffer_wbinvl1_vol
	v_and_b32_e32 v0, 1, v0
	s_branch .LBB3_17
.LBB3_22:
	global_load_dwordx2 v[4:5], v[10:11], off
	s_and_saveexec_b64 s[12:13], s[4:5]
	s_cbranch_execz .LBB3_25
; %bb.23:
	v_mov_b32_e32 v8, 0
	global_load_dwordx2 v[6:7], v8, s[6:7] offset:40
	global_load_dwordx2 v[10:11], v8, s[6:7] offset:24 glc
	global_load_dwordx2 v[12:13], v8, s[6:7]
	v_mov_b32_e32 v1, s11
	s_mov_b64 s[4:5], 0
	s_waitcnt vmcnt(2)
	v_add_co_u32_e32 v3, vcc, 1, v6
	v_addc_co_u32_e32 v9, vcc, 0, v7, vcc
	v_add_co_u32_e32 v0, vcc, s10, v3
	v_addc_co_u32_e32 v1, vcc, v9, v1, vcc
	v_cmp_eq_u64_e32 vcc, 0, v[0:1]
	v_cndmask_b32_e32 v1, v1, v9, vcc
	v_cndmask_b32_e32 v0, v0, v3, vcc
	v_and_b32_e32 v3, v1, v7
	v_and_b32_e32 v6, v0, v6
	v_mul_lo_u32 v3, v3, 24
	v_mul_hi_u32 v7, v6, 24
	v_mul_lo_u32 v6, v6, 24
	v_add_u32_e32 v3, v7, v3
	s_waitcnt vmcnt(0)
	v_add_co_u32_e32 v6, vcc, v12, v6
	v_addc_co_u32_e32 v7, vcc, v13, v3, vcc
	v_mov_b32_e32 v2, v10
	global_store_dwordx2 v[6:7], v[10:11], off
	v_mov_b32_e32 v3, v11
	buffer_wbl2
	s_waitcnt vmcnt(0)
	global_atomic_cmpswap_x2 v[2:3], v8, v[0:3], s[6:7] offset:24 glc
	s_waitcnt vmcnt(0)
	v_cmp_ne_u64_e32 vcc, v[2:3], v[10:11]
	s_and_b64 exec, exec, vcc
	s_cbranch_execz .LBB3_25
.LBB3_24:                               ; =>This Inner Loop Header: Depth=1
	s_sleep 1
	global_store_dwordx2 v[6:7], v[2:3], off
	buffer_wbl2
	s_waitcnt vmcnt(0)
	global_atomic_cmpswap_x2 v[10:11], v8, v[0:3], s[6:7] offset:24 glc
	s_waitcnt vmcnt(0)
	v_cmp_eq_u64_e32 vcc, v[10:11], v[2:3]
	s_or_b64 s[4:5], vcc, s[4:5]
	v_pk_mov_b32 v[2:3], v[10:11], v[10:11] op_sel:[0,1]
	s_andn2_b64 exec, exec, s[4:5]
	s_cbranch_execnz .LBB3_24
.LBB3_25:
	s_or_b64 exec, exec, s[12:13]
	s_getpc_b64 s[10:11]
	s_add_u32 s10, s10, .str.3@rel32@lo+4
	s_addc_u32 s11, s11, .str.3@rel32@hi+12
	s_cmp_lg_u64 s[10:11], 0
	s_cbranch_scc0 .LBB3_109
; %bb.26:
	s_waitcnt vmcnt(0)
	v_and_b32_e32 v26, 2, v4
	v_mov_b32_e32 v29, 0
	v_and_b32_e32 v0, -3, v4
	v_mov_b32_e32 v1, v5
	s_mov_b64 s[12:13], 0x4d
	v_mov_b32_e32 v8, 2
	v_mov_b32_e32 v9, 1
	s_branch .LBB3_28
.LBB3_27:                               ;   in Loop: Header=BB3_28 Depth=1
	s_or_b64 exec, exec, s[18:19]
	s_sub_u32 s12, s12, s14
	s_subb_u32 s13, s13, s15
	s_add_u32 s10, s10, s14
	s_addc_u32 s11, s11, s15
	s_cmp_lg_u64 s[12:13], 0
	s_cbranch_scc0 .LBB3_110
.LBB3_28:                               ; =>This Loop Header: Depth=1
                                        ;     Child Loop BB3_31 Depth 2
                                        ;     Child Loop BB3_38 Depth 2
	;; [unrolled: 1-line block ×11, first 2 shown]
	v_cmp_lt_u64_e64 s[4:5], s[12:13], 56
	s_and_b64 s[4:5], s[4:5], exec
	v_cmp_gt_u64_e64 s[4:5], s[12:13], 7
	s_cselect_b32 s15, s13, 0
	s_cselect_b32 s14, s12, 56
	s_and_b64 vcc, exec, s[4:5]
	s_cbranch_vccnz .LBB3_33
; %bb.29:                               ;   in Loop: Header=BB3_28 Depth=1
	s_mov_b64 s[4:5], 0
	s_cmp_eq_u64 s[12:13], 0
	s_waitcnt vmcnt(0)
	v_pk_mov_b32 v[2:3], 0, 0
	s_cbranch_scc1 .LBB3_32
; %bb.30:                               ;   in Loop: Header=BB3_28 Depth=1
	s_lshl_b64 s[16:17], s[14:15], 3
	s_mov_b64 s[18:19], 0
	v_pk_mov_b32 v[2:3], 0, 0
	s_mov_b64 s[20:21], s[10:11]
.LBB3_31:                               ;   Parent Loop BB3_28 Depth=1
                                        ; =>  This Inner Loop Header: Depth=2
	global_load_ubyte v6, v29, s[20:21]
	s_waitcnt vmcnt(0)
	v_and_b32_e32 v28, 0xffff, v6
	v_lshlrev_b64 v[6:7], s18, v[28:29]
	s_add_u32 s18, s18, 8
	s_addc_u32 s19, s19, 0
	s_add_u32 s20, s20, 1
	s_addc_u32 s21, s21, 0
	v_or_b32_e32 v2, v6, v2
	s_cmp_lg_u32 s16, s18
	v_or_b32_e32 v3, v7, v3
	s_cbranch_scc1 .LBB3_31
.LBB3_32:                               ;   in Loop: Header=BB3_28 Depth=1
	s_mov_b32 s20, 0
	s_andn2_b64 vcc, exec, s[4:5]
	s_mov_b64 s[4:5], s[10:11]
	s_cbranch_vccz .LBB3_34
	s_branch .LBB3_35
.LBB3_33:                               ;   in Loop: Header=BB3_28 Depth=1
                                        ; implicit-def: $vgpr2_vgpr3
                                        ; implicit-def: $sgpr20
	s_mov_b64 s[4:5], s[10:11]
.LBB3_34:                               ;   in Loop: Header=BB3_28 Depth=1
	global_load_dwordx2 v[2:3], v29, s[10:11]
	s_add_i32 s20, s14, -8
	s_add_u32 s4, s10, 8
	s_addc_u32 s5, s11, 0
.LBB3_35:                               ;   in Loop: Header=BB3_28 Depth=1
	s_cmp_gt_u32 s20, 7
	s_cbranch_scc1 .LBB3_39
; %bb.36:                               ;   in Loop: Header=BB3_28 Depth=1
	s_cmp_eq_u32 s20, 0
	s_cbranch_scc1 .LBB3_40
; %bb.37:                               ;   in Loop: Header=BB3_28 Depth=1
	s_mov_b64 s[16:17], 0
	v_pk_mov_b32 v[10:11], 0, 0
	s_mov_b64 s[18:19], 0
.LBB3_38:                               ;   Parent Loop BB3_28 Depth=1
                                        ; =>  This Inner Loop Header: Depth=2
	s_add_u32 s22, s4, s18
	s_addc_u32 s23, s5, s19
	global_load_ubyte v6, v29, s[22:23]
	s_add_u32 s18, s18, 1
	s_addc_u32 s19, s19, 0
	s_waitcnt vmcnt(0)
	v_and_b32_e32 v28, 0xffff, v6
	v_lshlrev_b64 v[6:7], s16, v[28:29]
	s_add_u32 s16, s16, 8
	s_addc_u32 s17, s17, 0
	v_or_b32_e32 v10, v6, v10
	s_cmp_lg_u32 s20, s18
	v_or_b32_e32 v11, v7, v11
	s_cbranch_scc1 .LBB3_38
	s_branch .LBB3_41
.LBB3_39:                               ;   in Loop: Header=BB3_28 Depth=1
                                        ; implicit-def: $vgpr10_vgpr11
                                        ; implicit-def: $sgpr21
	s_branch .LBB3_42
.LBB3_40:                               ;   in Loop: Header=BB3_28 Depth=1
	v_pk_mov_b32 v[10:11], 0, 0
.LBB3_41:                               ;   in Loop: Header=BB3_28 Depth=1
	s_mov_b32 s21, 0
	s_cbranch_execnz .LBB3_43
.LBB3_42:                               ;   in Loop: Header=BB3_28 Depth=1
	global_load_dwordx2 v[10:11], v29, s[4:5]
	s_add_i32 s21, s20, -8
	s_add_u32 s4, s4, 8
	s_addc_u32 s5, s5, 0
.LBB3_43:                               ;   in Loop: Header=BB3_28 Depth=1
	s_cmp_gt_u32 s21, 7
	s_cbranch_scc1 .LBB3_47
; %bb.44:                               ;   in Loop: Header=BB3_28 Depth=1
	s_cmp_eq_u32 s21, 0
	s_cbranch_scc1 .LBB3_48
; %bb.45:                               ;   in Loop: Header=BB3_28 Depth=1
	s_mov_b64 s[16:17], 0
	v_pk_mov_b32 v[12:13], 0, 0
	s_mov_b64 s[18:19], 0
.LBB3_46:                               ;   Parent Loop BB3_28 Depth=1
                                        ; =>  This Inner Loop Header: Depth=2
	s_add_u32 s22, s4, s18
	s_addc_u32 s23, s5, s19
	global_load_ubyte v6, v29, s[22:23]
	s_add_u32 s18, s18, 1
	s_addc_u32 s19, s19, 0
	s_waitcnt vmcnt(0)
	v_and_b32_e32 v28, 0xffff, v6
	v_lshlrev_b64 v[6:7], s16, v[28:29]
	s_add_u32 s16, s16, 8
	s_addc_u32 s17, s17, 0
	v_or_b32_e32 v12, v6, v12
	s_cmp_lg_u32 s21, s18
	v_or_b32_e32 v13, v7, v13
	s_cbranch_scc1 .LBB3_46
	s_branch .LBB3_49
.LBB3_47:                               ;   in Loop: Header=BB3_28 Depth=1
                                        ; implicit-def: $sgpr20
	s_branch .LBB3_50
.LBB3_48:                               ;   in Loop: Header=BB3_28 Depth=1
	v_pk_mov_b32 v[12:13], 0, 0
.LBB3_49:                               ;   in Loop: Header=BB3_28 Depth=1
	s_mov_b32 s20, 0
	s_cbranch_execnz .LBB3_51
.LBB3_50:                               ;   in Loop: Header=BB3_28 Depth=1
	global_load_dwordx2 v[12:13], v29, s[4:5]
	s_add_i32 s20, s21, -8
	s_add_u32 s4, s4, 8
	s_addc_u32 s5, s5, 0
.LBB3_51:                               ;   in Loop: Header=BB3_28 Depth=1
	s_cmp_gt_u32 s20, 7
	s_cbranch_scc1 .LBB3_55
; %bb.52:                               ;   in Loop: Header=BB3_28 Depth=1
	s_cmp_eq_u32 s20, 0
	s_cbranch_scc1 .LBB3_56
; %bb.53:                               ;   in Loop: Header=BB3_28 Depth=1
	s_mov_b64 s[16:17], 0
	v_pk_mov_b32 v[14:15], 0, 0
	s_mov_b64 s[18:19], 0
.LBB3_54:                               ;   Parent Loop BB3_28 Depth=1
                                        ; =>  This Inner Loop Header: Depth=2
	s_add_u32 s22, s4, s18
	s_addc_u32 s23, s5, s19
	global_load_ubyte v6, v29, s[22:23]
	s_add_u32 s18, s18, 1
	s_addc_u32 s19, s19, 0
	s_waitcnt vmcnt(0)
	v_and_b32_e32 v28, 0xffff, v6
	v_lshlrev_b64 v[6:7], s16, v[28:29]
	s_add_u32 s16, s16, 8
	s_addc_u32 s17, s17, 0
	v_or_b32_e32 v14, v6, v14
	s_cmp_lg_u32 s20, s18
	v_or_b32_e32 v15, v7, v15
	s_cbranch_scc1 .LBB3_54
	s_branch .LBB3_57
.LBB3_55:                               ;   in Loop: Header=BB3_28 Depth=1
                                        ; implicit-def: $vgpr14_vgpr15
                                        ; implicit-def: $sgpr21
	s_branch .LBB3_58
.LBB3_56:                               ;   in Loop: Header=BB3_28 Depth=1
	v_pk_mov_b32 v[14:15], 0, 0
.LBB3_57:                               ;   in Loop: Header=BB3_28 Depth=1
	s_mov_b32 s21, 0
	s_cbranch_execnz .LBB3_59
.LBB3_58:                               ;   in Loop: Header=BB3_28 Depth=1
	global_load_dwordx2 v[14:15], v29, s[4:5]
	s_add_i32 s21, s20, -8
	s_add_u32 s4, s4, 8
	s_addc_u32 s5, s5, 0
.LBB3_59:                               ;   in Loop: Header=BB3_28 Depth=1
	s_cmp_gt_u32 s21, 7
	s_cbranch_scc1 .LBB3_63
; %bb.60:                               ;   in Loop: Header=BB3_28 Depth=1
	s_cmp_eq_u32 s21, 0
	s_cbranch_scc1 .LBB3_64
; %bb.61:                               ;   in Loop: Header=BB3_28 Depth=1
	s_mov_b64 s[16:17], 0
	v_pk_mov_b32 v[16:17], 0, 0
	s_mov_b64 s[18:19], 0
.LBB3_62:                               ;   Parent Loop BB3_28 Depth=1
                                        ; =>  This Inner Loop Header: Depth=2
	s_add_u32 s22, s4, s18
	s_addc_u32 s23, s5, s19
	global_load_ubyte v6, v29, s[22:23]
	s_add_u32 s18, s18, 1
	s_addc_u32 s19, s19, 0
	s_waitcnt vmcnt(0)
	v_and_b32_e32 v28, 0xffff, v6
	v_lshlrev_b64 v[6:7], s16, v[28:29]
	s_add_u32 s16, s16, 8
	s_addc_u32 s17, s17, 0
	v_or_b32_e32 v16, v6, v16
	s_cmp_lg_u32 s21, s18
	v_or_b32_e32 v17, v7, v17
	s_cbranch_scc1 .LBB3_62
	s_branch .LBB3_65
.LBB3_63:                               ;   in Loop: Header=BB3_28 Depth=1
                                        ; implicit-def: $sgpr20
	s_branch .LBB3_66
.LBB3_64:                               ;   in Loop: Header=BB3_28 Depth=1
	v_pk_mov_b32 v[16:17], 0, 0
.LBB3_65:                               ;   in Loop: Header=BB3_28 Depth=1
	s_mov_b32 s20, 0
	s_cbranch_execnz .LBB3_67
.LBB3_66:                               ;   in Loop: Header=BB3_28 Depth=1
	global_load_dwordx2 v[16:17], v29, s[4:5]
	s_add_i32 s20, s21, -8
	s_add_u32 s4, s4, 8
	s_addc_u32 s5, s5, 0
.LBB3_67:                               ;   in Loop: Header=BB3_28 Depth=1
	s_cmp_gt_u32 s20, 7
	s_cbranch_scc1 .LBB3_71
; %bb.68:                               ;   in Loop: Header=BB3_28 Depth=1
	s_cmp_eq_u32 s20, 0
	s_cbranch_scc1 .LBB3_72
; %bb.69:                               ;   in Loop: Header=BB3_28 Depth=1
	s_mov_b64 s[16:17], 0
	v_pk_mov_b32 v[18:19], 0, 0
	s_mov_b64 s[18:19], 0
.LBB3_70:                               ;   Parent Loop BB3_28 Depth=1
                                        ; =>  This Inner Loop Header: Depth=2
	s_add_u32 s22, s4, s18
	s_addc_u32 s23, s5, s19
	global_load_ubyte v6, v29, s[22:23]
	s_add_u32 s18, s18, 1
	s_addc_u32 s19, s19, 0
	s_waitcnt vmcnt(0)
	v_and_b32_e32 v28, 0xffff, v6
	v_lshlrev_b64 v[6:7], s16, v[28:29]
	s_add_u32 s16, s16, 8
	s_addc_u32 s17, s17, 0
	v_or_b32_e32 v18, v6, v18
	s_cmp_lg_u32 s20, s18
	v_or_b32_e32 v19, v7, v19
	s_cbranch_scc1 .LBB3_70
	s_branch .LBB3_73
.LBB3_71:                               ;   in Loop: Header=BB3_28 Depth=1
                                        ; implicit-def: $vgpr18_vgpr19
                                        ; implicit-def: $sgpr21
	s_branch .LBB3_74
.LBB3_72:                               ;   in Loop: Header=BB3_28 Depth=1
	v_pk_mov_b32 v[18:19], 0, 0
.LBB3_73:                               ;   in Loop: Header=BB3_28 Depth=1
	s_mov_b32 s21, 0
	s_cbranch_execnz .LBB3_75
.LBB3_74:                               ;   in Loop: Header=BB3_28 Depth=1
	global_load_dwordx2 v[18:19], v29, s[4:5]
	s_add_i32 s21, s20, -8
	s_add_u32 s4, s4, 8
	s_addc_u32 s5, s5, 0
.LBB3_75:                               ;   in Loop: Header=BB3_28 Depth=1
	s_cmp_gt_u32 s21, 7
	s_cbranch_scc1 .LBB3_79
; %bb.76:                               ;   in Loop: Header=BB3_28 Depth=1
	s_cmp_eq_u32 s21, 0
	s_cbranch_scc1 .LBB3_80
; %bb.77:                               ;   in Loop: Header=BB3_28 Depth=1
	s_mov_b64 s[16:17], 0
	v_pk_mov_b32 v[20:21], 0, 0
	s_mov_b64 s[18:19], s[4:5]
.LBB3_78:                               ;   Parent Loop BB3_28 Depth=1
                                        ; =>  This Inner Loop Header: Depth=2
	global_load_ubyte v6, v29, s[18:19]
	s_add_i32 s21, s21, -1
	s_waitcnt vmcnt(0)
	v_and_b32_e32 v28, 0xffff, v6
	v_lshlrev_b64 v[6:7], s16, v[28:29]
	s_add_u32 s16, s16, 8
	s_addc_u32 s17, s17, 0
	s_add_u32 s18, s18, 1
	s_addc_u32 s19, s19, 0
	v_or_b32_e32 v20, v6, v20
	s_cmp_lg_u32 s21, 0
	v_or_b32_e32 v21, v7, v21
	s_cbranch_scc1 .LBB3_78
	s_branch .LBB3_81
.LBB3_79:                               ;   in Loop: Header=BB3_28 Depth=1
	s_branch .LBB3_82
.LBB3_80:                               ;   in Loop: Header=BB3_28 Depth=1
	v_pk_mov_b32 v[20:21], 0, 0
.LBB3_81:                               ;   in Loop: Header=BB3_28 Depth=1
	s_cbranch_execnz .LBB3_83
.LBB3_82:                               ;   in Loop: Header=BB3_28 Depth=1
	global_load_dwordx2 v[20:21], v29, s[4:5]
.LBB3_83:                               ;   in Loop: Header=BB3_28 Depth=1
	v_readfirstlane_b32 s4, v35
	v_cmp_eq_u32_e64 s[4:5], s4, v35
	v_pk_mov_b32 v[6:7], 0, 0
	s_and_saveexec_b64 s[16:17], s[4:5]
	s_cbranch_execz .LBB3_89
; %bb.84:                               ;   in Loop: Header=BB3_28 Depth=1
	global_load_dwordx2 v[24:25], v29, s[6:7] offset:24 glc
	s_waitcnt vmcnt(0)
	buffer_invl2
	buffer_wbinvl1_vol
	global_load_dwordx2 v[6:7], v29, s[6:7] offset:40
	global_load_dwordx2 v[22:23], v29, s[6:7]
	s_waitcnt vmcnt(1)
	v_and_b32_e32 v6, v6, v24
	v_and_b32_e32 v7, v7, v25
	v_mul_lo_u32 v7, v7, 24
	v_mul_hi_u32 v27, v6, 24
	v_mul_lo_u32 v6, v6, 24
	v_add_u32_e32 v7, v27, v7
	s_waitcnt vmcnt(0)
	v_add_co_u32_e32 v6, vcc, v22, v6
	v_addc_co_u32_e32 v7, vcc, v23, v7, vcc
	global_load_dwordx2 v[22:23], v[6:7], off glc
	s_waitcnt vmcnt(0)
	global_atomic_cmpswap_x2 v[6:7], v29, v[22:25], s[6:7] offset:24 glc
	s_waitcnt vmcnt(0)
	buffer_invl2
	buffer_wbinvl1_vol
	v_cmp_ne_u64_e32 vcc, v[6:7], v[24:25]
	s_and_saveexec_b64 s[18:19], vcc
	s_cbranch_execz .LBB3_88
; %bb.85:                               ;   in Loop: Header=BB3_28 Depth=1
	s_mov_b64 s[20:21], 0
.LBB3_86:                               ;   Parent Loop BB3_28 Depth=1
                                        ; =>  This Inner Loop Header: Depth=2
	s_sleep 1
	global_load_dwordx2 v[22:23], v29, s[6:7] offset:40
	global_load_dwordx2 v[30:31], v29, s[6:7]
	v_pk_mov_b32 v[24:25], v[6:7], v[6:7] op_sel:[0,1]
	s_waitcnt vmcnt(1)
	v_and_b32_e32 v6, v22, v24
	s_waitcnt vmcnt(0)
	v_mad_u64_u32 v[6:7], s[22:23], v6, 24, v[30:31]
	v_and_b32_e32 v23, v23, v25
	v_mov_b32_e32 v22, v7
	v_mad_u64_u32 v[22:23], s[22:23], v23, 24, v[22:23]
	v_mov_b32_e32 v7, v22
	global_load_dwordx2 v[22:23], v[6:7], off glc
	s_waitcnt vmcnt(0)
	global_atomic_cmpswap_x2 v[6:7], v29, v[22:25], s[6:7] offset:24 glc
	s_waitcnt vmcnt(0)
	buffer_invl2
	buffer_wbinvl1_vol
	v_cmp_eq_u64_e32 vcc, v[6:7], v[24:25]
	s_or_b64 s[20:21], vcc, s[20:21]
	s_andn2_b64 exec, exec, s[20:21]
	s_cbranch_execnz .LBB3_86
; %bb.87:                               ;   in Loop: Header=BB3_28 Depth=1
	s_or_b64 exec, exec, s[20:21]
.LBB3_88:                               ;   in Loop: Header=BB3_28 Depth=1
	s_or_b64 exec, exec, s[18:19]
.LBB3_89:                               ;   in Loop: Header=BB3_28 Depth=1
	s_or_b64 exec, exec, s[16:17]
	global_load_dwordx2 v[30:31], v29, s[6:7] offset:40
	global_load_dwordx4 v[22:25], v29, s[6:7]
	v_readfirstlane_b32 s16, v6
	v_readfirstlane_b32 s17, v7
	s_mov_b64 s[18:19], exec
	s_waitcnt vmcnt(1)
	v_readfirstlane_b32 s20, v30
	v_readfirstlane_b32 s21, v31
	s_and_b64 s[20:21], s[16:17], s[20:21]
	s_mul_i32 s22, s21, 24
	s_mul_hi_u32 s23, s20, 24
	s_mul_i32 s24, s20, 24
	s_add_i32 s22, s23, s22
	v_mov_b32_e32 v6, s22
	s_waitcnt vmcnt(0)
	v_add_co_u32_e32 v30, vcc, s24, v22
	v_addc_co_u32_e32 v31, vcc, v23, v6, vcc
	s_and_saveexec_b64 s[22:23], s[4:5]
	s_cbranch_execz .LBB3_91
; %bb.90:                               ;   in Loop: Header=BB3_28 Depth=1
	v_pk_mov_b32 v[6:7], s[18:19], s[18:19] op_sel:[0,1]
	global_store_dwordx4 v[30:31], v[6:9], off offset:8
.LBB3_91:                               ;   in Loop: Header=BB3_28 Depth=1
	s_or_b64 exec, exec, s[22:23]
	s_lshl_b64 s[18:19], s[20:21], 12
	v_mov_b32_e32 v7, s19
	v_add_co_u32_e32 v6, vcc, s18, v24
	v_addc_co_u32_e32 v7, vcc, v25, v7, vcc
	v_or_b32_e32 v25, v0, v26
	v_cmp_gt_u64_e64 vcc, s[12:13], 56
	s_lshl_b32 s18, s14, 2
	v_cndmask_b32_e32 v0, v25, v0, vcc
	s_add_i32 s18, s18, 28
	v_or_b32_e32 v24, 0, v1
	s_and_b32 s18, s18, 0x1e0
	v_and_b32_e32 v0, 0xffffff1f, v0
	v_cndmask_b32_e32 v1, v24, v1, vcc
	v_or_b32_e32 v0, s18, v0
	v_readfirstlane_b32 s18, v6
	v_readfirstlane_b32 s19, v7
	s_nop 4
	global_store_dwordx4 v34, v[0:3], s[18:19]
	global_store_dwordx4 v34, v[10:13], s[18:19] offset:16
	global_store_dwordx4 v34, v[14:17], s[18:19] offset:32
	;; [unrolled: 1-line block ×3, first 2 shown]
	s_and_saveexec_b64 s[18:19], s[4:5]
	s_cbranch_execz .LBB3_99
; %bb.92:                               ;   in Loop: Header=BB3_28 Depth=1
	global_load_dwordx2 v[14:15], v29, s[6:7] offset:32 glc
	global_load_dwordx2 v[0:1], v29, s[6:7] offset:40
	v_mov_b32_e32 v12, s16
	v_mov_b32_e32 v13, s17
	s_waitcnt vmcnt(0)
	v_readfirstlane_b32 s20, v0
	v_readfirstlane_b32 s21, v1
	s_and_b64 s[20:21], s[20:21], s[16:17]
	s_mul_i32 s21, s21, 24
	s_mul_hi_u32 s22, s20, 24
	s_mul_i32 s20, s20, 24
	s_add_i32 s21, s22, s21
	v_mov_b32_e32 v0, s21
	v_add_co_u32_e32 v10, vcc, s20, v22
	v_addc_co_u32_e32 v11, vcc, v23, v0, vcc
	global_store_dwordx2 v[10:11], v[14:15], off
	buffer_wbl2
	s_waitcnt vmcnt(0)
	global_atomic_cmpswap_x2 v[2:3], v29, v[12:15], s[6:7] offset:32 glc
	s_waitcnt vmcnt(0)
	v_cmp_ne_u64_e32 vcc, v[2:3], v[14:15]
	s_and_saveexec_b64 s[20:21], vcc
	s_cbranch_execz .LBB3_95
; %bb.93:                               ;   in Loop: Header=BB3_28 Depth=1
	s_mov_b64 s[22:23], 0
.LBB3_94:                               ;   Parent Loop BB3_28 Depth=1
                                        ; =>  This Inner Loop Header: Depth=2
	s_sleep 1
	global_store_dwordx2 v[10:11], v[2:3], off
	v_mov_b32_e32 v0, s16
	v_mov_b32_e32 v1, s17
	buffer_wbl2
	s_waitcnt vmcnt(0)
	global_atomic_cmpswap_x2 v[0:1], v29, v[0:3], s[6:7] offset:32 glc
	s_waitcnt vmcnt(0)
	v_cmp_eq_u64_e32 vcc, v[0:1], v[2:3]
	s_or_b64 s[22:23], vcc, s[22:23]
	v_pk_mov_b32 v[2:3], v[0:1], v[0:1] op_sel:[0,1]
	s_andn2_b64 exec, exec, s[22:23]
	s_cbranch_execnz .LBB3_94
.LBB3_95:                               ;   in Loop: Header=BB3_28 Depth=1
	s_or_b64 exec, exec, s[20:21]
	global_load_dwordx2 v[0:1], v29, s[6:7] offset:16
	s_mov_b64 s[22:23], exec
	v_mbcnt_lo_u32_b32 v2, s22, 0
	v_mbcnt_hi_u32_b32 v2, s23, v2
	v_cmp_eq_u32_e32 vcc, 0, v2
	s_and_saveexec_b64 s[20:21], vcc
	s_cbranch_execz .LBB3_97
; %bb.96:                               ;   in Loop: Header=BB3_28 Depth=1
	s_bcnt1_i32_b64 s22, s[22:23]
	v_mov_b32_e32 v28, s22
	buffer_wbl2
	s_waitcnt vmcnt(0)
	global_atomic_add_x2 v[0:1], v[28:29], off offset:8
.LBB3_97:                               ;   in Loop: Header=BB3_28 Depth=1
	s_or_b64 exec, exec, s[20:21]
	s_waitcnt vmcnt(0)
	global_load_dwordx2 v[2:3], v[0:1], off offset:16
	s_waitcnt vmcnt(0)
	v_cmp_eq_u64_e32 vcc, 0, v[2:3]
	s_cbranch_vccnz .LBB3_99
; %bb.98:                               ;   in Loop: Header=BB3_28 Depth=1
	global_load_dword v28, v[0:1], off offset:24
	s_waitcnt vmcnt(0)
	v_and_b32_e32 v0, 0xffffff, v28
	v_readfirstlane_b32 m0, v0
	buffer_wbl2
	global_store_dwordx2 v[2:3], v[28:29], off
	s_sendmsg sendmsg(MSG_INTERRUPT)
.LBB3_99:                               ;   in Loop: Header=BB3_28 Depth=1
	s_or_b64 exec, exec, s[18:19]
	v_add_co_u32_e32 v0, vcc, v6, v34
	v_addc_co_u32_e32 v1, vcc, 0, v7, vcc
	s_branch .LBB3_103
.LBB3_100:                              ;   in Loop: Header=BB3_103 Depth=2
	s_or_b64 exec, exec, s[18:19]
	v_readfirstlane_b32 s18, v2
	s_cmp_eq_u32 s18, 0
	s_cbranch_scc1 .LBB3_102
; %bb.101:                              ;   in Loop: Header=BB3_103 Depth=2
	s_sleep 1
	s_cbranch_execnz .LBB3_103
	s_branch .LBB3_105
.LBB3_102:                              ;   in Loop: Header=BB3_28 Depth=1
	s_branch .LBB3_105
.LBB3_103:                              ;   Parent Loop BB3_28 Depth=1
                                        ; =>  This Inner Loop Header: Depth=2
	v_mov_b32_e32 v2, 1
	s_and_saveexec_b64 s[18:19], s[4:5]
	s_cbranch_execz .LBB3_100
; %bb.104:                              ;   in Loop: Header=BB3_103 Depth=2
	global_load_dword v2, v[30:31], off offset:20 glc
	s_waitcnt vmcnt(0)
	buffer_invl2
	buffer_wbinvl1_vol
	v_and_b32_e32 v2, 1, v2
	s_branch .LBB3_100
.LBB3_105:                              ;   in Loop: Header=BB3_28 Depth=1
	global_load_dwordx4 v[0:3], v[0:1], off
	s_and_saveexec_b64 s[18:19], s[4:5]
	s_cbranch_execz .LBB3_27
; %bb.106:                              ;   in Loop: Header=BB3_28 Depth=1
	global_load_dwordx2 v[2:3], v29, s[6:7] offset:40
	global_load_dwordx2 v[6:7], v29, s[6:7] offset:24 glc
	global_load_dwordx2 v[14:15], v29, s[6:7]
	v_mov_b32_e32 v11, s17
	s_waitcnt vmcnt(2)
	v_add_co_u32_e32 v13, vcc, 1, v2
	v_addc_co_u32_e32 v16, vcc, 0, v3, vcc
	v_add_co_u32_e32 v10, vcc, s16, v13
	v_addc_co_u32_e32 v11, vcc, v16, v11, vcc
	v_cmp_eq_u64_e32 vcc, 0, v[10:11]
	v_cndmask_b32_e32 v11, v11, v16, vcc
	v_cndmask_b32_e32 v10, v10, v13, vcc
	v_and_b32_e32 v3, v11, v3
	v_and_b32_e32 v2, v10, v2
	v_mul_lo_u32 v3, v3, 24
	v_mul_hi_u32 v13, v2, 24
	v_mul_lo_u32 v2, v2, 24
	v_add_u32_e32 v3, v13, v3
	s_waitcnt vmcnt(0)
	v_add_co_u32_e32 v2, vcc, v14, v2
	v_addc_co_u32_e32 v3, vcc, v15, v3, vcc
	v_mov_b32_e32 v12, v6
	global_store_dwordx2 v[2:3], v[6:7], off
	v_mov_b32_e32 v13, v7
	buffer_wbl2
	s_waitcnt vmcnt(0)
	global_atomic_cmpswap_x2 v[12:13], v29, v[10:13], s[6:7] offset:24 glc
	s_waitcnt vmcnt(0)
	v_cmp_ne_u64_e32 vcc, v[12:13], v[6:7]
	s_and_b64 exec, exec, vcc
	s_cbranch_execz .LBB3_27
; %bb.107:                              ;   in Loop: Header=BB3_28 Depth=1
	s_mov_b64 s[4:5], 0
.LBB3_108:                              ;   Parent Loop BB3_28 Depth=1
                                        ; =>  This Inner Loop Header: Depth=2
	s_sleep 1
	global_store_dwordx2 v[2:3], v[12:13], off
	buffer_wbl2
	s_waitcnt vmcnt(0)
	global_atomic_cmpswap_x2 v[6:7], v29, v[10:13], s[6:7] offset:24 glc
	s_waitcnt vmcnt(0)
	v_cmp_eq_u64_e32 vcc, v[6:7], v[12:13]
	s_or_b64 s[4:5], vcc, s[4:5]
	v_pk_mov_b32 v[12:13], v[6:7], v[6:7] op_sel:[0,1]
	s_andn2_b64 exec, exec, s[4:5]
	s_cbranch_execnz .LBB3_108
	s_branch .LBB3_27
.LBB3_109:
                                        ; implicit-def: $vgpr0_vgpr1
	s_cbranch_execnz .LBB3_111
	s_branch .LBB3_137
.LBB3_110:
	s_branch .LBB3_137
.LBB3_111:
	v_readfirstlane_b32 s4, v35
	v_cmp_eq_u32_e64 s[4:5], s4, v35
	v_pk_mov_b32 v[8:9], 0, 0
	s_and_saveexec_b64 s[10:11], s[4:5]
	s_cbranch_execz .LBB3_117
; %bb.112:
	s_waitcnt vmcnt(0)
	v_mov_b32_e32 v0, 0
	global_load_dwordx2 v[10:11], v0, s[6:7] offset:24 glc
	s_waitcnt vmcnt(0)
	buffer_invl2
	buffer_wbinvl1_vol
	global_load_dwordx2 v[2:3], v0, s[6:7] offset:40
	global_load_dwordx2 v[6:7], v0, s[6:7]
	s_waitcnt vmcnt(1)
	v_and_b32_e32 v1, v2, v10
	v_and_b32_e32 v2, v3, v11
	v_mul_lo_u32 v2, v2, 24
	v_mul_hi_u32 v3, v1, 24
	v_mul_lo_u32 v1, v1, 24
	v_add_u32_e32 v3, v3, v2
	s_waitcnt vmcnt(0)
	v_add_co_u32_e32 v2, vcc, v6, v1
	v_addc_co_u32_e32 v3, vcc, v7, v3, vcc
	global_load_dwordx2 v[8:9], v[2:3], off glc
	s_waitcnt vmcnt(0)
	global_atomic_cmpswap_x2 v[8:9], v0, v[8:11], s[6:7] offset:24 glc
	s_waitcnt vmcnt(0)
	buffer_invl2
	buffer_wbinvl1_vol
	v_cmp_ne_u64_e32 vcc, v[8:9], v[10:11]
	s_and_saveexec_b64 s[12:13], vcc
	s_cbranch_execz .LBB3_116
; %bb.113:
	s_mov_b64 s[14:15], 0
.LBB3_114:                              ; =>This Inner Loop Header: Depth=1
	s_sleep 1
	global_load_dwordx2 v[2:3], v0, s[6:7] offset:40
	global_load_dwordx2 v[6:7], v0, s[6:7]
	v_pk_mov_b32 v[10:11], v[8:9], v[8:9] op_sel:[0,1]
	s_waitcnt vmcnt(1)
	v_and_b32_e32 v2, v2, v10
	v_and_b32_e32 v1, v3, v11
	s_waitcnt vmcnt(0)
	v_mad_u64_u32 v[2:3], s[16:17], v2, 24, v[6:7]
	v_mov_b32_e32 v6, v3
	v_mad_u64_u32 v[6:7], s[16:17], v1, 24, v[6:7]
	v_mov_b32_e32 v3, v6
	global_load_dwordx2 v[8:9], v[2:3], off glc
	s_waitcnt vmcnt(0)
	global_atomic_cmpswap_x2 v[8:9], v0, v[8:11], s[6:7] offset:24 glc
	s_waitcnt vmcnt(0)
	buffer_invl2
	buffer_wbinvl1_vol
	v_cmp_eq_u64_e32 vcc, v[8:9], v[10:11]
	s_or_b64 s[14:15], vcc, s[14:15]
	s_andn2_b64 exec, exec, s[14:15]
	s_cbranch_execnz .LBB3_114
; %bb.115:
	s_or_b64 exec, exec, s[14:15]
.LBB3_116:
	s_or_b64 exec, exec, s[12:13]
.LBB3_117:
	s_or_b64 exec, exec, s[10:11]
	v_mov_b32_e32 v6, 0
	global_load_dwordx2 v[10:11], v6, s[6:7] offset:40
	global_load_dwordx4 v[0:3], v6, s[6:7]
	v_readfirstlane_b32 s10, v8
	v_readfirstlane_b32 s11, v9
	s_mov_b64 s[12:13], exec
	s_waitcnt vmcnt(1)
	v_readfirstlane_b32 s14, v10
	v_readfirstlane_b32 s15, v11
	s_and_b64 s[14:15], s[10:11], s[14:15]
	s_mul_i32 s16, s15, 24
	s_mul_hi_u32 s17, s14, 24
	s_mul_i32 s18, s14, 24
	s_add_i32 s16, s17, s16
	v_mov_b32_e32 v7, s16
	s_waitcnt vmcnt(0)
	v_add_co_u32_e32 v8, vcc, s18, v0
	v_addc_co_u32_e32 v9, vcc, v1, v7, vcc
	s_and_saveexec_b64 s[16:17], s[4:5]
	s_cbranch_execz .LBB3_119
; %bb.118:
	v_pk_mov_b32 v[10:11], s[12:13], s[12:13] op_sel:[0,1]
	v_mov_b32_e32 v12, 2
	v_mov_b32_e32 v13, 1
	global_store_dwordx4 v[8:9], v[10:13], off offset:8
.LBB3_119:
	s_or_b64 exec, exec, s[16:17]
	s_lshl_b64 s[12:13], s[14:15], 12
	v_mov_b32_e32 v7, s13
	v_add_co_u32_e32 v2, vcc, s12, v2
	s_movk_i32 s12, 0xff1f
	v_addc_co_u32_e32 v3, vcc, v3, v7, vcc
	v_and_or_b32 v4, v4, s12, 32
	s_mov_b32 s12, 0
	v_add_co_u32_e32 v10, vcc, v2, v34
	v_mov_b32_e32 v7, v6
	v_readfirstlane_b32 s16, v2
	v_readfirstlane_b32 s17, v3
	s_mov_b32 s13, s12
	v_addc_co_u32_e32 v11, vcc, 0, v3, vcc
	s_mov_b32 s14, s12
	s_mov_b32 s15, s12
	s_nop 0
	global_store_dwordx4 v34, v[4:7], s[16:17]
	v_pk_mov_b32 v[2:3], s[12:13], s[12:13] op_sel:[0,1]
	v_pk_mov_b32 v[4:5], s[14:15], s[14:15] op_sel:[0,1]
	global_store_dwordx4 v34, v[2:5], s[16:17] offset:16
	global_store_dwordx4 v34, v[2:5], s[16:17] offset:32
	;; [unrolled: 1-line block ×3, first 2 shown]
	s_and_saveexec_b64 s[12:13], s[4:5]
	s_cbranch_execz .LBB3_127
; %bb.120:
	v_mov_b32_e32 v6, 0
	global_load_dwordx2 v[14:15], v6, s[6:7] offset:32 glc
	global_load_dwordx2 v[2:3], v6, s[6:7] offset:40
	v_mov_b32_e32 v12, s10
	v_mov_b32_e32 v13, s11
	s_waitcnt vmcnt(0)
	v_readfirstlane_b32 s14, v2
	v_readfirstlane_b32 s15, v3
	s_and_b64 s[14:15], s[14:15], s[10:11]
	s_mul_i32 s15, s15, 24
	s_mul_hi_u32 s16, s14, 24
	s_mul_i32 s14, s14, 24
	s_add_i32 s15, s16, s15
	v_mov_b32_e32 v2, s15
	v_add_co_u32_e32 v4, vcc, s14, v0
	v_addc_co_u32_e32 v5, vcc, v1, v2, vcc
	global_store_dwordx2 v[4:5], v[14:15], off
	buffer_wbl2
	s_waitcnt vmcnt(0)
	global_atomic_cmpswap_x2 v[2:3], v6, v[12:15], s[6:7] offset:32 glc
	s_waitcnt vmcnt(0)
	v_cmp_ne_u64_e32 vcc, v[2:3], v[14:15]
	s_and_saveexec_b64 s[14:15], vcc
	s_cbranch_execz .LBB3_123
; %bb.121:
	s_mov_b64 s[16:17], 0
.LBB3_122:                              ; =>This Inner Loop Header: Depth=1
	s_sleep 1
	global_store_dwordx2 v[4:5], v[2:3], off
	v_mov_b32_e32 v0, s10
	v_mov_b32_e32 v1, s11
	buffer_wbl2
	s_waitcnt vmcnt(0)
	global_atomic_cmpswap_x2 v[0:1], v6, v[0:3], s[6:7] offset:32 glc
	s_waitcnt vmcnt(0)
	v_cmp_eq_u64_e32 vcc, v[0:1], v[2:3]
	s_or_b64 s[16:17], vcc, s[16:17]
	v_pk_mov_b32 v[2:3], v[0:1], v[0:1] op_sel:[0,1]
	s_andn2_b64 exec, exec, s[16:17]
	s_cbranch_execnz .LBB3_122
.LBB3_123:
	s_or_b64 exec, exec, s[14:15]
	v_mov_b32_e32 v3, 0
	global_load_dwordx2 v[0:1], v3, s[6:7] offset:16
	s_mov_b64 s[14:15], exec
	v_mbcnt_lo_u32_b32 v2, s14, 0
	v_mbcnt_hi_u32_b32 v2, s15, v2
	v_cmp_eq_u32_e32 vcc, 0, v2
	s_and_saveexec_b64 s[16:17], vcc
	s_cbranch_execz .LBB3_125
; %bb.124:
	s_bcnt1_i32_b64 s14, s[14:15]
	v_mov_b32_e32 v2, s14
	buffer_wbl2
	s_waitcnt vmcnt(0)
	global_atomic_add_x2 v[0:1], v[2:3], off offset:8
.LBB3_125:
	s_or_b64 exec, exec, s[16:17]
	s_waitcnt vmcnt(0)
	global_load_dwordx2 v[2:3], v[0:1], off offset:16
	s_waitcnt vmcnt(0)
	v_cmp_eq_u64_e32 vcc, 0, v[2:3]
	s_cbranch_vccnz .LBB3_127
; %bb.126:
	global_load_dword v0, v[0:1], off offset:24
	v_mov_b32_e32 v1, 0
	buffer_wbl2
	s_waitcnt vmcnt(0)
	global_store_dwordx2 v[2:3], v[0:1], off
	v_and_b32_e32 v0, 0xffffff, v0
	v_readfirstlane_b32 m0, v0
	s_sendmsg sendmsg(MSG_INTERRUPT)
.LBB3_127:
	s_or_b64 exec, exec, s[12:13]
	s_branch .LBB3_131
.LBB3_128:                              ;   in Loop: Header=BB3_131 Depth=1
	s_or_b64 exec, exec, s[12:13]
	v_readfirstlane_b32 s12, v0
	s_cmp_eq_u32 s12, 0
	s_cbranch_scc1 .LBB3_130
; %bb.129:                              ;   in Loop: Header=BB3_131 Depth=1
	s_sleep 1
	s_cbranch_execnz .LBB3_131
	s_branch .LBB3_133
.LBB3_130:
	s_branch .LBB3_133
.LBB3_131:                              ; =>This Inner Loop Header: Depth=1
	v_mov_b32_e32 v0, 1
	s_and_saveexec_b64 s[12:13], s[4:5]
	s_cbranch_execz .LBB3_128
; %bb.132:                              ;   in Loop: Header=BB3_131 Depth=1
	global_load_dword v0, v[8:9], off offset:20 glc
	s_waitcnt vmcnt(0)
	buffer_invl2
	buffer_wbinvl1_vol
	v_and_b32_e32 v0, 1, v0
	s_branch .LBB3_128
.LBB3_133:
	global_load_dwordx2 v[0:1], v[10:11], off
	s_and_saveexec_b64 s[12:13], s[4:5]
	s_cbranch_execz .LBB3_136
; %bb.134:
	v_mov_b32_e32 v8, 0
	global_load_dwordx2 v[6:7], v8, s[6:7] offset:40
	global_load_dwordx2 v[10:11], v8, s[6:7] offset:24 glc
	global_load_dwordx2 v[12:13], v8, s[6:7]
	v_mov_b32_e32 v3, s11
	s_mov_b64 s[4:5], 0
	s_waitcnt vmcnt(2)
	v_add_co_u32_e32 v5, vcc, 1, v6
	v_addc_co_u32_e32 v9, vcc, 0, v7, vcc
	v_add_co_u32_e32 v2, vcc, s10, v5
	v_addc_co_u32_e32 v3, vcc, v9, v3, vcc
	v_cmp_eq_u64_e32 vcc, 0, v[2:3]
	v_cndmask_b32_e32 v3, v3, v9, vcc
	v_cndmask_b32_e32 v2, v2, v5, vcc
	v_and_b32_e32 v5, v3, v7
	v_and_b32_e32 v6, v2, v6
	v_mul_lo_u32 v5, v5, 24
	v_mul_hi_u32 v7, v6, 24
	v_mul_lo_u32 v6, v6, 24
	v_add_u32_e32 v5, v7, v5
	s_waitcnt vmcnt(0)
	v_add_co_u32_e32 v6, vcc, v12, v6
	v_addc_co_u32_e32 v7, vcc, v13, v5, vcc
	v_mov_b32_e32 v4, v10
	global_store_dwordx2 v[6:7], v[10:11], off
	v_mov_b32_e32 v5, v11
	buffer_wbl2
	s_waitcnt vmcnt(0)
	global_atomic_cmpswap_x2 v[4:5], v8, v[2:5], s[6:7] offset:24 glc
	s_waitcnt vmcnt(0)
	v_cmp_ne_u64_e32 vcc, v[4:5], v[10:11]
	s_and_b64 exec, exec, vcc
	s_cbranch_execz .LBB3_136
.LBB3_135:                              ; =>This Inner Loop Header: Depth=1
	s_sleep 1
	global_store_dwordx2 v[6:7], v[4:5], off
	buffer_wbl2
	s_waitcnt vmcnt(0)
	global_atomic_cmpswap_x2 v[10:11], v8, v[2:5], s[6:7] offset:24 glc
	s_waitcnt vmcnt(0)
	v_cmp_eq_u64_e32 vcc, v[10:11], v[4:5]
	s_or_b64 s[4:5], vcc, s[4:5]
	v_pk_mov_b32 v[4:5], v[10:11], v[10:11] op_sel:[0,1]
	s_andn2_b64 exec, exec, s[4:5]
	s_cbranch_execnz .LBB3_135
.LBB3_136:
	s_or_b64 exec, exec, s[12:13]
.LBB3_137:
	s_getpc_b64 s[10:11]
	s_add_u32 s10, s10, .str.1@rel32@lo+4
	s_addc_u32 s11, s11, .str.1@rel32@hi+12
	s_cmp_lg_u64 s[10:11], 0
	s_cselect_b64 s[4:5], -1, 0
	s_cmp_eq_u64 s[10:11], 0
	s_mov_b64 s[10:11], 0
	s_cbranch_scc1 .LBB3_141
; %bb.138:
	s_waitcnt vmcnt(0)
	v_mov_b32_e32 v2, 0
	s_getpc_b64 s[10:11]
	s_add_u32 s10, s10, .str.1@rel32@lo+3
	s_addc_u32 s11, s11, .str.1@rel32@hi+11
.LBB3_139:                              ; =>This Inner Loop Header: Depth=1
	global_load_ubyte v3, v2, s[10:11] offset:1
	s_add_u32 s12, s10, 1
	s_addc_u32 s13, s11, 0
	s_mov_b64 s[10:11], s[12:13]
	s_waitcnt vmcnt(0)
	v_cmp_ne_u16_e32 vcc, 0, v3
	s_cbranch_vccnz .LBB3_139
; %bb.140:
	s_getpc_b64 s[10:11]
	s_add_u32 s10, s10, .str.1@rel32@lo+4
	s_addc_u32 s11, s11, .str.1@rel32@hi+12
	s_sub_u32 s10, s12, s10
	s_subb_u32 s11, s13, s11
	s_add_u32 s10, s10, 1
	s_addc_u32 s11, s11, 0
.LBB3_141:
	s_and_b64 vcc, exec, s[4:5]
	s_cbranch_vccz .LBB3_225
; %bb.142:
	s_waitcnt vmcnt(0)
	v_and_b32_e32 v28, 2, v0
	v_mov_b32_e32 v31, 0
	v_and_b32_e32 v2, -3, v0
	v_mov_b32_e32 v3, v1
	v_mov_b32_e32 v6, 2
	v_mov_b32_e32 v7, 1
	s_getpc_b64 s[12:13]
	s_add_u32 s12, s12, .str.1@rel32@lo+4
	s_addc_u32 s13, s13, .str.1@rel32@hi+12
	s_branch .LBB3_144
.LBB3_143:                              ;   in Loop: Header=BB3_144 Depth=1
	s_or_b64 exec, exec, s[18:19]
	s_sub_u32 s10, s10, s14
	s_subb_u32 s11, s11, s15
	s_add_u32 s12, s12, s14
	s_addc_u32 s13, s13, s15
	s_cmp_lg_u64 s[10:11], 0
	s_cbranch_scc0 .LBB3_226
.LBB3_144:                              ; =>This Loop Header: Depth=1
                                        ;     Child Loop BB3_147 Depth 2
                                        ;     Child Loop BB3_154 Depth 2
	;; [unrolled: 1-line block ×11, first 2 shown]
	v_cmp_lt_u64_e64 s[4:5], s[10:11], 56
	s_and_b64 s[4:5], s[4:5], exec
	v_cmp_gt_u64_e64 s[4:5], s[10:11], 7
	s_cselect_b32 s15, s11, 0
	s_cselect_b32 s14, s10, 56
	s_and_b64 vcc, exec, s[4:5]
	s_cbranch_vccnz .LBB3_149
; %bb.145:                              ;   in Loop: Header=BB3_144 Depth=1
	s_mov_b64 s[4:5], 0
	s_cmp_eq_u64 s[10:11], 0
	v_pk_mov_b32 v[10:11], 0, 0
	s_cbranch_scc1 .LBB3_148
; %bb.146:                              ;   in Loop: Header=BB3_144 Depth=1
	s_lshl_b64 s[16:17], s[14:15], 3
	s_mov_b64 s[18:19], 0
	v_pk_mov_b32 v[10:11], 0, 0
	s_mov_b64 s[20:21], s[12:13]
.LBB3_147:                              ;   Parent Loop BB3_144 Depth=1
                                        ; =>  This Inner Loop Header: Depth=2
	global_load_ubyte v4, v31, s[20:21]
	s_waitcnt vmcnt(0)
	v_and_b32_e32 v30, 0xffff, v4
	v_lshlrev_b64 v[4:5], s18, v[30:31]
	s_add_u32 s18, s18, 8
	s_addc_u32 s19, s19, 0
	s_add_u32 s20, s20, 1
	s_addc_u32 s21, s21, 0
	v_or_b32_e32 v10, v4, v10
	s_cmp_lg_u32 s16, s18
	v_or_b32_e32 v11, v5, v11
	s_cbranch_scc1 .LBB3_147
.LBB3_148:                              ;   in Loop: Header=BB3_144 Depth=1
	s_mov_b32 s20, 0
	s_andn2_b64 vcc, exec, s[4:5]
	s_mov_b64 s[4:5], s[12:13]
	s_cbranch_vccz .LBB3_150
	s_branch .LBB3_151
.LBB3_149:                              ;   in Loop: Header=BB3_144 Depth=1
                                        ; implicit-def: $vgpr10_vgpr11
                                        ; implicit-def: $sgpr20
	s_mov_b64 s[4:5], s[12:13]
.LBB3_150:                              ;   in Loop: Header=BB3_144 Depth=1
	global_load_dwordx2 v[10:11], v31, s[12:13]
	s_add_i32 s20, s14, -8
	s_add_u32 s4, s12, 8
	s_addc_u32 s5, s13, 0
.LBB3_151:                              ;   in Loop: Header=BB3_144 Depth=1
	s_cmp_gt_u32 s20, 7
	s_cbranch_scc1 .LBB3_155
; %bb.152:                              ;   in Loop: Header=BB3_144 Depth=1
	s_cmp_eq_u32 s20, 0
	s_cbranch_scc1 .LBB3_156
; %bb.153:                              ;   in Loop: Header=BB3_144 Depth=1
	s_mov_b64 s[16:17], 0
	v_pk_mov_b32 v[12:13], 0, 0
	s_mov_b64 s[18:19], 0
.LBB3_154:                              ;   Parent Loop BB3_144 Depth=1
                                        ; =>  This Inner Loop Header: Depth=2
	s_add_u32 s22, s4, s18
	s_addc_u32 s23, s5, s19
	global_load_ubyte v4, v31, s[22:23]
	s_add_u32 s18, s18, 1
	s_addc_u32 s19, s19, 0
	s_waitcnt vmcnt(0)
	v_and_b32_e32 v30, 0xffff, v4
	v_lshlrev_b64 v[4:5], s16, v[30:31]
	s_add_u32 s16, s16, 8
	s_addc_u32 s17, s17, 0
	v_or_b32_e32 v12, v4, v12
	s_cmp_lg_u32 s20, s18
	v_or_b32_e32 v13, v5, v13
	s_cbranch_scc1 .LBB3_154
	s_branch .LBB3_157
.LBB3_155:                              ;   in Loop: Header=BB3_144 Depth=1
                                        ; implicit-def: $vgpr12_vgpr13
                                        ; implicit-def: $sgpr21
	s_branch .LBB3_158
.LBB3_156:                              ;   in Loop: Header=BB3_144 Depth=1
	v_pk_mov_b32 v[12:13], 0, 0
.LBB3_157:                              ;   in Loop: Header=BB3_144 Depth=1
	s_mov_b32 s21, 0
	s_cbranch_execnz .LBB3_159
.LBB3_158:                              ;   in Loop: Header=BB3_144 Depth=1
	global_load_dwordx2 v[12:13], v31, s[4:5]
	s_add_i32 s21, s20, -8
	s_add_u32 s4, s4, 8
	s_addc_u32 s5, s5, 0
.LBB3_159:                              ;   in Loop: Header=BB3_144 Depth=1
	s_cmp_gt_u32 s21, 7
	s_cbranch_scc1 .LBB3_163
; %bb.160:                              ;   in Loop: Header=BB3_144 Depth=1
	s_cmp_eq_u32 s21, 0
	s_cbranch_scc1 .LBB3_164
; %bb.161:                              ;   in Loop: Header=BB3_144 Depth=1
	s_mov_b64 s[16:17], 0
	v_pk_mov_b32 v[14:15], 0, 0
	s_mov_b64 s[18:19], 0
.LBB3_162:                              ;   Parent Loop BB3_144 Depth=1
                                        ; =>  This Inner Loop Header: Depth=2
	s_add_u32 s22, s4, s18
	s_addc_u32 s23, s5, s19
	global_load_ubyte v4, v31, s[22:23]
	s_add_u32 s18, s18, 1
	s_addc_u32 s19, s19, 0
	s_waitcnt vmcnt(0)
	v_and_b32_e32 v30, 0xffff, v4
	v_lshlrev_b64 v[4:5], s16, v[30:31]
	s_add_u32 s16, s16, 8
	s_addc_u32 s17, s17, 0
	v_or_b32_e32 v14, v4, v14
	s_cmp_lg_u32 s21, s18
	v_or_b32_e32 v15, v5, v15
	s_cbranch_scc1 .LBB3_162
	s_branch .LBB3_165
.LBB3_163:                              ;   in Loop: Header=BB3_144 Depth=1
                                        ; implicit-def: $sgpr20
	s_branch .LBB3_166
.LBB3_164:                              ;   in Loop: Header=BB3_144 Depth=1
	v_pk_mov_b32 v[14:15], 0, 0
.LBB3_165:                              ;   in Loop: Header=BB3_144 Depth=1
	s_mov_b32 s20, 0
	s_cbranch_execnz .LBB3_167
.LBB3_166:                              ;   in Loop: Header=BB3_144 Depth=1
	global_load_dwordx2 v[14:15], v31, s[4:5]
	s_add_i32 s20, s21, -8
	s_add_u32 s4, s4, 8
	s_addc_u32 s5, s5, 0
.LBB3_167:                              ;   in Loop: Header=BB3_144 Depth=1
	s_cmp_gt_u32 s20, 7
	s_cbranch_scc1 .LBB3_171
; %bb.168:                              ;   in Loop: Header=BB3_144 Depth=1
	s_cmp_eq_u32 s20, 0
	s_cbranch_scc1 .LBB3_172
; %bb.169:                              ;   in Loop: Header=BB3_144 Depth=1
	s_mov_b64 s[16:17], 0
	v_pk_mov_b32 v[16:17], 0, 0
	s_mov_b64 s[18:19], 0
.LBB3_170:                              ;   Parent Loop BB3_144 Depth=1
                                        ; =>  This Inner Loop Header: Depth=2
	s_add_u32 s22, s4, s18
	s_addc_u32 s23, s5, s19
	global_load_ubyte v4, v31, s[22:23]
	s_add_u32 s18, s18, 1
	s_addc_u32 s19, s19, 0
	s_waitcnt vmcnt(0)
	v_and_b32_e32 v30, 0xffff, v4
	v_lshlrev_b64 v[4:5], s16, v[30:31]
	s_add_u32 s16, s16, 8
	s_addc_u32 s17, s17, 0
	v_or_b32_e32 v16, v4, v16
	s_cmp_lg_u32 s20, s18
	v_or_b32_e32 v17, v5, v17
	s_cbranch_scc1 .LBB3_170
	s_branch .LBB3_173
.LBB3_171:                              ;   in Loop: Header=BB3_144 Depth=1
                                        ; implicit-def: $vgpr16_vgpr17
                                        ; implicit-def: $sgpr21
	s_branch .LBB3_174
.LBB3_172:                              ;   in Loop: Header=BB3_144 Depth=1
	v_pk_mov_b32 v[16:17], 0, 0
.LBB3_173:                              ;   in Loop: Header=BB3_144 Depth=1
	s_mov_b32 s21, 0
	s_cbranch_execnz .LBB3_175
.LBB3_174:                              ;   in Loop: Header=BB3_144 Depth=1
	global_load_dwordx2 v[16:17], v31, s[4:5]
	s_add_i32 s21, s20, -8
	s_add_u32 s4, s4, 8
	s_addc_u32 s5, s5, 0
.LBB3_175:                              ;   in Loop: Header=BB3_144 Depth=1
	s_cmp_gt_u32 s21, 7
	s_cbranch_scc1 .LBB3_179
; %bb.176:                              ;   in Loop: Header=BB3_144 Depth=1
	s_cmp_eq_u32 s21, 0
	s_cbranch_scc1 .LBB3_180
; %bb.177:                              ;   in Loop: Header=BB3_144 Depth=1
	s_mov_b64 s[16:17], 0
	v_pk_mov_b32 v[18:19], 0, 0
	s_mov_b64 s[18:19], 0
.LBB3_178:                              ;   Parent Loop BB3_144 Depth=1
                                        ; =>  This Inner Loop Header: Depth=2
	s_add_u32 s22, s4, s18
	s_addc_u32 s23, s5, s19
	global_load_ubyte v4, v31, s[22:23]
	s_add_u32 s18, s18, 1
	s_addc_u32 s19, s19, 0
	s_waitcnt vmcnt(0)
	v_and_b32_e32 v30, 0xffff, v4
	v_lshlrev_b64 v[4:5], s16, v[30:31]
	s_add_u32 s16, s16, 8
	s_addc_u32 s17, s17, 0
	v_or_b32_e32 v18, v4, v18
	s_cmp_lg_u32 s21, s18
	v_or_b32_e32 v19, v5, v19
	s_cbranch_scc1 .LBB3_178
	s_branch .LBB3_181
.LBB3_179:                              ;   in Loop: Header=BB3_144 Depth=1
                                        ; implicit-def: $sgpr20
	s_branch .LBB3_182
.LBB3_180:                              ;   in Loop: Header=BB3_144 Depth=1
	v_pk_mov_b32 v[18:19], 0, 0
.LBB3_181:                              ;   in Loop: Header=BB3_144 Depth=1
	s_mov_b32 s20, 0
	s_cbranch_execnz .LBB3_183
.LBB3_182:                              ;   in Loop: Header=BB3_144 Depth=1
	global_load_dwordx2 v[18:19], v31, s[4:5]
	s_add_i32 s20, s21, -8
	s_add_u32 s4, s4, 8
	s_addc_u32 s5, s5, 0
.LBB3_183:                              ;   in Loop: Header=BB3_144 Depth=1
	s_cmp_gt_u32 s20, 7
	s_cbranch_scc1 .LBB3_187
; %bb.184:                              ;   in Loop: Header=BB3_144 Depth=1
	s_cmp_eq_u32 s20, 0
	s_cbranch_scc1 .LBB3_188
; %bb.185:                              ;   in Loop: Header=BB3_144 Depth=1
	s_mov_b64 s[16:17], 0
	v_pk_mov_b32 v[20:21], 0, 0
	s_mov_b64 s[18:19], 0
.LBB3_186:                              ;   Parent Loop BB3_144 Depth=1
                                        ; =>  This Inner Loop Header: Depth=2
	s_add_u32 s22, s4, s18
	s_addc_u32 s23, s5, s19
	global_load_ubyte v4, v31, s[22:23]
	s_add_u32 s18, s18, 1
	s_addc_u32 s19, s19, 0
	s_waitcnt vmcnt(0)
	v_and_b32_e32 v30, 0xffff, v4
	v_lshlrev_b64 v[4:5], s16, v[30:31]
	s_add_u32 s16, s16, 8
	s_addc_u32 s17, s17, 0
	v_or_b32_e32 v20, v4, v20
	s_cmp_lg_u32 s20, s18
	v_or_b32_e32 v21, v5, v21
	s_cbranch_scc1 .LBB3_186
	s_branch .LBB3_189
.LBB3_187:                              ;   in Loop: Header=BB3_144 Depth=1
                                        ; implicit-def: $vgpr20_vgpr21
                                        ; implicit-def: $sgpr21
	s_branch .LBB3_190
.LBB3_188:                              ;   in Loop: Header=BB3_144 Depth=1
	v_pk_mov_b32 v[20:21], 0, 0
.LBB3_189:                              ;   in Loop: Header=BB3_144 Depth=1
	s_mov_b32 s21, 0
	s_cbranch_execnz .LBB3_191
.LBB3_190:                              ;   in Loop: Header=BB3_144 Depth=1
	global_load_dwordx2 v[20:21], v31, s[4:5]
	s_add_i32 s21, s20, -8
	s_add_u32 s4, s4, 8
	s_addc_u32 s5, s5, 0
.LBB3_191:                              ;   in Loop: Header=BB3_144 Depth=1
	s_cmp_gt_u32 s21, 7
	s_cbranch_scc1 .LBB3_195
; %bb.192:                              ;   in Loop: Header=BB3_144 Depth=1
	s_cmp_eq_u32 s21, 0
	s_cbranch_scc1 .LBB3_196
; %bb.193:                              ;   in Loop: Header=BB3_144 Depth=1
	s_mov_b64 s[16:17], 0
	v_pk_mov_b32 v[22:23], 0, 0
	s_mov_b64 s[18:19], s[4:5]
.LBB3_194:                              ;   Parent Loop BB3_144 Depth=1
                                        ; =>  This Inner Loop Header: Depth=2
	global_load_ubyte v4, v31, s[18:19]
	s_add_i32 s21, s21, -1
	s_waitcnt vmcnt(0)
	v_and_b32_e32 v30, 0xffff, v4
	v_lshlrev_b64 v[4:5], s16, v[30:31]
	s_add_u32 s16, s16, 8
	s_addc_u32 s17, s17, 0
	s_add_u32 s18, s18, 1
	s_addc_u32 s19, s19, 0
	v_or_b32_e32 v22, v4, v22
	s_cmp_lg_u32 s21, 0
	v_or_b32_e32 v23, v5, v23
	s_cbranch_scc1 .LBB3_194
	s_branch .LBB3_197
.LBB3_195:                              ;   in Loop: Header=BB3_144 Depth=1
	s_branch .LBB3_198
.LBB3_196:                              ;   in Loop: Header=BB3_144 Depth=1
	v_pk_mov_b32 v[22:23], 0, 0
.LBB3_197:                              ;   in Loop: Header=BB3_144 Depth=1
	s_cbranch_execnz .LBB3_199
.LBB3_198:                              ;   in Loop: Header=BB3_144 Depth=1
	global_load_dwordx2 v[22:23], v31, s[4:5]
.LBB3_199:                              ;   in Loop: Header=BB3_144 Depth=1
	v_readfirstlane_b32 s4, v35
	v_cmp_eq_u32_e64 s[4:5], s4, v35
	s_waitcnt vmcnt(0)
	v_pk_mov_b32 v[4:5], 0, 0
	s_and_saveexec_b64 s[16:17], s[4:5]
	s_cbranch_execz .LBB3_205
; %bb.200:                              ;   in Loop: Header=BB3_144 Depth=1
	global_load_dwordx2 v[26:27], v31, s[6:7] offset:24 glc
	s_waitcnt vmcnt(0)
	buffer_invl2
	buffer_wbinvl1_vol
	global_load_dwordx2 v[4:5], v31, s[6:7] offset:40
	global_load_dwordx2 v[8:9], v31, s[6:7]
	s_waitcnt vmcnt(1)
	v_and_b32_e32 v4, v4, v26
	v_and_b32_e32 v5, v5, v27
	v_mul_lo_u32 v5, v5, 24
	v_mul_hi_u32 v24, v4, 24
	v_mul_lo_u32 v4, v4, 24
	v_add_u32_e32 v5, v24, v5
	s_waitcnt vmcnt(0)
	v_add_co_u32_e32 v4, vcc, v8, v4
	v_addc_co_u32_e32 v5, vcc, v9, v5, vcc
	global_load_dwordx2 v[24:25], v[4:5], off glc
	s_waitcnt vmcnt(0)
	global_atomic_cmpswap_x2 v[4:5], v31, v[24:27], s[6:7] offset:24 glc
	s_waitcnt vmcnt(0)
	buffer_invl2
	buffer_wbinvl1_vol
	v_cmp_ne_u64_e32 vcc, v[4:5], v[26:27]
	s_and_saveexec_b64 s[18:19], vcc
	s_cbranch_execz .LBB3_204
; %bb.201:                              ;   in Loop: Header=BB3_144 Depth=1
	s_mov_b64 s[20:21], 0
.LBB3_202:                              ;   Parent Loop BB3_144 Depth=1
                                        ; =>  This Inner Loop Header: Depth=2
	s_sleep 1
	global_load_dwordx2 v[8:9], v31, s[6:7] offset:40
	global_load_dwordx2 v[24:25], v31, s[6:7]
	v_pk_mov_b32 v[26:27], v[4:5], v[4:5] op_sel:[0,1]
	s_waitcnt vmcnt(1)
	v_and_b32_e32 v4, v8, v26
	s_waitcnt vmcnt(0)
	v_mad_u64_u32 v[4:5], s[22:23], v4, 24, v[24:25]
	v_and_b32_e32 v9, v9, v27
	v_mov_b32_e32 v8, v5
	v_mad_u64_u32 v[8:9], s[22:23], v9, 24, v[8:9]
	v_mov_b32_e32 v5, v8
	global_load_dwordx2 v[24:25], v[4:5], off glc
	s_waitcnt vmcnt(0)
	global_atomic_cmpswap_x2 v[4:5], v31, v[24:27], s[6:7] offset:24 glc
	s_waitcnt vmcnt(0)
	buffer_invl2
	buffer_wbinvl1_vol
	v_cmp_eq_u64_e32 vcc, v[4:5], v[26:27]
	s_or_b64 s[20:21], vcc, s[20:21]
	s_andn2_b64 exec, exec, s[20:21]
	s_cbranch_execnz .LBB3_202
; %bb.203:                              ;   in Loop: Header=BB3_144 Depth=1
	s_or_b64 exec, exec, s[20:21]
.LBB3_204:                              ;   in Loop: Header=BB3_144 Depth=1
	s_or_b64 exec, exec, s[18:19]
.LBB3_205:                              ;   in Loop: Header=BB3_144 Depth=1
	s_or_b64 exec, exec, s[16:17]
	global_load_dwordx2 v[8:9], v31, s[6:7] offset:40
	global_load_dwordx4 v[24:27], v31, s[6:7]
	v_readfirstlane_b32 s16, v4
	v_readfirstlane_b32 s17, v5
	s_mov_b64 s[18:19], exec
	s_waitcnt vmcnt(1)
	v_readfirstlane_b32 s20, v8
	v_readfirstlane_b32 s21, v9
	s_and_b64 s[20:21], s[16:17], s[20:21]
	s_mul_i32 s22, s21, 24
	s_mul_hi_u32 s23, s20, 24
	s_mul_i32 s24, s20, 24
	s_add_i32 s22, s23, s22
	v_mov_b32_e32 v4, s22
	s_waitcnt vmcnt(0)
	v_add_co_u32_e32 v32, vcc, s24, v24
	v_addc_co_u32_e32 v33, vcc, v25, v4, vcc
	s_and_saveexec_b64 s[22:23], s[4:5]
	s_cbranch_execz .LBB3_207
; %bb.206:                              ;   in Loop: Header=BB3_144 Depth=1
	v_pk_mov_b32 v[4:5], s[18:19], s[18:19] op_sel:[0,1]
	global_store_dwordx4 v[32:33], v[4:7], off offset:8
.LBB3_207:                              ;   in Loop: Header=BB3_144 Depth=1
	s_or_b64 exec, exec, s[22:23]
	s_lshl_b64 s[18:19], s[20:21], 12
	v_mov_b32_e32 v4, s19
	v_add_co_u32_e32 v26, vcc, s18, v26
	v_addc_co_u32_e32 v27, vcc, v27, v4, vcc
	v_or_b32_e32 v5, v2, v28
	v_cmp_gt_u64_e64 vcc, s[10:11], 56
	s_lshl_b32 s18, s14, 2
	v_cndmask_b32_e32 v2, v5, v2, vcc
	s_add_i32 s18, s18, 28
	v_or_b32_e32 v4, 0, v3
	s_and_b32 s18, s18, 0x1e0
	v_and_b32_e32 v2, 0xffffff1f, v2
	v_cndmask_b32_e32 v9, v4, v3, vcc
	v_or_b32_e32 v8, s18, v2
	v_readfirstlane_b32 s18, v26
	v_readfirstlane_b32 s19, v27
	s_nop 4
	global_store_dwordx4 v34, v[8:11], s[18:19]
	global_store_dwordx4 v34, v[12:15], s[18:19] offset:16
	global_store_dwordx4 v34, v[16:19], s[18:19] offset:32
	;; [unrolled: 1-line block ×3, first 2 shown]
	s_and_saveexec_b64 s[18:19], s[4:5]
	s_cbranch_execz .LBB3_215
; %bb.208:                              ;   in Loop: Header=BB3_144 Depth=1
	global_load_dwordx2 v[12:13], v31, s[6:7] offset:32 glc
	global_load_dwordx2 v[2:3], v31, s[6:7] offset:40
	v_mov_b32_e32 v10, s16
	v_mov_b32_e32 v11, s17
	s_waitcnt vmcnt(0)
	v_readfirstlane_b32 s20, v2
	v_readfirstlane_b32 s21, v3
	s_and_b64 s[20:21], s[20:21], s[16:17]
	s_mul_i32 s21, s21, 24
	s_mul_hi_u32 s22, s20, 24
	s_mul_i32 s20, s20, 24
	s_add_i32 s21, s22, s21
	v_mov_b32_e32 v2, s21
	v_add_co_u32_e32 v8, vcc, s20, v24
	v_addc_co_u32_e32 v9, vcc, v25, v2, vcc
	global_store_dwordx2 v[8:9], v[12:13], off
	buffer_wbl2
	s_waitcnt vmcnt(0)
	global_atomic_cmpswap_x2 v[4:5], v31, v[10:13], s[6:7] offset:32 glc
	s_waitcnt vmcnt(0)
	v_cmp_ne_u64_e32 vcc, v[4:5], v[12:13]
	s_and_saveexec_b64 s[20:21], vcc
	s_cbranch_execz .LBB3_211
; %bb.209:                              ;   in Loop: Header=BB3_144 Depth=1
	s_mov_b64 s[22:23], 0
.LBB3_210:                              ;   Parent Loop BB3_144 Depth=1
                                        ; =>  This Inner Loop Header: Depth=2
	s_sleep 1
	global_store_dwordx2 v[8:9], v[4:5], off
	v_mov_b32_e32 v2, s16
	v_mov_b32_e32 v3, s17
	buffer_wbl2
	s_waitcnt vmcnt(0)
	global_atomic_cmpswap_x2 v[2:3], v31, v[2:5], s[6:7] offset:32 glc
	s_waitcnt vmcnt(0)
	v_cmp_eq_u64_e32 vcc, v[2:3], v[4:5]
	s_or_b64 s[22:23], vcc, s[22:23]
	v_pk_mov_b32 v[4:5], v[2:3], v[2:3] op_sel:[0,1]
	s_andn2_b64 exec, exec, s[22:23]
	s_cbranch_execnz .LBB3_210
.LBB3_211:                              ;   in Loop: Header=BB3_144 Depth=1
	s_or_b64 exec, exec, s[20:21]
	global_load_dwordx2 v[2:3], v31, s[6:7] offset:16
	s_mov_b64 s[22:23], exec
	v_mbcnt_lo_u32_b32 v4, s22, 0
	v_mbcnt_hi_u32_b32 v4, s23, v4
	v_cmp_eq_u32_e32 vcc, 0, v4
	s_and_saveexec_b64 s[20:21], vcc
	s_cbranch_execz .LBB3_213
; %bb.212:                              ;   in Loop: Header=BB3_144 Depth=1
	s_bcnt1_i32_b64 s22, s[22:23]
	v_mov_b32_e32 v30, s22
	buffer_wbl2
	s_waitcnt vmcnt(0)
	global_atomic_add_x2 v[2:3], v[30:31], off offset:8
.LBB3_213:                              ;   in Loop: Header=BB3_144 Depth=1
	s_or_b64 exec, exec, s[20:21]
	s_waitcnt vmcnt(0)
	global_load_dwordx2 v[4:5], v[2:3], off offset:16
	s_waitcnt vmcnt(0)
	v_cmp_eq_u64_e32 vcc, 0, v[4:5]
	s_cbranch_vccnz .LBB3_215
; %bb.214:                              ;   in Loop: Header=BB3_144 Depth=1
	global_load_dword v30, v[2:3], off offset:24
	s_waitcnt vmcnt(0)
	v_and_b32_e32 v2, 0xffffff, v30
	v_readfirstlane_b32 m0, v2
	buffer_wbl2
	global_store_dwordx2 v[4:5], v[30:31], off
	s_sendmsg sendmsg(MSG_INTERRUPT)
.LBB3_215:                              ;   in Loop: Header=BB3_144 Depth=1
	s_or_b64 exec, exec, s[18:19]
	v_add_co_u32_e32 v2, vcc, v26, v34
	v_addc_co_u32_e32 v3, vcc, 0, v27, vcc
	s_branch .LBB3_219
.LBB3_216:                              ;   in Loop: Header=BB3_219 Depth=2
	s_or_b64 exec, exec, s[18:19]
	v_readfirstlane_b32 s18, v4
	s_cmp_eq_u32 s18, 0
	s_cbranch_scc1 .LBB3_218
; %bb.217:                              ;   in Loop: Header=BB3_219 Depth=2
	s_sleep 1
	s_cbranch_execnz .LBB3_219
	s_branch .LBB3_221
.LBB3_218:                              ;   in Loop: Header=BB3_144 Depth=1
	s_branch .LBB3_221
.LBB3_219:                              ;   Parent Loop BB3_144 Depth=1
                                        ; =>  This Inner Loop Header: Depth=2
	v_mov_b32_e32 v4, 1
	s_and_saveexec_b64 s[18:19], s[4:5]
	s_cbranch_execz .LBB3_216
; %bb.220:                              ;   in Loop: Header=BB3_219 Depth=2
	global_load_dword v4, v[32:33], off offset:20 glc
	s_waitcnt vmcnt(0)
	buffer_invl2
	buffer_wbinvl1_vol
	v_and_b32_e32 v4, 1, v4
	s_branch .LBB3_216
.LBB3_221:                              ;   in Loop: Header=BB3_144 Depth=1
	global_load_dwordx4 v[2:5], v[2:3], off
	s_and_saveexec_b64 s[18:19], s[4:5]
	s_cbranch_execz .LBB3_143
; %bb.222:                              ;   in Loop: Header=BB3_144 Depth=1
	global_load_dwordx2 v[4:5], v31, s[6:7] offset:40
	global_load_dwordx2 v[12:13], v31, s[6:7] offset:24 glc
	global_load_dwordx2 v[14:15], v31, s[6:7]
	v_mov_b32_e32 v9, s17
	s_waitcnt vmcnt(2)
	v_add_co_u32_e32 v11, vcc, 1, v4
	v_addc_co_u32_e32 v16, vcc, 0, v5, vcc
	v_add_co_u32_e32 v8, vcc, s16, v11
	v_addc_co_u32_e32 v9, vcc, v16, v9, vcc
	v_cmp_eq_u64_e32 vcc, 0, v[8:9]
	v_cndmask_b32_e32 v9, v9, v16, vcc
	v_cndmask_b32_e32 v8, v8, v11, vcc
	v_and_b32_e32 v5, v9, v5
	v_and_b32_e32 v4, v8, v4
	v_mul_lo_u32 v5, v5, 24
	v_mul_hi_u32 v11, v4, 24
	v_mul_lo_u32 v4, v4, 24
	v_add_u32_e32 v5, v11, v5
	s_waitcnt vmcnt(0)
	v_add_co_u32_e32 v4, vcc, v14, v4
	v_addc_co_u32_e32 v5, vcc, v15, v5, vcc
	v_mov_b32_e32 v10, v12
	global_store_dwordx2 v[4:5], v[12:13], off
	v_mov_b32_e32 v11, v13
	buffer_wbl2
	s_waitcnt vmcnt(0)
	global_atomic_cmpswap_x2 v[10:11], v31, v[8:11], s[6:7] offset:24 glc
	s_waitcnt vmcnt(0)
	v_cmp_ne_u64_e32 vcc, v[10:11], v[12:13]
	s_and_b64 exec, exec, vcc
	s_cbranch_execz .LBB3_143
; %bb.223:                              ;   in Loop: Header=BB3_144 Depth=1
	s_mov_b64 s[4:5], 0
.LBB3_224:                              ;   Parent Loop BB3_144 Depth=1
                                        ; =>  This Inner Loop Header: Depth=2
	s_sleep 1
	global_store_dwordx2 v[4:5], v[10:11], off
	buffer_wbl2
	s_waitcnt vmcnt(0)
	global_atomic_cmpswap_x2 v[12:13], v31, v[8:11], s[6:7] offset:24 glc
	s_waitcnt vmcnt(0)
	v_cmp_eq_u64_e32 vcc, v[12:13], v[10:11]
	s_or_b64 s[4:5], vcc, s[4:5]
	v_pk_mov_b32 v[10:11], v[12:13], v[12:13] op_sel:[0,1]
	s_andn2_b64 exec, exec, s[4:5]
	s_cbranch_execnz .LBB3_224
	s_branch .LBB3_143
.LBB3_225:
                                        ; implicit-def: $vgpr2_vgpr3
	s_cbranch_execnz .LBB3_227
	s_branch .LBB3_253
.LBB3_226:
	s_branch .LBB3_253
.LBB3_227:
	v_readfirstlane_b32 s4, v35
	v_cmp_eq_u32_e64 s[4:5], s4, v35
	v_pk_mov_b32 v[8:9], 0, 0
	s_and_saveexec_b64 s[10:11], s[4:5]
	s_cbranch_execz .LBB3_233
; %bb.228:
	s_waitcnt vmcnt(0)
	v_mov_b32_e32 v2, 0
	global_load_dwordx2 v[6:7], v2, s[6:7] offset:24 glc
	s_waitcnt vmcnt(0)
	buffer_invl2
	buffer_wbinvl1_vol
	global_load_dwordx2 v[4:5], v2, s[6:7] offset:40
	global_load_dwordx2 v[8:9], v2, s[6:7]
	s_waitcnt vmcnt(1)
	v_and_b32_e32 v3, v4, v6
	v_and_b32_e32 v4, v5, v7
	v_mul_lo_u32 v4, v4, 24
	v_mul_hi_u32 v5, v3, 24
	v_mul_lo_u32 v3, v3, 24
	v_add_u32_e32 v5, v5, v4
	s_waitcnt vmcnt(0)
	v_add_co_u32_e32 v4, vcc, v8, v3
	v_addc_co_u32_e32 v5, vcc, v9, v5, vcc
	global_load_dwordx2 v[4:5], v[4:5], off glc
	s_waitcnt vmcnt(0)
	global_atomic_cmpswap_x2 v[8:9], v2, v[4:7], s[6:7] offset:24 glc
	s_waitcnt vmcnt(0)
	buffer_invl2
	buffer_wbinvl1_vol
	v_cmp_ne_u64_e32 vcc, v[8:9], v[6:7]
	s_and_saveexec_b64 s[12:13], vcc
	s_cbranch_execz .LBB3_232
; %bb.229:
	s_mov_b64 s[14:15], 0
.LBB3_230:                              ; =>This Inner Loop Header: Depth=1
	s_sleep 1
	global_load_dwordx2 v[4:5], v2, s[6:7] offset:40
	global_load_dwordx2 v[10:11], v2, s[6:7]
	v_pk_mov_b32 v[6:7], v[8:9], v[8:9] op_sel:[0,1]
	s_waitcnt vmcnt(1)
	v_and_b32_e32 v4, v4, v6
	v_and_b32_e32 v3, v5, v7
	s_waitcnt vmcnt(0)
	v_mad_u64_u32 v[4:5], s[16:17], v4, 24, v[10:11]
	v_mov_b32_e32 v8, v5
	v_mad_u64_u32 v[8:9], s[16:17], v3, 24, v[8:9]
	v_mov_b32_e32 v5, v8
	global_load_dwordx2 v[4:5], v[4:5], off glc
	s_waitcnt vmcnt(0)
	global_atomic_cmpswap_x2 v[8:9], v2, v[4:7], s[6:7] offset:24 glc
	s_waitcnt vmcnt(0)
	buffer_invl2
	buffer_wbinvl1_vol
	v_cmp_eq_u64_e32 vcc, v[8:9], v[6:7]
	s_or_b64 s[14:15], vcc, s[14:15]
	s_andn2_b64 exec, exec, s[14:15]
	s_cbranch_execnz .LBB3_230
; %bb.231:
	s_or_b64 exec, exec, s[14:15]
.LBB3_232:
	s_or_b64 exec, exec, s[12:13]
.LBB3_233:
	s_or_b64 exec, exec, s[10:11]
	s_waitcnt vmcnt(0)
	v_mov_b32_e32 v2, 0
	global_load_dwordx2 v[10:11], v2, s[6:7] offset:40
	global_load_dwordx4 v[4:7], v2, s[6:7]
	v_readfirstlane_b32 s10, v8
	v_readfirstlane_b32 s11, v9
	s_mov_b64 s[12:13], exec
	s_waitcnt vmcnt(1)
	v_readfirstlane_b32 s14, v10
	v_readfirstlane_b32 s15, v11
	s_and_b64 s[14:15], s[10:11], s[14:15]
	s_mul_i32 s16, s15, 24
	s_mul_hi_u32 s17, s14, 24
	s_mul_i32 s18, s14, 24
	s_add_i32 s16, s17, s16
	v_mov_b32_e32 v3, s16
	s_waitcnt vmcnt(0)
	v_add_co_u32_e32 v8, vcc, s18, v4
	v_addc_co_u32_e32 v9, vcc, v5, v3, vcc
	s_and_saveexec_b64 s[16:17], s[4:5]
	s_cbranch_execz .LBB3_235
; %bb.234:
	v_pk_mov_b32 v[10:11], s[12:13], s[12:13] op_sel:[0,1]
	v_mov_b32_e32 v12, 2
	v_mov_b32_e32 v13, 1
	global_store_dwordx4 v[8:9], v[10:13], off offset:8
.LBB3_235:
	s_or_b64 exec, exec, s[16:17]
	s_lshl_b64 s[12:13], s[14:15], 12
	v_mov_b32_e32 v3, s13
	v_add_co_u32_e32 v10, vcc, s12, v6
	s_movk_i32 s12, 0xff1f
	v_addc_co_u32_e32 v11, vcc, v7, v3, vcc
	v_and_or_b32 v0, v0, s12, 32
	s_mov_b32 s12, 0
	v_mov_b32_e32 v3, v2
	v_readfirstlane_b32 s16, v10
	v_readfirstlane_b32 s17, v11
	s_mov_b32 s13, s12
	v_add_co_u32_e32 v6, vcc, v10, v34
	s_mov_b32 s14, s12
	s_mov_b32 s15, s12
	s_nop 0
	global_store_dwordx4 v34, v[0:3], s[16:17]
	v_addc_co_u32_e32 v7, vcc, 0, v11, vcc
	v_pk_mov_b32 v[0:1], s[12:13], s[12:13] op_sel:[0,1]
	v_pk_mov_b32 v[2:3], s[14:15], s[14:15] op_sel:[0,1]
	global_store_dwordx4 v34, v[0:3], s[16:17] offset:16
	global_store_dwordx4 v34, v[0:3], s[16:17] offset:32
	;; [unrolled: 1-line block ×3, first 2 shown]
	s_and_saveexec_b64 s[12:13], s[4:5]
	s_cbranch_execz .LBB3_243
; %bb.236:
	v_mov_b32_e32 v10, 0
	global_load_dwordx2 v[14:15], v10, s[6:7] offset:32 glc
	global_load_dwordx2 v[0:1], v10, s[6:7] offset:40
	v_mov_b32_e32 v12, s10
	v_mov_b32_e32 v13, s11
	s_waitcnt vmcnt(0)
	v_readfirstlane_b32 s14, v0
	v_readfirstlane_b32 s15, v1
	s_and_b64 s[14:15], s[14:15], s[10:11]
	s_mul_i32 s15, s15, 24
	s_mul_hi_u32 s16, s14, 24
	s_mul_i32 s14, s14, 24
	s_add_i32 s15, s16, s15
	v_mov_b32_e32 v0, s15
	v_add_co_u32_e32 v4, vcc, s14, v4
	v_addc_co_u32_e32 v5, vcc, v5, v0, vcc
	global_store_dwordx2 v[4:5], v[14:15], off
	buffer_wbl2
	s_waitcnt vmcnt(0)
	global_atomic_cmpswap_x2 v[2:3], v10, v[12:15], s[6:7] offset:32 glc
	s_waitcnt vmcnt(0)
	v_cmp_ne_u64_e32 vcc, v[2:3], v[14:15]
	s_and_saveexec_b64 s[14:15], vcc
	s_cbranch_execz .LBB3_239
; %bb.237:
	s_mov_b64 s[16:17], 0
.LBB3_238:                              ; =>This Inner Loop Header: Depth=1
	s_sleep 1
	global_store_dwordx2 v[4:5], v[2:3], off
	v_mov_b32_e32 v0, s10
	v_mov_b32_e32 v1, s11
	buffer_wbl2
	s_waitcnt vmcnt(0)
	global_atomic_cmpswap_x2 v[0:1], v10, v[0:3], s[6:7] offset:32 glc
	s_waitcnt vmcnt(0)
	v_cmp_eq_u64_e32 vcc, v[0:1], v[2:3]
	s_or_b64 s[16:17], vcc, s[16:17]
	v_pk_mov_b32 v[2:3], v[0:1], v[0:1] op_sel:[0,1]
	s_andn2_b64 exec, exec, s[16:17]
	s_cbranch_execnz .LBB3_238
.LBB3_239:
	s_or_b64 exec, exec, s[14:15]
	v_mov_b32_e32 v3, 0
	global_load_dwordx2 v[0:1], v3, s[6:7] offset:16
	s_mov_b64 s[14:15], exec
	v_mbcnt_lo_u32_b32 v2, s14, 0
	v_mbcnt_hi_u32_b32 v2, s15, v2
	v_cmp_eq_u32_e32 vcc, 0, v2
	s_and_saveexec_b64 s[16:17], vcc
	s_cbranch_execz .LBB3_241
; %bb.240:
	s_bcnt1_i32_b64 s14, s[14:15]
	v_mov_b32_e32 v2, s14
	buffer_wbl2
	s_waitcnt vmcnt(0)
	global_atomic_add_x2 v[0:1], v[2:3], off offset:8
.LBB3_241:
	s_or_b64 exec, exec, s[16:17]
	s_waitcnt vmcnt(0)
	global_load_dwordx2 v[2:3], v[0:1], off offset:16
	s_waitcnt vmcnt(0)
	v_cmp_eq_u64_e32 vcc, 0, v[2:3]
	s_cbranch_vccnz .LBB3_243
; %bb.242:
	global_load_dword v0, v[0:1], off offset:24
	v_mov_b32_e32 v1, 0
	buffer_wbl2
	s_waitcnt vmcnt(0)
	global_store_dwordx2 v[2:3], v[0:1], off
	v_and_b32_e32 v0, 0xffffff, v0
	v_readfirstlane_b32 m0, v0
	s_sendmsg sendmsg(MSG_INTERRUPT)
.LBB3_243:
	s_or_b64 exec, exec, s[12:13]
	s_branch .LBB3_247
.LBB3_244:                              ;   in Loop: Header=BB3_247 Depth=1
	s_or_b64 exec, exec, s[12:13]
	v_readfirstlane_b32 s12, v0
	s_cmp_eq_u32 s12, 0
	s_cbranch_scc1 .LBB3_246
; %bb.245:                              ;   in Loop: Header=BB3_247 Depth=1
	s_sleep 1
	s_cbranch_execnz .LBB3_247
	s_branch .LBB3_249
.LBB3_246:
	s_branch .LBB3_249
.LBB3_247:                              ; =>This Inner Loop Header: Depth=1
	v_mov_b32_e32 v0, 1
	s_and_saveexec_b64 s[12:13], s[4:5]
	s_cbranch_execz .LBB3_244
; %bb.248:                              ;   in Loop: Header=BB3_247 Depth=1
	global_load_dword v0, v[8:9], off offset:20 glc
	s_waitcnt vmcnt(0)
	buffer_invl2
	buffer_wbinvl1_vol
	v_and_b32_e32 v0, 1, v0
	s_branch .LBB3_244
.LBB3_249:
	global_load_dwordx2 v[2:3], v[6:7], off
	s_and_saveexec_b64 s[12:13], s[4:5]
	s_cbranch_execz .LBB3_252
; %bb.250:
	v_mov_b32_e32 v8, 0
	global_load_dwordx2 v[0:1], v8, s[6:7] offset:40
	global_load_dwordx2 v[10:11], v8, s[6:7] offset:24 glc
	global_load_dwordx2 v[12:13], v8, s[6:7]
	v_mov_b32_e32 v5, s11
	s_mov_b64 s[4:5], 0
	s_waitcnt vmcnt(2)
	v_add_co_u32_e32 v7, vcc, 1, v0
	v_addc_co_u32_e32 v9, vcc, 0, v1, vcc
	v_add_co_u32_e32 v4, vcc, s10, v7
	v_addc_co_u32_e32 v5, vcc, v9, v5, vcc
	v_cmp_eq_u64_e32 vcc, 0, v[4:5]
	v_cndmask_b32_e32 v5, v5, v9, vcc
	v_cndmask_b32_e32 v4, v4, v7, vcc
	v_and_b32_e32 v1, v5, v1
	v_and_b32_e32 v0, v4, v0
	v_mul_lo_u32 v1, v1, 24
	v_mul_hi_u32 v7, v0, 24
	v_mul_lo_u32 v0, v0, 24
	v_add_u32_e32 v1, v7, v1
	s_waitcnt vmcnt(0)
	v_add_co_u32_e32 v0, vcc, v12, v0
	v_addc_co_u32_e32 v1, vcc, v13, v1, vcc
	v_mov_b32_e32 v6, v10
	global_store_dwordx2 v[0:1], v[10:11], off
	v_mov_b32_e32 v7, v11
	buffer_wbl2
	s_waitcnt vmcnt(0)
	global_atomic_cmpswap_x2 v[6:7], v8, v[4:7], s[6:7] offset:24 glc
	s_waitcnt vmcnt(0)
	v_cmp_ne_u64_e32 vcc, v[6:7], v[10:11]
	s_and_b64 exec, exec, vcc
	s_cbranch_execz .LBB3_252
.LBB3_251:                              ; =>This Inner Loop Header: Depth=1
	s_sleep 1
	global_store_dwordx2 v[0:1], v[6:7], off
	buffer_wbl2
	s_waitcnt vmcnt(0)
	global_atomic_cmpswap_x2 v[10:11], v8, v[4:7], s[6:7] offset:24 glc
	s_waitcnt vmcnt(0)
	v_cmp_eq_u64_e32 vcc, v[10:11], v[6:7]
	s_or_b64 s[4:5], vcc, s[4:5]
	v_pk_mov_b32 v[6:7], v[10:11], v[10:11] op_sel:[0,1]
	s_andn2_b64 exec, exec, s[4:5]
	s_cbranch_execnz .LBB3_251
.LBB3_252:
	s_or_b64 exec, exec, s[12:13]
.LBB3_253:
	v_readfirstlane_b32 s4, v35
	v_cmp_eq_u32_e64 s[4:5], s4, v35
	s_waitcnt vmcnt(0)
	v_pk_mov_b32 v[0:1], 0, 0
	s_and_saveexec_b64 s[10:11], s[4:5]
	s_cbranch_execz .LBB3_259
; %bb.254:
	v_mov_b32_e32 v4, 0
	global_load_dwordx2 v[8:9], v4, s[6:7] offset:24 glc
	s_waitcnt vmcnt(0)
	buffer_invl2
	buffer_wbinvl1_vol
	global_load_dwordx2 v[0:1], v4, s[6:7] offset:40
	global_load_dwordx2 v[6:7], v4, s[6:7]
	s_waitcnt vmcnt(1)
	v_and_b32_e32 v0, v0, v8
	v_and_b32_e32 v1, v1, v9
	v_mul_lo_u32 v1, v1, 24
	v_mul_hi_u32 v5, v0, 24
	v_mul_lo_u32 v0, v0, 24
	v_add_u32_e32 v1, v5, v1
	s_waitcnt vmcnt(0)
	v_add_co_u32_e32 v0, vcc, v6, v0
	v_addc_co_u32_e32 v1, vcc, v7, v1, vcc
	global_load_dwordx2 v[6:7], v[0:1], off glc
	s_waitcnt vmcnt(0)
	global_atomic_cmpswap_x2 v[0:1], v4, v[6:9], s[6:7] offset:24 glc
	s_waitcnt vmcnt(0)
	buffer_invl2
	buffer_wbinvl1_vol
	v_cmp_ne_u64_e32 vcc, v[0:1], v[8:9]
	s_and_saveexec_b64 s[12:13], vcc
	s_cbranch_execz .LBB3_258
; %bb.255:
	s_mov_b64 s[14:15], 0
.LBB3_256:                              ; =>This Inner Loop Header: Depth=1
	s_sleep 1
	global_load_dwordx2 v[6:7], v4, s[6:7] offset:40
	global_load_dwordx2 v[10:11], v4, s[6:7]
	v_pk_mov_b32 v[8:9], v[0:1], v[0:1] op_sel:[0,1]
	s_waitcnt vmcnt(1)
	v_and_b32_e32 v0, v6, v8
	s_waitcnt vmcnt(0)
	v_mad_u64_u32 v[0:1], s[16:17], v0, 24, v[10:11]
	v_and_b32_e32 v5, v7, v9
	v_mov_b32_e32 v6, v1
	v_mad_u64_u32 v[6:7], s[16:17], v5, 24, v[6:7]
	v_mov_b32_e32 v1, v6
	global_load_dwordx2 v[6:7], v[0:1], off glc
	s_waitcnt vmcnt(0)
	global_atomic_cmpswap_x2 v[0:1], v4, v[6:9], s[6:7] offset:24 glc
	s_waitcnt vmcnt(0)
	buffer_invl2
	buffer_wbinvl1_vol
	v_cmp_eq_u64_e32 vcc, v[0:1], v[8:9]
	s_or_b64 s[14:15], vcc, s[14:15]
	s_andn2_b64 exec, exec, s[14:15]
	s_cbranch_execnz .LBB3_256
; %bb.257:
	s_or_b64 exec, exec, s[14:15]
.LBB3_258:
	s_or_b64 exec, exec, s[12:13]
.LBB3_259:
	s_or_b64 exec, exec, s[10:11]
	v_mov_b32_e32 v5, 0
	global_load_dwordx2 v[10:11], v5, s[6:7] offset:40
	global_load_dwordx4 v[6:9], v5, s[6:7]
	v_readfirstlane_b32 s10, v0
	v_readfirstlane_b32 s11, v1
	s_mov_b64 s[12:13], exec
	s_waitcnt vmcnt(1)
	v_readfirstlane_b32 s14, v10
	v_readfirstlane_b32 s15, v11
	s_and_b64 s[14:15], s[10:11], s[14:15]
	s_mul_i32 s16, s15, 24
	s_mul_hi_u32 s17, s14, 24
	s_mul_i32 s18, s14, 24
	s_add_i32 s16, s17, s16
	v_mov_b32_e32 v0, s16
	s_waitcnt vmcnt(0)
	v_add_co_u32_e32 v10, vcc, s18, v6
	v_addc_co_u32_e32 v11, vcc, v7, v0, vcc
	s_and_saveexec_b64 s[16:17], s[4:5]
	s_cbranch_execz .LBB3_261
; %bb.260:
	v_pk_mov_b32 v[12:13], s[12:13], s[12:13] op_sel:[0,1]
	v_mov_b32_e32 v14, 2
	v_mov_b32_e32 v15, 1
	global_store_dwordx4 v[10:11], v[12:15], off offset:8
.LBB3_261:
	s_or_b64 exec, exec, s[16:17]
	s_lshl_b64 s[12:13], s[14:15], 12
	v_mov_b32_e32 v1, s13
	v_add_co_u32_e32 v0, vcc, s12, v8
	s_movk_i32 s12, 0xff1f
	v_addc_co_u32_e32 v1, vcc, v9, v1, vcc
	v_and_or_b32 v2, v2, s12, 32
	s_mov_b32 s12, 0
	v_add_co_u32_e32 v8, vcc, v0, v34
	v_mov_b32_e32 v4, 0x6cc
	v_readfirstlane_b32 s16, v0
	v_readfirstlane_b32 s17, v1
	s_mov_b32 s13, s12
	v_addc_co_u32_e32 v9, vcc, 0, v1, vcc
	s_mov_b32 s14, s12
	s_mov_b32 s15, s12
	s_nop 0
	global_store_dwordx4 v34, v[2:5], s[16:17]
	v_pk_mov_b32 v[0:1], s[12:13], s[12:13] op_sel:[0,1]
	v_pk_mov_b32 v[2:3], s[14:15], s[14:15] op_sel:[0,1]
	global_store_dwordx4 v34, v[0:3], s[16:17] offset:16
	global_store_dwordx4 v34, v[0:3], s[16:17] offset:32
	;; [unrolled: 1-line block ×3, first 2 shown]
	s_and_saveexec_b64 s[12:13], s[4:5]
	s_cbranch_execz .LBB3_269
; %bb.262:
	v_mov_b32_e32 v12, 0
	global_load_dwordx2 v[16:17], v12, s[6:7] offset:32 glc
	global_load_dwordx2 v[0:1], v12, s[6:7] offset:40
	v_mov_b32_e32 v14, s10
	v_mov_b32_e32 v15, s11
	s_waitcnt vmcnt(0)
	v_readfirstlane_b32 s14, v0
	v_readfirstlane_b32 s15, v1
	s_and_b64 s[14:15], s[14:15], s[10:11]
	s_mul_i32 s15, s15, 24
	s_mul_hi_u32 s16, s14, 24
	s_mul_i32 s14, s14, 24
	s_add_i32 s15, s16, s15
	v_mov_b32_e32 v0, s15
	v_add_co_u32_e32 v4, vcc, s14, v6
	v_addc_co_u32_e32 v5, vcc, v7, v0, vcc
	global_store_dwordx2 v[4:5], v[16:17], off
	buffer_wbl2
	s_waitcnt vmcnt(0)
	global_atomic_cmpswap_x2 v[2:3], v12, v[14:17], s[6:7] offset:32 glc
	s_waitcnt vmcnt(0)
	v_cmp_ne_u64_e32 vcc, v[2:3], v[16:17]
	s_and_saveexec_b64 s[14:15], vcc
	s_cbranch_execz .LBB3_265
; %bb.263:
	s_mov_b64 s[16:17], 0
.LBB3_264:                              ; =>This Inner Loop Header: Depth=1
	s_sleep 1
	global_store_dwordx2 v[4:5], v[2:3], off
	v_mov_b32_e32 v0, s10
	v_mov_b32_e32 v1, s11
	buffer_wbl2
	s_waitcnt vmcnt(0)
	global_atomic_cmpswap_x2 v[0:1], v12, v[0:3], s[6:7] offset:32 glc
	s_waitcnt vmcnt(0)
	v_cmp_eq_u64_e32 vcc, v[0:1], v[2:3]
	s_or_b64 s[16:17], vcc, s[16:17]
	v_pk_mov_b32 v[2:3], v[0:1], v[0:1] op_sel:[0,1]
	s_andn2_b64 exec, exec, s[16:17]
	s_cbranch_execnz .LBB3_264
.LBB3_265:
	s_or_b64 exec, exec, s[14:15]
	v_mov_b32_e32 v3, 0
	global_load_dwordx2 v[0:1], v3, s[6:7] offset:16
	s_mov_b64 s[14:15], exec
	v_mbcnt_lo_u32_b32 v2, s14, 0
	v_mbcnt_hi_u32_b32 v2, s15, v2
	v_cmp_eq_u32_e32 vcc, 0, v2
	s_and_saveexec_b64 s[16:17], vcc
	s_cbranch_execz .LBB3_267
; %bb.266:
	s_bcnt1_i32_b64 s14, s[14:15]
	v_mov_b32_e32 v2, s14
	buffer_wbl2
	s_waitcnt vmcnt(0)
	global_atomic_add_x2 v[0:1], v[2:3], off offset:8
.LBB3_267:
	s_or_b64 exec, exec, s[16:17]
	s_waitcnt vmcnt(0)
	global_load_dwordx2 v[2:3], v[0:1], off offset:16
	s_waitcnt vmcnt(0)
	v_cmp_eq_u64_e32 vcc, 0, v[2:3]
	s_cbranch_vccnz .LBB3_269
; %bb.268:
	global_load_dword v0, v[0:1], off offset:24
	v_mov_b32_e32 v1, 0
	buffer_wbl2
	s_waitcnt vmcnt(0)
	global_store_dwordx2 v[2:3], v[0:1], off
	v_and_b32_e32 v0, 0xffffff, v0
	v_readfirstlane_b32 m0, v0
	s_sendmsg sendmsg(MSG_INTERRUPT)
.LBB3_269:
	s_or_b64 exec, exec, s[12:13]
	s_branch .LBB3_273
.LBB3_270:                              ;   in Loop: Header=BB3_273 Depth=1
	s_or_b64 exec, exec, s[12:13]
	v_readfirstlane_b32 s12, v0
	s_cmp_eq_u32 s12, 0
	s_cbranch_scc1 .LBB3_272
; %bb.271:                              ;   in Loop: Header=BB3_273 Depth=1
	s_sleep 1
	s_cbranch_execnz .LBB3_273
	s_branch .LBB3_275
.LBB3_272:
	s_branch .LBB3_275
.LBB3_273:                              ; =>This Inner Loop Header: Depth=1
	v_mov_b32_e32 v0, 1
	s_and_saveexec_b64 s[12:13], s[4:5]
	s_cbranch_execz .LBB3_270
; %bb.274:                              ;   in Loop: Header=BB3_273 Depth=1
	global_load_dword v0, v[10:11], off offset:20 glc
	s_waitcnt vmcnt(0)
	buffer_invl2
	buffer_wbinvl1_vol
	v_and_b32_e32 v0, 1, v0
	s_branch .LBB3_270
.LBB3_275:
	global_load_dwordx2 v[0:1], v[8:9], off
	s_and_saveexec_b64 s[12:13], s[4:5]
	s_cbranch_execz .LBB3_278
; %bb.276:
	v_mov_b32_e32 v8, 0
	global_load_dwordx2 v[6:7], v8, s[6:7] offset:40
	global_load_dwordx2 v[10:11], v8, s[6:7] offset:24 glc
	global_load_dwordx2 v[12:13], v8, s[6:7]
	v_mov_b32_e32 v3, s11
	s_mov_b64 s[4:5], 0
	s_waitcnt vmcnt(2)
	v_add_co_u32_e32 v5, vcc, 1, v6
	v_addc_co_u32_e32 v9, vcc, 0, v7, vcc
	v_add_co_u32_e32 v2, vcc, s10, v5
	v_addc_co_u32_e32 v3, vcc, v9, v3, vcc
	v_cmp_eq_u64_e32 vcc, 0, v[2:3]
	v_cndmask_b32_e32 v3, v3, v9, vcc
	v_cndmask_b32_e32 v2, v2, v5, vcc
	v_and_b32_e32 v5, v3, v7
	v_and_b32_e32 v6, v2, v6
	v_mul_lo_u32 v5, v5, 24
	v_mul_hi_u32 v7, v6, 24
	v_mul_lo_u32 v6, v6, 24
	v_add_u32_e32 v5, v7, v5
	s_waitcnt vmcnt(0)
	v_add_co_u32_e32 v6, vcc, v12, v6
	v_addc_co_u32_e32 v7, vcc, v13, v5, vcc
	v_mov_b32_e32 v4, v10
	global_store_dwordx2 v[6:7], v[10:11], off
	v_mov_b32_e32 v5, v11
	buffer_wbl2
	s_waitcnt vmcnt(0)
	global_atomic_cmpswap_x2 v[4:5], v8, v[2:5], s[6:7] offset:24 glc
	s_waitcnt vmcnt(0)
	v_cmp_ne_u64_e32 vcc, v[4:5], v[10:11]
	s_and_b64 exec, exec, vcc
	s_cbranch_execz .LBB3_278
.LBB3_277:                              ; =>This Inner Loop Header: Depth=1
	s_sleep 1
	global_store_dwordx2 v[6:7], v[4:5], off
	buffer_wbl2
	s_waitcnt vmcnt(0)
	global_atomic_cmpswap_x2 v[10:11], v8, v[2:5], s[6:7] offset:24 glc
	s_waitcnt vmcnt(0)
	v_cmp_eq_u64_e32 vcc, v[10:11], v[4:5]
	s_or_b64 s[4:5], vcc, s[4:5]
	v_pk_mov_b32 v[4:5], v[10:11], v[10:11] op_sel:[0,1]
	s_andn2_b64 exec, exec, s[4:5]
	s_cbranch_execnz .LBB3_277
.LBB3_278:
	s_or_b64 exec, exec, s[12:13]
	s_getpc_b64 s[4:5]
	s_add_u32 s4, s4, __FUNCTION__._ZL18flash_attn_ext_f16ILi64ELi64ELi16ELi2ELb1ELb0EEvPKcS1_S1_S1_S1_PKiPfP15HIP_vector_typeIfLj2EEffffjfiS5_IjLj3EEiiiiiiiiiiiliiliiiiil@rel32@lo+4
	s_addc_u32 s5, s5, __FUNCTION__._ZL18flash_attn_ext_f16ILi64ELi64ELi16ELi2ELb1ELb0EEvPKcS1_S1_S1_S1_PKiPfP15HIP_vector_typeIfLj2EEffffjfiS5_IjLj3EEiiiiiiiiiiiliiliiiiil@rel32@hi+12
	s_cmp_lg_u64 s[4:5], 0
	s_cselect_b32 s10, 19, 0
	s_mov_b64 s[8:9], s[26:27]
	v_mov_b32_e32 v2, s4
	v_mov_b32_e32 v3, s5
	;; [unrolled: 1-line block ×4, first 2 shown]
	s_getpc_b64 s[6:7]
	s_add_u32 s6, s6, __ockl_printf_append_string_n@rel32@lo+4
	s_addc_u32 s7, s7, __ockl_printf_append_string_n@rel32@hi+12
	s_swappc_b64 s[30:31], s[6:7]
	s_mov_b64 s[8:9], s[26:27]
	v_mov_b32_e32 v2, 0x514
	v_mov_b32_e32 v3, 0
	;; [unrolled: 1-line block ×3, first 2 shown]
	s_getpc_b64 s[4:5]
	s_add_u32 s4, s4, __ockl_printf_append_args@rel32@lo+4
	s_addc_u32 s5, s5, __ockl_printf_append_args@rel32@hi+12
	s_swappc_b64 s[30:31], s[4:5]
	s_trap 2
.Lfunc_end3:
	.size	_ZL14no_device_codePKciS0_iS0_, .Lfunc_end3-_ZL14no_device_codePKciS0_iS0_
                                        ; -- End function
	.section	.AMDGPU.csdata,"",@progbits
; Function info:
; codeLenInByte = 9988
; NumSgprs: 38
; NumVgprs: 39
; NumAgprs: 0
; TotalNumVgprs: 39
; ScratchSize: 16
; MemoryBound: 0
	.section	.text._ZL18flash_attn_ext_f16ILi64ELi64ELi16ELi2ELb1ELb0EEvPKcS1_S1_S1_S1_PKiPfP15HIP_vector_typeIfLj2EEffffjfiS5_IjLj3EEiiiiiiiiiiiliiliiiiil,"axG",@progbits,_ZL18flash_attn_ext_f16ILi64ELi64ELi16ELi2ELb1ELb0EEvPKcS1_S1_S1_S1_PKiPfP15HIP_vector_typeIfLj2EEffffjfiS5_IjLj3EEiiiiiiiiiiiliiliiiiil,comdat
	.globl	_ZL18flash_attn_ext_f16ILi64ELi64ELi16ELi2ELb1ELb0EEvPKcS1_S1_S1_S1_PKiPfP15HIP_vector_typeIfLj2EEffffjfiS5_IjLj3EEiiiiiiiiiiiliiliiiiil ; -- Begin function _ZL18flash_attn_ext_f16ILi64ELi64ELi16ELi2ELb1ELb0EEvPKcS1_S1_S1_S1_PKiPfP15HIP_vector_typeIfLj2EEffffjfiS5_IjLj3EEiiiiiiiiiiiliiliiiiil
	.p2align	8
	.type	_ZL18flash_attn_ext_f16ILi64ELi64ELi16ELi2ELb1ELb0EEvPKcS1_S1_S1_S1_PKiPfP15HIP_vector_typeIfLj2EEffffjfiS5_IjLj3EEiiiiiiiiiiiliiliiiiil,@function
_ZL18flash_attn_ext_f16ILi64ELi64ELi16ELi2ELb1ELb0EEvPKcS1_S1_S1_S1_PKiPfP15HIP_vector_typeIfLj2EEffffjfiS5_IjLj3EEiiiiiiiiiiiliiliiiiil: ; @_ZL18flash_attn_ext_f16ILi64ELi64ELi16ELi2ELb1ELb0EEvPKcS1_S1_S1_S1_PKiPfP15HIP_vector_typeIfLj2EEffffjfiS5_IjLj3EEiiiiiiiiiiiliiliiiiil
; %bb.0:
	s_add_u32 flat_scratch_lo, s6, s9
	s_addc_u32 flat_scratch_hi, s7, 0
	s_add_u32 s0, s0, s9
	s_addc_u32 s1, s1, 0
	s_add_u32 s8, s4, 0xd0
	s_addc_u32 s9, s5, 0
	s_mov_b32 s32, 0
	s_getpc_b64 s[4:5]
	s_add_u32 s4, s4, _ZL14no_device_codePKciS0_iS0_@rel32@lo+4
	s_addc_u32 s5, s5, _ZL14no_device_codePKciS0_iS0_@rel32@hi+12
	s_swappc_b64 s[30:31], s[4:5]
	.section	.rodata,"a",@progbits
	.p2align	6, 0x0
	.amdhsa_kernel _ZL18flash_attn_ext_f16ILi64ELi64ELi16ELi2ELb1ELb0EEvPKcS1_S1_S1_S1_PKiPfP15HIP_vector_typeIfLj2EEffffjfiS5_IjLj3EEiiiiiiiiiiiliiliiiiil
		.amdhsa_group_segment_fixed_size 0
		.amdhsa_private_segment_fixed_size 16
		.amdhsa_kernarg_size 464
		.amdhsa_user_sgpr_count 8
		.amdhsa_user_sgpr_private_segment_buffer 1
		.amdhsa_user_sgpr_dispatch_ptr 0
		.amdhsa_user_sgpr_queue_ptr 0
		.amdhsa_user_sgpr_kernarg_segment_ptr 1
		.amdhsa_user_sgpr_dispatch_id 0
		.amdhsa_user_sgpr_flat_scratch_init 1
		.amdhsa_user_sgpr_kernarg_preload_length 0
		.amdhsa_user_sgpr_kernarg_preload_offset 0
		.amdhsa_user_sgpr_private_segment_size 0
		.amdhsa_uses_dynamic_stack 0
		.amdhsa_system_sgpr_private_segment_wavefront_offset 1
		.amdhsa_system_sgpr_workgroup_id_x 1
		.amdhsa_system_sgpr_workgroup_id_y 0
		.amdhsa_system_sgpr_workgroup_id_z 0
		.amdhsa_system_sgpr_workgroup_info 0
		.amdhsa_system_vgpr_workitem_id 0
		.amdhsa_next_free_vgpr 39
		.amdhsa_next_free_sgpr 34
		.amdhsa_accum_offset 40
		.amdhsa_reserve_vcc 1
		.amdhsa_reserve_flat_scratch 1
		.amdhsa_float_round_mode_32 0
		.amdhsa_float_round_mode_16_64 0
		.amdhsa_float_denorm_mode_32 3
		.amdhsa_float_denorm_mode_16_64 3
		.amdhsa_dx10_clamp 1
		.amdhsa_ieee_mode 1
		.amdhsa_fp16_overflow 0
		.amdhsa_tg_split 0
		.amdhsa_exception_fp_ieee_invalid_op 0
		.amdhsa_exception_fp_denorm_src 0
		.amdhsa_exception_fp_ieee_div_zero 0
		.amdhsa_exception_fp_ieee_overflow 0
		.amdhsa_exception_fp_ieee_underflow 0
		.amdhsa_exception_fp_ieee_inexact 0
		.amdhsa_exception_int_div_zero 0
	.end_amdhsa_kernel
	.section	.text._ZL18flash_attn_ext_f16ILi64ELi64ELi16ELi2ELb1ELb0EEvPKcS1_S1_S1_S1_PKiPfP15HIP_vector_typeIfLj2EEffffjfiS5_IjLj3EEiiiiiiiiiiiliiliiiiil,"axG",@progbits,_ZL18flash_attn_ext_f16ILi64ELi64ELi16ELi2ELb1ELb0EEvPKcS1_S1_S1_S1_PKiPfP15HIP_vector_typeIfLj2EEffffjfiS5_IjLj3EEiiiiiiiiiiiliiliiiiil,comdat
.Lfunc_end4:
	.size	_ZL18flash_attn_ext_f16ILi64ELi64ELi16ELi2ELb1ELb0EEvPKcS1_S1_S1_S1_PKiPfP15HIP_vector_typeIfLj2EEffffjfiS5_IjLj3EEiiiiiiiiiiiliiliiiiil, .Lfunc_end4-_ZL18flash_attn_ext_f16ILi64ELi64ELi16ELi2ELb1ELb0EEvPKcS1_S1_S1_S1_PKiPfP15HIP_vector_typeIfLj2EEffffjfiS5_IjLj3EEiiiiiiiiiiiliiliiiiil
                                        ; -- End function
	.section	.AMDGPU.csdata,"",@progbits
; Kernel info:
; codeLenInByte = 56
; NumSgprs: 40
; NumVgprs: 39
; NumAgprs: 0
; TotalNumVgprs: 39
; ScratchSize: 16
; MemoryBound: 0
; FloatMode: 240
; IeeeMode: 1
; LDSByteSize: 0 bytes/workgroup (compile time only)
; SGPRBlocks: 4
; VGPRBlocks: 4
; NumSGPRsForWavesPerEU: 40
; NumVGPRsForWavesPerEU: 39
; AccumOffset: 40
; Occupancy: 8
; WaveLimiterHint : 1
; COMPUTE_PGM_RSRC2:SCRATCH_EN: 1
; COMPUTE_PGM_RSRC2:USER_SGPR: 8
; COMPUTE_PGM_RSRC2:TRAP_HANDLER: 0
; COMPUTE_PGM_RSRC2:TGID_X_EN: 1
; COMPUTE_PGM_RSRC2:TGID_Y_EN: 0
; COMPUTE_PGM_RSRC2:TGID_Z_EN: 0
; COMPUTE_PGM_RSRC2:TIDIG_COMP_CNT: 0
; COMPUTE_PGM_RSRC3_GFX90A:ACCUM_OFFSET: 9
; COMPUTE_PGM_RSRC3_GFX90A:TG_SPLIT: 0
	.section	.text._ZL25flash_attn_mask_to_KV_maxILi16EEvPK7__half2Piiii,"axG",@progbits,_ZL25flash_attn_mask_to_KV_maxILi16EEvPK7__half2Piiii,comdat
	.globl	_ZL25flash_attn_mask_to_KV_maxILi16EEvPK7__half2Piiii ; -- Begin function _ZL25flash_attn_mask_to_KV_maxILi16EEvPK7__half2Piiii
	.p2align	8
	.type	_ZL25flash_attn_mask_to_KV_maxILi16EEvPK7__half2Piiii,@function
_ZL25flash_attn_mask_to_KV_maxILi16EEvPK7__half2Piiii: ; @_ZL25flash_attn_mask_to_KV_maxILi16EEvPK7__half2Piiii
; %bb.0:
	s_load_dwordx4 s[8:11], s[4:5], 0x0
	v_cmp_gt_u32_e32 vcc, 32, v0
	s_and_saveexec_b64 s[0:1], vcc
	s_cbranch_execz .LBB5_2
; %bb.1:
	v_lshlrev_b32_e32 v1, 2, v0
	v_mov_b32_e32 v2, 1
	ds_write_b32 v1, v2
.LBB5_2:
	s_or_b64 exec, exec, s[0:1]
	s_load_dwordx4 s[12:15], s[4:5], 0x10
	s_load_dword s33, s[4:5], 0x20
	v_and_b32_e32 v2, 31, v0
	v_lshlrev_b32_e32 v6, 2, v2
	v_lshrrev_b32_e32 v1, 3, v0
	s_waitcnt lgkmcnt(0)
	s_mul_i32 s1, s6, s13
	s_mul_i32 s0, s7, s14
	s_lshl_b32 s1, s1, 4
	s_add_i32 s0, s0, s1
	s_ashr_i32 s1, s0, 31
	s_lshl_b64 s[0:1], s[0:1], 2
	s_add_u32 s74, s8, s0
	s_addc_u32 s75, s9, s1
	v_cmp_eq_u32_e64 s[0:1], 0, v2
	v_mbcnt_lo_u32_b32 v2, -1, 0
	s_lshl_b32 s12, s12, 8
	s_mov_b64 s[4:5], 0
	v_mov_b32_e32 v3, 0
	s_movk_i32 s76, 0x204
	s_movk_i32 s77, 0x7fff
	s_movk_i32 s78, 0x7c00
	v_mbcnt_hi_u32_b32 v7, -1, v2
	s_barrier
	s_waitcnt lgkmcnt(0)
                                        ; implicit-def: $sgpr2_sgpr3
	s_branch .LBB5_5
.LBB5_3:                                ;   in Loop: Header=BB5_5 Depth=1
	s_or_b64 exec, exec, s[8:9]
	s_waitcnt lgkmcnt(0)
	s_barrier
	ds_read_b32 v10, v6
	s_waitcnt lgkmcnt(0)
	s_barrier
	ds_bpermute_b32 v2, v2, v10
	v_cmp_ne_u32_e32 vcc, 0, v10
	s_waitcnt lgkmcnt(0)
	v_cmp_ne_u32_e64 s[2:3], 0, v2
	s_and_b64 s[2:3], vcc, s[2:3]
	v_cndmask_b32_e64 v2, 0, 1, s[2:3]
	ds_bpermute_b32 v2, v4, v2
	s_waitcnt lgkmcnt(0)
	v_cmp_ne_u32_e32 vcc, 0, v2
	s_and_b64 s[2:3], vcc, s[2:3]
	v_cndmask_b32_e64 v2, 0, 1, s[2:3]
	ds_bpermute_b32 v2, v5, v2
	s_waitcnt lgkmcnt(0)
	v_cmp_ne_u32_e32 vcc, 0, v2
	;; [unrolled: 5-line block ×3, first 2 shown]
	s_and_b64 s[2:3], vcc, s[2:3]
	v_cndmask_b32_e64 v2, 0, 1, s[2:3]
	ds_bpermute_b32 v2, v9, v2
	s_xor_b64 s[2:3], s[2:3], -1
	s_waitcnt lgkmcnt(0)
	v_cmp_eq_u32_e32 vcc, 0, v2
	s_or_b64 s[2:3], vcc, s[2:3]
.LBB5_4:                                ;   in Loop: Header=BB5_5 Depth=1
	s_and_b64 s[8:9], exec, s[2:3]
	s_or_b64 s[4:5], s[8:9], s[4:5]
	v_mov_b32_e32 v2, s12
	s_mov_b32 s12, s79
	s_andn2_b64 exec, exec, s[4:5]
	s_cbranch_execz .LBB5_68
.LBB5_5:                                ; =>This Inner Loop Header: Depth=1
	s_add_i32 s79, s12, 0xffffff00
	s_or_b64 s[2:3], s[2:3], exec
	s_cmp_lt_i32 s79, 0
	s_cbranch_scc1 .LBB5_4
; %bb.6:                                ;   in Loop: Header=BB5_5 Depth=1
	s_lshr_b32 s2, s79, 1
	v_add_u32_e32 v2, s2, v0
	v_lshlrev_b64 v[4:5], 2, v[2:3]
	v_mov_b32_e32 v8, s75
	v_add_co_u32_e32 v4, vcc, s74, v4
	v_addc_co_u32_e32 v5, vcc, v8, v5, vcc
	global_load_dword v4, v[4:5], off
	s_mov_b64 s[8:9], 0
	s_waitcnt vmcnt(0)
	v_cmp_class_f16_e64 s[2:3], v4, s76
	v_and_b32_sdwa v4, s77, v4 dst_sel:DWORD dst_unused:UNUSED_PAD src0_sel:DWORD src1_sel:WORD_1
	v_cmp_eq_f16_e32 vcc, s78, v4
	s_and_b64 s[14:15], s[2:3], vcc
	s_and_saveexec_b64 s[2:3], s[14:15]
	s_cbranch_execz .LBB5_66
; %bb.7:                                ;   in Loop: Header=BB5_5 Depth=1
	v_add_u32_e32 v4, s13, v2
	v_ashrrev_i32_e32 v5, 31, v4
	v_lshlrev_b64 v[8:9], 2, v[4:5]
	v_mov_b32_e32 v2, s75
	v_add_co_u32_e32 v8, vcc, s74, v8
	v_addc_co_u32_e32 v9, vcc, v2, v9, vcc
	global_load_dword v2, v[8:9], off
	s_mov_b64 s[14:15], 0
	s_waitcnt vmcnt(0)
	v_cmp_class_f16_e64 s[16:17], v2, s76
	s_and_saveexec_b64 s[8:9], s[16:17]
	s_cbranch_execz .LBB5_65
; %bb.8:                                ;   in Loop: Header=BB5_5 Depth=1
	v_cmp_class_f16_sdwa s[18:19], v2, s76 src0_sel:WORD_1 src1_sel:DWORD
	s_mov_b64 s[16:17], 0
	s_and_saveexec_b64 s[14:15], s[18:19]
	s_cbranch_execz .LBB5_64
; %bb.9:                                ;   in Loop: Header=BB5_5 Depth=1
	v_add_u32_e32 v4, s13, v4
	v_ashrrev_i32_e32 v5, 31, v4
	v_lshlrev_b64 v[8:9], 2, v[4:5]
	v_mov_b32_e32 v2, s75
	v_add_co_u32_e32 v8, vcc, s74, v8
	v_addc_co_u32_e32 v9, vcc, v2, v9, vcc
	global_load_dword v2, v[8:9], off
	s_mov_b64 s[18:19], 0
	s_waitcnt vmcnt(0)
	v_cmp_class_f16_e64 s[20:21], v2, s76
	s_and_saveexec_b64 s[16:17], s[20:21]
	s_cbranch_execz .LBB5_63
; %bb.10:                               ;   in Loop: Header=BB5_5 Depth=1
	v_cmp_class_f16_sdwa s[22:23], v2, s76 src0_sel:WORD_1 src1_sel:DWORD
	s_mov_b64 s[20:21], 0
	s_and_saveexec_b64 s[18:19], s[22:23]
	s_cbranch_execz .LBB5_62
; %bb.11:                               ;   in Loop: Header=BB5_5 Depth=1
	v_add_u32_e32 v4, s13, v4
	v_ashrrev_i32_e32 v5, 31, v4
	v_lshlrev_b64 v[8:9], 2, v[4:5]
	v_mov_b32_e32 v2, s75
	v_add_co_u32_e32 v8, vcc, s74, v8
	v_addc_co_u32_e32 v9, vcc, v2, v9, vcc
	global_load_dword v2, v[8:9], off
	s_mov_b64 s[22:23], 0
	s_waitcnt vmcnt(0)
	v_cmp_class_f16_e64 s[24:25], v2, s76
	s_and_saveexec_b64 s[20:21], s[24:25]
	s_cbranch_execz .LBB5_61
; %bb.12:                               ;   in Loop: Header=BB5_5 Depth=1
	v_cmp_class_f16_sdwa s[26:27], v2, s76 src0_sel:WORD_1 src1_sel:DWORD
	s_mov_b64 s[24:25], 0
	s_and_saveexec_b64 s[22:23], s[26:27]
	s_cbranch_execz .LBB5_60
; %bb.13:                               ;   in Loop: Header=BB5_5 Depth=1
	;; [unrolled: 18-line block ×13, first 2 shown]
	v_add_u32_e32 v4, s13, v4
	v_ashrrev_i32_e32 v5, 31, v4
	v_lshlrev_b64 v[4:5], 2, v[4:5]
	v_mov_b32_e32 v2, s75
	v_add_co_u32_e32 v4, vcc, s74, v4
	v_addc_co_u32_e32 v5, vcc, v2, v5, vcc
	global_load_dword v2, v[4:5], off
	s_waitcnt vmcnt(0)
	v_cmp_class_f16_e64 s[80:81], v2, s76
	s_and_saveexec_b64 s[72:73], s[80:81]
; %bb.36:                               ;   in Loop: Header=BB5_5 Depth=1
	v_cmp_class_f16_sdwa s[70:71], v2, s76 src0_sel:WORD_1 src1_sel:DWORD
	s_and_b64 s[70:71], s[70:71], exec
; %bb.37:                               ;   in Loop: Header=BB5_5 Depth=1
	s_or_b64 exec, exec, s[72:73]
	s_and_b64 s[70:71], s[70:71], exec
.LBB5_38:                               ;   in Loop: Header=BB5_5 Depth=1
	s_or_b64 exec, exec, s[68:69]
	s_and_b64 s[68:69], s[70:71], exec
.LBB5_39:                               ;   in Loop: Header=BB5_5 Depth=1
	s_or_b64 exec, exec, s[66:67]
	s_and_b64 s[66:67], s[68:69], exec
.LBB5_40:                               ;   in Loop: Header=BB5_5 Depth=1
	s_or_b64 exec, exec, s[64:65]
	s_and_b64 s[64:65], s[66:67], exec
.LBB5_41:                               ;   in Loop: Header=BB5_5 Depth=1
	s_or_b64 exec, exec, s[62:63]
	s_and_b64 s[62:63], s[64:65], exec
.LBB5_42:                               ;   in Loop: Header=BB5_5 Depth=1
	s_or_b64 exec, exec, s[60:61]
	s_and_b64 s[60:61], s[62:63], exec
.LBB5_43:                               ;   in Loop: Header=BB5_5 Depth=1
	s_or_b64 exec, exec, s[58:59]
	s_and_b64 s[58:59], s[60:61], exec
.LBB5_44:                               ;   in Loop: Header=BB5_5 Depth=1
	s_or_b64 exec, exec, s[56:57]
	s_and_b64 s[56:57], s[58:59], exec
.LBB5_45:                               ;   in Loop: Header=BB5_5 Depth=1
	s_or_b64 exec, exec, s[54:55]
	s_and_b64 s[54:55], s[56:57], exec
.LBB5_46:                               ;   in Loop: Header=BB5_5 Depth=1
	s_or_b64 exec, exec, s[52:53]
	s_and_b64 s[52:53], s[54:55], exec
.LBB5_47:                               ;   in Loop: Header=BB5_5 Depth=1
	s_or_b64 exec, exec, s[50:51]
	s_and_b64 s[50:51], s[52:53], exec
.LBB5_48:                               ;   in Loop: Header=BB5_5 Depth=1
	s_or_b64 exec, exec, s[48:49]
	s_and_b64 s[48:49], s[50:51], exec
.LBB5_49:                               ;   in Loop: Header=BB5_5 Depth=1
	s_or_b64 exec, exec, s[46:47]
	s_and_b64 s[46:47], s[48:49], exec
.LBB5_50:                               ;   in Loop: Header=BB5_5 Depth=1
	s_or_b64 exec, exec, s[44:45]
	s_and_b64 s[44:45], s[46:47], exec
.LBB5_51:                               ;   in Loop: Header=BB5_5 Depth=1
	s_or_b64 exec, exec, s[42:43]
	s_and_b64 s[42:43], s[44:45], exec
.LBB5_52:                               ;   in Loop: Header=BB5_5 Depth=1
	s_or_b64 exec, exec, s[40:41]
	s_and_b64 s[40:41], s[42:43], exec
.LBB5_53:                               ;   in Loop: Header=BB5_5 Depth=1
	s_or_b64 exec, exec, s[38:39]
	s_and_b64 s[38:39], s[40:41], exec
.LBB5_54:                               ;   in Loop: Header=BB5_5 Depth=1
	s_or_b64 exec, exec, s[36:37]
	s_and_b64 s[36:37], s[38:39], exec
.LBB5_55:                               ;   in Loop: Header=BB5_5 Depth=1
	s_or_b64 exec, exec, s[34:35]
	s_and_b64 s[34:35], s[36:37], exec
.LBB5_56:                               ;   in Loop: Header=BB5_5 Depth=1
	s_or_b64 exec, exec, s[30:31]
	s_and_b64 s[30:31], s[34:35], exec
.LBB5_57:                               ;   in Loop: Header=BB5_5 Depth=1
	s_or_b64 exec, exec, s[28:29]
	s_and_b64 s[28:29], s[30:31], exec
.LBB5_58:                               ;   in Loop: Header=BB5_5 Depth=1
	s_or_b64 exec, exec, s[26:27]
	s_and_b64 s[26:27], s[28:29], exec
.LBB5_59:                               ;   in Loop: Header=BB5_5 Depth=1
	s_or_b64 exec, exec, s[24:25]
	s_and_b64 s[24:25], s[26:27], exec
.LBB5_60:                               ;   in Loop: Header=BB5_5 Depth=1
	s_or_b64 exec, exec, s[22:23]
	s_and_b64 s[22:23], s[24:25], exec
.LBB5_61:                               ;   in Loop: Header=BB5_5 Depth=1
	s_or_b64 exec, exec, s[20:21]
	s_and_b64 s[20:21], s[22:23], exec
.LBB5_62:                               ;   in Loop: Header=BB5_5 Depth=1
	s_or_b64 exec, exec, s[18:19]
	s_and_b64 s[18:19], s[20:21], exec
.LBB5_63:                               ;   in Loop: Header=BB5_5 Depth=1
	s_or_b64 exec, exec, s[16:17]
	s_and_b64 s[16:17], s[18:19], exec
.LBB5_64:                               ;   in Loop: Header=BB5_5 Depth=1
	s_or_b64 exec, exec, s[14:15]
	s_and_b64 s[14:15], s[16:17], exec
.LBB5_65:                               ;   in Loop: Header=BB5_5 Depth=1
	s_or_b64 exec, exec, s[8:9]
	s_and_b64 s[8:9], s[14:15], exec
.LBB5_66:                               ;   in Loop: Header=BB5_5 Depth=1
	s_or_b64 exec, exec, s[2:3]
	v_and_b32_e32 v2, 0x60, v7
	v_add_u32_e32 v9, 32, v2
	v_xor_b32_e32 v2, 16, v7
	v_cmp_lt_i32_e32 vcc, v2, v9
	v_cndmask_b32_e32 v2, v7, v2, vcc
	v_cndmask_b32_e64 v4, 0, 1, s[8:9]
	v_lshlrev_b32_e32 v2, 2, v2
	ds_bpermute_b32 v4, v2, v4
	v_xor_b32_e32 v11, 1, v7
	s_waitcnt lgkmcnt(0)
	v_cmp_ne_u32_e32 vcc, 0, v4
	v_xor_b32_e32 v4, 8, v7
	s_and_b64 s[2:3], s[8:9], vcc
	v_cmp_lt_i32_e32 vcc, v4, v9
	v_cndmask_b32_e32 v4, v7, v4, vcc
	v_cndmask_b32_e64 v5, 0, 1, s[2:3]
	v_lshlrev_b32_e32 v4, 2, v4
	ds_bpermute_b32 v5, v4, v5
	s_waitcnt lgkmcnt(0)
	v_cmp_ne_u32_e32 vcc, 0, v5
	v_xor_b32_e32 v5, 4, v7
	s_and_b64 s[2:3], vcc, s[2:3]
	v_cmp_lt_i32_e32 vcc, v5, v9
	v_cndmask_b32_e32 v5, v7, v5, vcc
	v_cndmask_b32_e64 v8, 0, 1, s[2:3]
	v_lshlrev_b32_e32 v5, 2, v5
	ds_bpermute_b32 v8, v5, v8
	s_waitcnt lgkmcnt(0)
	v_cmp_ne_u32_e32 vcc, 0, v8
	v_xor_b32_e32 v8, 2, v7
	s_and_b64 s[2:3], vcc, s[2:3]
	v_cmp_lt_i32_e32 vcc, v8, v9
	v_cndmask_b32_e32 v8, v7, v8, vcc
	v_cndmask_b32_e64 v10, 0, 1, s[2:3]
	v_lshlrev_b32_e32 v8, 2, v8
	ds_bpermute_b32 v10, v8, v10
	s_waitcnt lgkmcnt(0)
	v_cmp_ne_u32_e32 vcc, 0, v10
	s_and_b64 s[2:3], vcc, s[2:3]
	v_cmp_lt_i32_e32 vcc, v11, v9
	v_cndmask_b32_e32 v9, v7, v11, vcc
	v_cndmask_b32_e64 v10, 0, 1, s[2:3]
	v_lshlrev_b32_e32 v9, 2, v9
	ds_bpermute_b32 v10, v9, v10
	s_and_saveexec_b64 s[8:9], s[0:1]
	s_cbranch_execz .LBB5_3
; %bb.67:                               ;   in Loop: Header=BB5_5 Depth=1
	s_waitcnt lgkmcnt(0)
	v_cmp_ne_u32_e32 vcc, 0, v10
	s_and_b64 s[2:3], vcc, s[2:3]
	v_cndmask_b32_e64 v10, 0, 1, s[2:3]
	ds_write_b32 v1, v10
	s_branch .LBB5_3
.LBB5_68:
	s_or_b64 exec, exec, s[4:5]
	v_cmp_eq_u32_e32 vcc, 0, v0
	s_and_saveexec_b64 s[0:1], vcc
	s_cbranch_execz .LBB5_70
; %bb.69:
	s_mul_i32 s0, s33, s7
	s_add_i32 s0, s0, s6
	s_ashr_i32 s1, s0, 31
	s_lshl_b64 s[0:1], s[0:1], 2
	s_add_u32 s0, s10, s0
	s_addc_u32 s1, s11, s1
	v_mov_b32_e32 v0, 0
	global_store_dword v0, v2, s[0:1]
.LBB5_70:
	s_endpgm
	.section	.rodata,"a",@progbits
	.p2align	6, 0x0
	.amdhsa_kernel _ZL25flash_attn_mask_to_KV_maxILi16EEvPK7__half2Piiii
		.amdhsa_group_segment_fixed_size 128
		.amdhsa_private_segment_fixed_size 0
		.amdhsa_kernarg_size 288
		.amdhsa_user_sgpr_count 6
		.amdhsa_user_sgpr_private_segment_buffer 1
		.amdhsa_user_sgpr_dispatch_ptr 0
		.amdhsa_user_sgpr_queue_ptr 0
		.amdhsa_user_sgpr_kernarg_segment_ptr 1
		.amdhsa_user_sgpr_dispatch_id 0
		.amdhsa_user_sgpr_flat_scratch_init 0
		.amdhsa_user_sgpr_kernarg_preload_length 0
		.amdhsa_user_sgpr_kernarg_preload_offset 0
		.amdhsa_user_sgpr_private_segment_size 0
		.amdhsa_uses_dynamic_stack 0
		.amdhsa_system_sgpr_private_segment_wavefront_offset 0
		.amdhsa_system_sgpr_workgroup_id_x 1
		.amdhsa_system_sgpr_workgroup_id_y 1
		.amdhsa_system_sgpr_workgroup_id_z 0
		.amdhsa_system_sgpr_workgroup_info 0
		.amdhsa_system_vgpr_workitem_id 0
		.amdhsa_next_free_vgpr 12
		.amdhsa_next_free_sgpr 82
		.amdhsa_accum_offset 12
		.amdhsa_reserve_vcc 1
		.amdhsa_reserve_flat_scratch 0
		.amdhsa_float_round_mode_32 0
		.amdhsa_float_round_mode_16_64 0
		.amdhsa_float_denorm_mode_32 3
		.amdhsa_float_denorm_mode_16_64 3
		.amdhsa_dx10_clamp 1
		.amdhsa_ieee_mode 1
		.amdhsa_fp16_overflow 0
		.amdhsa_tg_split 0
		.amdhsa_exception_fp_ieee_invalid_op 0
		.amdhsa_exception_fp_denorm_src 0
		.amdhsa_exception_fp_ieee_div_zero 0
		.amdhsa_exception_fp_ieee_overflow 0
		.amdhsa_exception_fp_ieee_underflow 0
		.amdhsa_exception_fp_ieee_inexact 0
		.amdhsa_exception_int_div_zero 0
	.end_amdhsa_kernel
	.section	.text._ZL25flash_attn_mask_to_KV_maxILi16EEvPK7__half2Piiii,"axG",@progbits,_ZL25flash_attn_mask_to_KV_maxILi16EEvPK7__half2Piiii,comdat
.Lfunc_end5:
	.size	_ZL25flash_attn_mask_to_KV_maxILi16EEvPK7__half2Piiii, .Lfunc_end5-_ZL25flash_attn_mask_to_KV_maxILi16EEvPK7__half2Piiii
                                        ; -- End function
	.section	.AMDGPU.csdata,"",@progbits
; Kernel info:
; codeLenInByte = 2192
; NumSgprs: 86
; NumVgprs: 12
; NumAgprs: 0
; TotalNumVgprs: 12
; ScratchSize: 0
; MemoryBound: 0
; FloatMode: 240
; IeeeMode: 1
; LDSByteSize: 128 bytes/workgroup (compile time only)
; SGPRBlocks: 10
; VGPRBlocks: 1
; NumSGPRsForWavesPerEU: 86
; NumVGPRsForWavesPerEU: 12
; AccumOffset: 12
; Occupancy: 8
; WaveLimiterHint : 0
; COMPUTE_PGM_RSRC2:SCRATCH_EN: 0
; COMPUTE_PGM_RSRC2:USER_SGPR: 6
; COMPUTE_PGM_RSRC2:TRAP_HANDLER: 0
; COMPUTE_PGM_RSRC2:TGID_X_EN: 1
; COMPUTE_PGM_RSRC2:TGID_Y_EN: 1
; COMPUTE_PGM_RSRC2:TGID_Z_EN: 0
; COMPUTE_PGM_RSRC2:TIDIG_COMP_CNT: 0
; COMPUTE_PGM_RSRC3_GFX90A:ACCUM_OFFSET: 2
; COMPUTE_PGM_RSRC3_GFX90A:TG_SPLIT: 0
	.section	.text._ZL33flash_attn_stream_k_fixup_uniformILi64ELi16ELi2EEvPfPK15HIP_vector_typeIfLj2EEiiiiiiS1_IjLj3EES5_S5_,"axG",@progbits,_ZL33flash_attn_stream_k_fixup_uniformILi64ELi16ELi2EEvPfPK15HIP_vector_typeIfLj2EEiiiiiiS1_IjLj3EES5_S5_,comdat
	.globl	_ZL33flash_attn_stream_k_fixup_uniformILi64ELi16ELi2EEvPfPK15HIP_vector_typeIfLj2EEiiiiiiS1_IjLj3EES5_S5_ ; -- Begin function _ZL33flash_attn_stream_k_fixup_uniformILi64ELi16ELi2EEvPfPK15HIP_vector_typeIfLj2EEiiiiiiS1_IjLj3EES5_S5_
	.p2align	8
	.type	_ZL33flash_attn_stream_k_fixup_uniformILi64ELi16ELi2EEvPfPK15HIP_vector_typeIfLj2EEiiiiiiS1_IjLj3EES5_S5_,@function
_ZL33flash_attn_stream_k_fixup_uniformILi64ELi16ELi2EEvPfPK15HIP_vector_typeIfLj2EEiiiiiiS1_IjLj3EES5_S5_: ; @_ZL33flash_attn_stream_k_fixup_uniformILi64ELi16ELi2EEvPfPK15HIP_vector_typeIfLj2EEiiiiiiS1_IjLj3EES5_S5_
; %bb.0:
	s_load_dwordx8 s[12:19], s[4:5], 0x1c
	s_load_dwordx2 s[10:11], s[4:5], 0x10
	s_load_dwordx4 s[0:3], s[4:5], 0x3c
	s_waitcnt lgkmcnt(0)
	s_mul_hi_u32 s9, s15, s6
	s_add_i32 s9, s6, s9
	s_lshr_b32 s9, s9, s16
	s_mul_i32 s15, s9, s17
	s_sub_i32 s15, s6, s15
	s_mul_hi_u32 s16, s15, s18
	s_add_i32 s16, s15, s16
	s_lshr_b32 s16, s16, s19
	s_mul_i32 s0, s16, s0
	s_sub_i32 s0, s15, s0
	;; [unrolled: 5-line block ×3, first 2 shown]
	s_lshl_b32 s0, s17, 4
	s_lshl_b32 s15, s1, 1
	s_add_i32 s0, s0, s7
	s_cmp_lt_i32 s0, s10
	s_cselect_b64 s[0:1], -1, 0
	s_add_i32 s2, s15, s8
	s_cmp_lt_i32 s2, s13
	s_cselect_b64 s[2:3], -1, 0
	s_and_b64 s[0:1], s[0:1], s[2:3]
	s_andn2_b64 vcc, exec, s[0:1]
	s_cbranch_vccnz .LBB6_6
; %bb.1:
	s_load_dwordx4 s[0:3], s[4:5], 0x0
	s_mul_i32 s4, s9, s10
	s_add_i32 s4, s4, s7
	s_mul_i32 s4, s4, s11
	s_mul_i32 s16, s16, s13
	s_add_i32 s4, s4, s8
	s_add_i32 s4, s4, s16
	s_mul_i32 s5, s11, s17
	s_add_i32 s4, s4, s15
	s_lshl_b32 s5, s5, 10
	s_lshl_b32 s4, s4, 6
	s_add_i32 s5, s5, s4
	v_or_b32_e32 v2, s5, v0
	v_ashrrev_i32_e32 v3, 31, v2
	v_lshlrev_b64 v[2:3], 2, v[2:3]
	s_waitcnt lgkmcnt(0)
	v_mov_b32_e32 v1, s1
	v_add_co_u32_e32 v2, vcc, s0, v2
	v_addc_co_u32_e32 v3, vcc, v1, v3, vcc
	global_load_dword v8, v[2:3], off
	s_mul_i32 s9, s6, s14
	s_lshl_b32 s4, s7, 1
	s_add_i32 s11, s9, s14
	s_add_i32 s0, s4, s8
	s_lshl_b32 s1, s11, 5
	s_add_i32 s0, s0, s1
	s_sub_i32 s0, s0, 32
	s_ashr_i32 s1, s0, 31
	s_lshl_b64 s[0:1], s[0:1], 3
	s_add_u32 s0, s2, s0
	s_addc_u32 s1, s3, s1
	s_load_dword s5, s[0:1], 0x4
	s_add_i32 s10, s11, -2
	s_cmp_lt_i32 s10, s9
	s_cbranch_scc1 .LBB6_4
; %bb.2:
	s_lshl_b32 s16, s12, 7
	s_ashr_i32 s17, s16, 31
	s_lshl_b64 s[16:17], s[16:17], 2
	s_add_u32 s10, s2, s16
	s_addc_u32 s13, s3, s17
	s_add_i32 s6, s6, 1
	s_load_dword s0, s[0:1], 0x0
	s_mul_i32 s1, s14, s6
	s_lshl_b32 s7, s7, 7
	s_lshl_b32 s14, s8, 6
	;; [unrolled: 1-line block ×3, first 2 shown]
	s_add_i32 s7, s14, s7
	s_lshl_b32 s1, s1, 5
	s_add_i32 s7, s7, s6
	s_add_i32 s1, s8, s1
	s_lshl_b32 s6, s12, 5
	s_add_i32 s1, s1, s6
	v_or_b32_e32 v0, s7, v0
	s_add_i32 s1, s1, s4
	s_add_i32 s11, s11, -1
	v_add_u32_e32 v0, 0xfffff000, v0
	s_sub_i32 s4, s1, 64
	s_waitcnt lgkmcnt(0)
	v_mov_b32_e32 v7, s5
	v_mov_b32_e32 v6, s0
	v_mov_b32_e32 v4, s13
	s_mov_b32 s6, 0x3fb8aa3b
	s_mov_b32 s7, 0xc2ce8ed0
	;; [unrolled: 1-line block ×3, first 2 shown]
	v_mov_b32_e32 v5, 0x7f800000
	s_mov_b32 s12, 0xc1a00000
.LBB6_3:                                ; =>This Inner Loop Header: Depth=1
	v_ashrrev_i32_e32 v1, 31, v0
	v_lshlrev_b64 v[10:11], 2, v[0:1]
	v_add_co_u32_e32 v10, vcc, s10, v10
	v_addc_co_u32_e32 v11, vcc, v4, v11, vcc
	global_load_dword v1, v[10:11], off
	s_ashr_i32 s5, s4, 31
	s_lshl_b64 s[0:1], s[4:5], 3
	s_add_u32 s0, s2, s0
	s_addc_u32 s1, s3, s1
	s_load_dwordx2 s[14:15], s[0:1], 0x0
	s_waitcnt vmcnt(1)
	v_mov_b32_e32 v9, v8
	v_max_f32_e32 v8, v6, v6
	v_mov_b32_e32 v10, v7
	s_add_i32 s11, s11, -1
	s_waitcnt lgkmcnt(0)
	v_max_f32_e64 v7, s14, s14
	v_max_f32_e32 v7, v8, v7
	v_sub_f32_e32 v11, s14, v7
	v_sub_f32_e32 v8, v6, v7
	v_mul_f32_e32 v12, 0x3fb8aa3b, v11
	v_mov_b32_e32 v6, v7
	v_mul_f32_e32 v7, 0x3fb8aa3b, v8
	v_fma_f32 v15, v11, s6, -v12
	v_rndne_f32_e32 v16, v12
	v_fma_f32 v13, v8, s6, -v7
	v_rndne_f32_e32 v14, v7
	v_fmac_f32_e32 v15, 0x32a5705f, v11
	v_sub_f32_e32 v12, v12, v16
	v_fmac_f32_e32 v13, 0x32a5705f, v8
	v_sub_f32_e32 v7, v7, v14
	v_add_f32_e32 v12, v12, v15
	v_cvt_i32_f32_e32 v16, v16
	v_add_f32_e32 v7, v7, v13
	v_exp_f32_e32 v12, v12
	v_cvt_i32_f32_e32 v14, v14
	v_exp_f32_e32 v7, v7
	v_cmp_ngt_f32_e32 vcc, s7, v11
	v_ldexp_f32 v12, v12, v16
	v_cmp_ngt_f32_e64 s[0:1], s7, v8
	v_ldexp_f32 v7, v7, v14
	v_cndmask_b32_e32 v12, 0, v12, vcc
	v_cmp_nlt_f32_e32 vcc, s8, v11
	v_cndmask_b32_e64 v7, 0, v7, s[0:1]
	v_cmp_nlt_f32_e64 s[0:1], s8, v8
	v_cndmask_b32_e32 v12, v5, v12, vcc
	v_cmp_le_f32_e32 vcc, s12, v11
	v_cndmask_b32_e64 v7, v5, v7, s[0:1]
	v_cmp_le_f32_e64 s[0:1], s12, v8
	v_cndmask_b32_e32 v8, 0, v12, vcc
	s_sub_i32 s4, s4, 32
	v_cndmask_b32_e64 v11, 0, v7, s[0:1]
	v_mul_f32_e32 v7, s15, v8
	v_add_u32_e32 v0, 0xfffff800, v0
	s_cmp_le_i32 s11, s9
	v_fmac_f32_e32 v7, v10, v11
	s_waitcnt vmcnt(0)
	v_mul_f32_e32 v8, v1, v8
	v_fmac_f32_e32 v8, v9, v11
	s_cbranch_scc0 .LBB6_3
	s_branch .LBB6_5
.LBB6_4:
	s_waitcnt lgkmcnt(0)
	v_mov_b32_e32 v7, s5
.LBB6_5:
	s_waitcnt vmcnt(0)
	v_div_scale_f32 v0, s[0:1], v7, v7, v8
	v_rcp_f32_e32 v1, v0
	v_div_scale_f32 v4, vcc, v8, v7, v8
	v_fma_f32 v5, -v0, v1, 1.0
	v_fmac_f32_e32 v1, v5, v1
	v_mul_f32_e32 v5, v4, v1
	v_fma_f32 v6, -v0, v5, v4
	v_fmac_f32_e32 v5, v6, v1
	v_fma_f32 v0, -v0, v5, v4
	v_div_fmas_f32 v0, v0, v1, v5
	v_div_fixup_f32 v0, v0, v7, v8
	global_store_dword v[2:3], v0, off
.LBB6_6:
	s_endpgm
	.section	.rodata,"a",@progbits
	.p2align	6, 0x0
	.amdhsa_kernel _ZL33flash_attn_stream_k_fixup_uniformILi64ELi16ELi2EEvPfPK15HIP_vector_typeIfLj2EEiiiiiiS1_IjLj3EES5_S5_
		.amdhsa_group_segment_fixed_size 0
		.amdhsa_private_segment_fixed_size 0
		.amdhsa_kernarg_size 76
		.amdhsa_user_sgpr_count 6
		.amdhsa_user_sgpr_private_segment_buffer 1
		.amdhsa_user_sgpr_dispatch_ptr 0
		.amdhsa_user_sgpr_queue_ptr 0
		.amdhsa_user_sgpr_kernarg_segment_ptr 1
		.amdhsa_user_sgpr_dispatch_id 0
		.amdhsa_user_sgpr_flat_scratch_init 0
		.amdhsa_user_sgpr_kernarg_preload_length 0
		.amdhsa_user_sgpr_kernarg_preload_offset 0
		.amdhsa_user_sgpr_private_segment_size 0
		.amdhsa_uses_dynamic_stack 0
		.amdhsa_system_sgpr_private_segment_wavefront_offset 0
		.amdhsa_system_sgpr_workgroup_id_x 1
		.amdhsa_system_sgpr_workgroup_id_y 1
		.amdhsa_system_sgpr_workgroup_id_z 1
		.amdhsa_system_sgpr_workgroup_info 0
		.amdhsa_system_vgpr_workitem_id 0
		.amdhsa_next_free_vgpr 17
		.amdhsa_next_free_sgpr 20
		.amdhsa_accum_offset 20
		.amdhsa_reserve_vcc 1
		.amdhsa_reserve_flat_scratch 0
		.amdhsa_float_round_mode_32 0
		.amdhsa_float_round_mode_16_64 0
		.amdhsa_float_denorm_mode_32 3
		.amdhsa_float_denorm_mode_16_64 3
		.amdhsa_dx10_clamp 1
		.amdhsa_ieee_mode 1
		.amdhsa_fp16_overflow 0
		.amdhsa_tg_split 0
		.amdhsa_exception_fp_ieee_invalid_op 0
		.amdhsa_exception_fp_denorm_src 0
		.amdhsa_exception_fp_ieee_div_zero 0
		.amdhsa_exception_fp_ieee_overflow 0
		.amdhsa_exception_fp_ieee_underflow 0
		.amdhsa_exception_fp_ieee_inexact 0
		.amdhsa_exception_int_div_zero 0
	.end_amdhsa_kernel
	.section	.text._ZL33flash_attn_stream_k_fixup_uniformILi64ELi16ELi2EEvPfPK15HIP_vector_typeIfLj2EEiiiiiiS1_IjLj3EES5_S5_,"axG",@progbits,_ZL33flash_attn_stream_k_fixup_uniformILi64ELi16ELi2EEvPfPK15HIP_vector_typeIfLj2EEiiiiiiS1_IjLj3EES5_S5_,comdat
.Lfunc_end6:
	.size	_ZL33flash_attn_stream_k_fixup_uniformILi64ELi16ELi2EEvPfPK15HIP_vector_typeIfLj2EEiiiiiiS1_IjLj3EES5_S5_, .Lfunc_end6-_ZL33flash_attn_stream_k_fixup_uniformILi64ELi16ELi2EEvPfPK15HIP_vector_typeIfLj2EEiiiiiiS1_IjLj3EES5_S5_
                                        ; -- End function
	.section	.AMDGPU.csdata,"",@progbits
; Kernel info:
; codeLenInByte = 856
; NumSgprs: 24
; NumVgprs: 17
; NumAgprs: 0
; TotalNumVgprs: 17
; ScratchSize: 0
; MemoryBound: 0
; FloatMode: 240
; IeeeMode: 1
; LDSByteSize: 0 bytes/workgroup (compile time only)
; SGPRBlocks: 2
; VGPRBlocks: 2
; NumSGPRsForWavesPerEU: 24
; NumVGPRsForWavesPerEU: 17
; AccumOffset: 20
; Occupancy: 8
; WaveLimiterHint : 0
; COMPUTE_PGM_RSRC2:SCRATCH_EN: 0
; COMPUTE_PGM_RSRC2:USER_SGPR: 6
; COMPUTE_PGM_RSRC2:TRAP_HANDLER: 0
; COMPUTE_PGM_RSRC2:TGID_X_EN: 1
; COMPUTE_PGM_RSRC2:TGID_Y_EN: 1
; COMPUTE_PGM_RSRC2:TGID_Z_EN: 1
; COMPUTE_PGM_RSRC2:TIDIG_COMP_CNT: 0
; COMPUTE_PGM_RSRC3_GFX90A:ACCUM_OFFSET: 4
; COMPUTE_PGM_RSRC3_GFX90A:TG_SPLIT: 0
	.section	.text._ZL33flash_attn_stream_k_fixup_generalILi64ELi16ELi2EEvPfPK15HIP_vector_typeIfLj2EEiiiiS1_IjLj3EES5_S5_S5_,"axG",@progbits,_ZL33flash_attn_stream_k_fixup_generalILi64ELi16ELi2EEvPfPK15HIP_vector_typeIfLj2EEiiiiS1_IjLj3EES5_S5_S5_,comdat
	.globl	_ZL33flash_attn_stream_k_fixup_generalILi64ELi16ELi2EEvPfPK15HIP_vector_typeIfLj2EEiiiiS1_IjLj3EES5_S5_S5_ ; -- Begin function _ZL33flash_attn_stream_k_fixup_generalILi64ELi16ELi2EEvPfPK15HIP_vector_typeIfLj2EEiiiiS1_IjLj3EES5_S5_S5_
	.p2align	8
	.type	_ZL33flash_attn_stream_k_fixup_generalILi64ELi16ELi2EEvPfPK15HIP_vector_typeIfLj2EEiiiiS1_IjLj3EES5_S5_S5_,@function
_ZL33flash_attn_stream_k_fixup_generalILi64ELi16ELi2EEvPfPK15HIP_vector_typeIfLj2EEiiiiS1_IjLj3EES5_S5_S5_: ; @_ZL33flash_attn_stream_k_fixup_generalILi64ELi16ELi2EEvPfPK15HIP_vector_typeIfLj2EEiiiiS1_IjLj3EES5_S5_S5_
; %bb.0:
	s_load_dwordx4 s[12:15], s[4:5], 0x10
	s_load_dword s9, s[4:5], 0x50
	s_mov_b32 s2, 0
	s_waitcnt lgkmcnt(0)
	s_mul_hi_i32 s3, s15, s6
	s_cmp_lg_u64 s[2:3], 0
	s_mul_i32 s2, s15, s6
	s_cbranch_scc0 .LBB7_21
; %bb.1:
	v_cvt_f32_u32_e32 v1, s9
	v_cvt_f32_ubyte0_e32 v2, 0
	s_sub_u32 s10, 0, s9
	s_subb_u32 s11, 0, 0
	v_madmk_f32 v1, v2, 0x4f800000, v1
	v_rcp_f32_e32 v1, v1
	v_mul_f32_e32 v1, 0x5f7ffffc, v1
	v_mul_f32_e32 v2, 0x2f800000, v1
	v_trunc_f32_e32 v2, v2
	v_madmk_f32 v1, v2, 0xcf800000, v1
	v_cvt_u32_f32_e32 v2, v2
	v_cvt_u32_f32_e32 v1, v1
	v_readfirstlane_b32 s16, v2
	v_readfirstlane_b32 s17, v1
	s_mul_i32 s18, s10, s16
	s_mul_hi_u32 s20, s10, s17
	s_mul_i32 s19, s11, s17
	s_add_i32 s18, s20, s18
	s_add_i32 s18, s18, s19
	s_mul_i32 s21, s10, s17
	s_mul_hi_u32 s19, s17, s18
	s_mul_i32 s20, s17, s18
	s_mul_hi_u32 s17, s17, s21
	s_add_u32 s17, s17, s20
	s_addc_u32 s19, 0, s19
	s_mul_hi_u32 s22, s16, s21
	s_mul_i32 s21, s16, s21
	s_add_u32 s17, s17, s21
	s_mul_hi_u32 s20, s16, s18
	s_addc_u32 s17, s19, s22
	s_addc_u32 s19, s20, 0
	s_mul_i32 s18, s16, s18
	s_add_u32 s17, s17, s18
	s_addc_u32 s18, 0, s19
	v_add_co_u32_e32 v1, vcc, s17, v1
	s_cmp_lg_u64 vcc, 0
	s_addc_u32 s16, s16, s18
	v_readfirstlane_b32 s18, v1
	s_mul_i32 s17, s10, s16
	s_mul_hi_u32 s19, s10, s18
	s_add_i32 s17, s19, s17
	s_mul_i32 s11, s11, s18
	s_add_i32 s17, s17, s11
	s_mul_i32 s10, s10, s18
	s_mul_hi_u32 s19, s16, s10
	s_mul_i32 s20, s16, s10
	s_mul_i32 s22, s18, s17
	s_mul_hi_u32 s10, s18, s10
	s_mul_hi_u32 s21, s18, s17
	s_add_u32 s10, s10, s22
	s_addc_u32 s18, 0, s21
	s_add_u32 s10, s10, s20
	s_mul_hi_u32 s11, s16, s17
	s_addc_u32 s10, s18, s19
	s_addc_u32 s11, s11, 0
	s_mul_i32 s17, s16, s17
	s_add_u32 s10, s10, s17
	s_addc_u32 s11, 0, s11
	v_add_co_u32_e32 v1, vcc, s10, v1
	s_cmp_lg_u64 vcc, 0
	s_addc_u32 s18, s16, s11
	s_ashr_i32 s10, s3, 31
	s_add_u32 s16, s2, s10
	s_mov_b32 s11, s10
	s_addc_u32 s17, s3, s10
	s_xor_b64 s[16:17], s[16:17], s[10:11]
	v_readfirstlane_b32 s20, v1
	s_mul_i32 s19, s16, s18
	s_mul_hi_u32 s21, s16, s20
	s_mul_hi_u32 s3, s16, s18
	s_add_u32 s19, s21, s19
	s_addc_u32 s3, 0, s3
	s_mul_hi_u32 s22, s17, s20
	s_mul_i32 s20, s17, s20
	s_add_u32 s19, s19, s20
	s_mul_hi_u32 s21, s17, s18
	s_addc_u32 s3, s3, s22
	s_addc_u32 s19, s21, 0
	s_mul_i32 s18, s17, s18
	s_add_u32 s3, s3, s18
	s_addc_u32 s18, 0, s19
	s_add_u32 s19, s3, 1
	s_addc_u32 s20, s18, 0
	s_add_u32 s21, s3, 2
	s_mul_i32 s23, s9, s18
	s_mul_hi_u32 s24, s9, s3
	s_addc_u32 s22, s18, 0
	s_add_i32 s24, s24, s23
	s_mul_i32 s23, s9, s3
	v_mov_b32_e32 v1, s23
	v_sub_co_u32_e32 v1, vcc, s16, v1
	s_cmp_lg_u64 vcc, 0
	s_subb_u32 s16, s17, s24
	v_subrev_co_u32_e32 v2, vcc, s9, v1
	s_cmp_lg_u64 vcc, 0
	s_subb_u32 s17, s16, 0
	v_readfirstlane_b32 s23, v2
	s_cmp_ge_u32 s23, s9
	s_cselect_b32 s23, -1, 0
	s_cmp_eq_u32 s17, 0
	s_cselect_b32 s17, s23, -1
	s_cmp_lg_u32 s17, 0
	s_cselect_b32 s17, s22, s20
	v_readfirstlane_b32 s20, v1
	s_cselect_b32 s19, s21, s19
	s_cmp_ge_u32 s20, s9
	s_cselect_b32 s20, -1, 0
	s_cmp_eq_u32 s16, 0
	s_cselect_b32 s16, s20, -1
	s_cmp_lg_u32 s16, 0
	s_cselect_b32 s17, s17, s18
	s_cselect_b32 s16, s19, s3
	s_xor_b64 s[16:17], s[16:17], s[10:11]
	s_sub_u32 s20, s16, s10
	s_load_dwordx4 s[16:19], s[4:5], 0x44
	s_cbranch_execnz .LBB7_3
.LBB7_2:
	v_cvt_f32_u32_e32 v1, s9
	s_sub_i32 s0, 0, s9
	v_rcp_iflag_f32_e32 v1, v1
	v_mul_f32_e32 v1, 0x4f7ffffe, v1
	v_cvt_u32_f32_e32 v1, v1
	v_readfirstlane_b32 s1, v1
	s_mul_i32 s0, s0, s1
	s_mul_hi_u32 s0, s1, s0
	s_add_i32 s1, s1, s0
	s_mul_hi_u32 s0, s2, s1
	s_mul_i32 s3, s0, s9
	s_sub_i32 s2, s2, s3
	s_add_i32 s1, s0, 1
	s_sub_i32 s3, s2, s9
	s_cmp_ge_u32 s2, s9
	s_cselect_b32 s0, s1, s0
	s_cselect_b32 s2, s3, s2
	s_add_i32 s1, s0, 1
	s_cmp_ge_u32 s2, s9
	s_cselect_b32 s20, s1, s0
.LBB7_3:
	s_add_i32 s0, s6, 1
	s_mul_hi_i32 s3, s15, s0
	s_mov_b32 s2, 0
	s_cmp_lg_u64 s[2:3], 0
	s_mul_i32 s2, s15, s0
	s_cbranch_scc0 .LBB7_22
; %bb.4:
	v_cvt_f32_u32_e32 v1, s9
	v_cvt_f32_ubyte0_e32 v2, 0
	s_sub_u32 s10, 0, s9
	s_subb_u32 s11, 0, 0
	v_madmk_f32 v1, v2, 0x4f800000, v1
	v_rcp_f32_e32 v1, v1
	v_mul_f32_e32 v1, 0x5f7ffffc, v1
	v_mul_f32_e32 v2, 0x2f800000, v1
	v_trunc_f32_e32 v2, v2
	v_madmk_f32 v1, v2, 0xcf800000, v1
	v_cvt_u32_f32_e32 v2, v2
	v_cvt_u32_f32_e32 v1, v1
	s_waitcnt lgkmcnt(0)
	v_readfirstlane_b32 s19, v2
	v_readfirstlane_b32 s21, v1
	s_mul_i32 s22, s10, s19
	s_mul_hi_u32 s24, s10, s21
	s_mul_i32 s23, s11, s21
	s_add_i32 s22, s24, s22
	s_add_i32 s22, s22, s23
	s_mul_i32 s25, s10, s21
	s_mul_hi_u32 s23, s21, s22
	s_mul_i32 s24, s21, s22
	s_mul_hi_u32 s21, s21, s25
	s_add_u32 s21, s21, s24
	s_addc_u32 s23, 0, s23
	s_mul_hi_u32 s26, s19, s25
	s_mul_i32 s25, s19, s25
	s_add_u32 s21, s21, s25
	s_mul_hi_u32 s24, s19, s22
	s_addc_u32 s21, s23, s26
	s_addc_u32 s23, s24, 0
	s_mul_i32 s22, s19, s22
	s_add_u32 s21, s21, s22
	s_addc_u32 s22, 0, s23
	v_add_co_u32_e32 v1, vcc, s21, v1
	s_cmp_lg_u64 vcc, 0
	s_addc_u32 s19, s19, s22
	v_readfirstlane_b32 s22, v1
	s_mul_i32 s21, s10, s19
	s_mul_hi_u32 s23, s10, s22
	s_add_i32 s21, s23, s21
	s_mul_i32 s11, s11, s22
	s_add_i32 s21, s21, s11
	s_mul_i32 s10, s10, s22
	s_mul_hi_u32 s23, s19, s10
	s_mul_i32 s24, s19, s10
	s_mul_i32 s26, s22, s21
	s_mul_hi_u32 s10, s22, s10
	s_mul_hi_u32 s25, s22, s21
	s_add_u32 s10, s10, s26
	s_addc_u32 s22, 0, s25
	s_add_u32 s10, s10, s24
	s_mul_hi_u32 s11, s19, s21
	s_addc_u32 s10, s22, s23
	s_addc_u32 s11, s11, 0
	s_mul_i32 s21, s19, s21
	s_add_u32 s10, s10, s21
	s_addc_u32 s11, 0, s11
	v_add_co_u32_e32 v1, vcc, s10, v1
	s_cmp_lg_u64 vcc, 0
	s_addc_u32 s19, s19, s11
	s_ashr_i32 s10, s3, 31
	s_add_u32 s22, s2, s10
	s_mov_b32 s11, s10
	s_addc_u32 s23, s3, s10
	s_xor_b64 s[22:23], s[22:23], s[10:11]
	v_readfirstlane_b32 s21, v1
	s_mul_i32 s11, s22, s19
	s_mul_hi_u32 s24, s22, s21
	s_mul_hi_u32 s3, s22, s19
	s_add_u32 s11, s24, s11
	s_addc_u32 s3, 0, s3
	s_mul_hi_u32 s25, s23, s21
	s_mul_i32 s21, s23, s21
	s_add_u32 s11, s11, s21
	s_mul_hi_u32 s24, s23, s19
	s_addc_u32 s3, s3, s25
	s_addc_u32 s11, s24, 0
	s_mul_i32 s19, s23, s19
	s_add_u32 s3, s3, s19
	s_addc_u32 s11, 0, s11
	s_mul_i32 s11, s9, s11
	s_mul_hi_u32 s24, s9, s3
	s_add_i32 s24, s24, s11
	s_mul_i32 s11, s9, s3
	v_mov_b32_e32 v1, s11
	s_add_u32 s19, s3, 1
	s_add_u32 s21, s3, 2
	v_sub_co_u32_e32 v1, vcc, s22, v1
	s_cmp_lg_u64 vcc, 0
	s_subb_u32 s11, s23, s24
	v_subrev_co_u32_e32 v2, vcc, s9, v1
	s_cmp_lg_u64 vcc, 0
	s_subb_u32 s22, s11, 0
	v_cmp_le_u32_e32 vcc, s9, v2
	s_cmp_eq_u32 s22, 0
	v_cndmask_b32_e64 v2, 0, -1, vcc
	s_cselect_b64 vcc, -1, 0
	v_cndmask_b32_e32 v2, -1, v2, vcc
	v_mov_b32_e32 v3, s19
	v_mov_b32_e32 v4, s21
	v_cmp_ne_u32_e32 vcc, 0, v2
	v_cndmask_b32_e32 v2, v3, v4, vcc
	v_cmp_le_u32_e32 vcc, s9, v1
	s_cmp_eq_u32 s11, 0
	v_cndmask_b32_e64 v1, 0, -1, vcc
	s_cselect_b64 vcc, -1, 0
	v_cndmask_b32_e32 v1, -1, v1, vcc
	v_mov_b32_e32 v3, s3
	v_cmp_ne_u32_e32 vcc, 0, v1
	v_cndmask_b32_e32 v1, v3, v2, vcc
	v_xor_b32_e32 v1, s10, v1
	v_subrev_co_u32_e32 v2, vcc, s10, v1
	s_cbranch_execnz .LBB7_6
.LBB7_5:
	v_cvt_f32_u32_e32 v1, s9
	s_sub_i32 s0, 0, s9
	s_mov_b32 s1, 0
	v_rcp_iflag_f32_e32 v1, v1
	v_mul_f32_e32 v1, 0x4f7ffffe, v1
	v_cvt_u32_f32_e32 v1, v1
	v_readfirstlane_b32 s3, v1
	s_mul_i32 s0, s0, s3
	s_mul_hi_u32 s0, s3, s0
	s_add_i32 s3, s3, s0
	s_mul_hi_u32 s0, s2, s3
	s_mul_i32 s10, s0, s9
	s_sub_i32 s2, s2, s10
	s_add_i32 s3, s0, 1
	s_sub_i32 s10, s2, s9
	s_cmp_ge_u32 s2, s9
	s_cselect_b32 s0, s3, s0
	s_cselect_b32 s2, s10, s2
	s_add_i32 s3, s0, 1
	s_cmp_ge_u32 s2, s9
	s_cselect_b32 s0, s3, s0
	v_pk_mov_b32 v[2:3], s[0:1], s[0:1] op_sel:[0,1]
.LBB7_6:
	s_waitcnt lgkmcnt(0)
	s_mul_hi_u32 s0, s20, s16
	s_add_i32 s0, s0, s20
	v_mul_hi_u32 v1, v2, s16
	s_lshr_b32 s19, s0, s17
	v_add_u32_e32 v1, v1, v2
	s_mul_i32 s0, s19, s18
	v_lshrrev_b32_e32 v1, s17, v1
	s_cmp_eq_u32 s0, s20
	v_cmp_eq_u32_e64 s[0:1], s19, v1
	v_mul_lo_u32 v1, v1, s18
	v_cmp_eq_u32_e32 vcc, s20, v2
	s_cselect_b64 s[10:11], -1, 0
	v_cmp_ne_u32_e64 s[2:3], v1, v2
	s_and_b64 s[0:1], s[0:1], s[2:3]
	s_or_b64 s[2:3], vcc, s[10:11]
	s_or_b64 s[0:1], s[2:3], s[0:1]
	s_and_b64 vcc, exec, s[0:1]
	s_cbranch_vccnz .LBB7_24
; %bb.7:
	s_load_dwordx8 s[24:31], s[4:5], 0x20
	s_load_dword s0, s[4:5], 0x40
	s_mov_b32 s10, 0
	s_waitcnt lgkmcnt(0)
	s_mul_hi_u32 s1, s20, s24
	s_add_i32 s1, s1, s20
	s_lshr_b32 s11, s1, s25
	s_mul_i32 s1, s11, s26
	s_sub_i32 s1, s20, s1
	s_mul_hi_u32 s2, s1, s27
	s_add_i32 s2, s1, s2
	s_lshr_b32 s24, s2, s28
	s_mul_i32 s2, s24, s29
	s_sub_i32 s1, s1, s2
	s_mul_hi_u32 s2, s1, s30
	s_add_i32 s2, s1, s2
	s_lshr_b32 s2, s2, s31
	s_mul_i32 s0, s2, s0
	s_sub_i32 s0, s1, s0
	s_mul_hi_u32 s1, s0, s16
	s_add_i32 s0, s0, s1
	s_lshr_b32 s26, s0, s17
	s_lshl_b32 s0, s26, 4
	s_lshl_b32 s25, s2, 1
	s_add_i32 s0, s0, s7
	s_cmp_lt_i32 s0, s12
	s_cselect_b64 s[0:1], -1, 0
	s_add_i32 s2, s25, s8
	s_cmp_lt_i32 s2, s14
	s_cselect_b64 s[2:3], -1, 0
	s_and_b64 s[0:1], s[0:1], s[2:3]
	s_andn2_b64 vcc, exec, s[0:1]
	s_cbranch_vccnz .LBB7_24
; %bb.8:
	s_load_dwordx4 s[0:3], s[4:5], 0x0
	s_lshl_b32 s21, s7, 1
	s_lshl_b32 s4, s9, 7
	s_mov_b32 s5, s10
	s_add_i32 s21, s21, s8
	s_lshl_b64 s[4:5], s[4:5], 2
	s_waitcnt lgkmcnt(0)
	s_add_u32 s22, s2, s4
	s_mul_i32 s4, s11, s12
	s_addc_u32 s23, s3, s5
	s_add_i32 s4, s4, s7
	s_mul_i32 s4, s4, s13
	s_mul_i32 s24, s24, s14
	s_add_i32 s4, s4, s8
	s_add_i32 s4, s4, s24
	s_mul_i32 s5, s13, s26
	s_add_i32 s4, s4, s25
	s_lshl_b32 s5, s5, 10
	s_lshl_b32 s4, s4, 6
	s_add_i32 s5, s5, s4
	v_or_b32_e32 v2, s5, v0
	v_ashrrev_i32_e32 v3, 31, v2
	v_lshlrev_b64 v[2:3], 2, v[2:3]
	v_mov_b32_e32 v1, s1
	v_add_co_u32_e32 v2, vcc, s0, v2
	v_addc_co_u32_e32 v3, vcc, v1, v3, vcc
	global_load_dword v5, v[2:3], off
	v_lshl_or_b32 v4, s21, 6, v0
	v_cvt_f32_u32_e32 v0, s9
	v_cvt_f32_ubyte0_e32 v1, 0
	s_lshl_b32 s0, s6, 5
	s_add_i32 s0, s21, s0
	v_mac_f32_e32 v0, 0x4f800000, v1
	v_rcp_f32_e32 v0, v0
	v_cvt_f32_u32_e32 v1, s9
	s_ashr_i32 s1, s0, 31
	s_lshl_b64 s[0:1], s[0:1], 3
	v_mul_f32_e32 v0, 0x5f7ffffc, v0
	v_rcp_iflag_f32_e32 v1, v1
	s_add_u32 s0, s2, s0
	v_mul_f32_e32 v9, 0x2f800000, v0
	s_addc_u32 s1, s3, s1
	v_trunc_f32_e32 v10, v9
	s_load_dwordx2 s[0:1], s[0:1], 0x0
	v_mac_f32_e32 v0, 0xcf800000, v10
	v_cvt_u32_f32_e32 v9, v0
	v_mul_f32_e32 v0, 0x4f7ffffe, v1
	v_cvt_u32_f32_e32 v10, v10
	v_cvt_u32_f32_e32 v11, v0
	s_add_i32 s8, s6, -1
	s_waitcnt lgkmcnt(0)
	v_mov_b32_e32 v6, s1
	v_mov_b32_e32 v7, s0
	v_mov_b32_e32 v8, s20
	s_mov_b32 s6, 0x3fb8aa3b
	s_mov_b32 s7, 0xc2ce8ed0
	;; [unrolled: 1-line block ×4, first 2 shown]
	v_mov_b32_e32 v12, 0x7f800000
	s_mul_hi_i32 s11, s8, s15
	s_cmp_lg_u64 s[10:11], 0
	s_mul_i32 s4, s8, s15
	s_cbranch_scc0 .LBB7_15
.LBB7_9:
	s_sub_u32 s0, 0, s9
	v_readfirstlane_b32 s5, v9
	v_readfirstlane_b32 s24, v10
	s_subb_u32 s1, 0, 0
	s_mul_hi_u32 s20, s0, s5
	s_mul_i32 s25, s0, s24
	s_mul_i32 s14, s1, s5
	s_add_i32 s20, s20, s25
	s_add_i32 s20, s20, s14
	s_mul_i32 s26, s0, s5
	s_mul_hi_u32 s14, s5, s20
	s_mul_i32 s25, s5, s20
	s_mul_hi_u32 s5, s5, s26
	s_add_u32 s5, s5, s25
	s_addc_u32 s14, 0, s14
	s_mul_hi_u32 s27, s24, s26
	s_mul_i32 s26, s24, s26
	s_add_u32 s5, s5, s26
	s_mul_hi_u32 s25, s24, s20
	s_addc_u32 s5, s14, s27
	s_addc_u32 s14, s25, 0
	s_mul_i32 s20, s24, s20
	s_add_u32 s5, s5, s20
	s_addc_u32 s14, 0, s14
	v_add_co_u32_e32 v0, vcc, s5, v9
	s_cmp_lg_u64 vcc, 0
	s_addc_u32 s5, s24, s14
	v_readfirstlane_b32 s20, v0
	s_mul_i32 s14, s0, s5
	s_mul_hi_u32 s24, s0, s20
	s_add_i32 s14, s24, s14
	s_mul_i32 s1, s1, s20
	s_add_i32 s14, s14, s1
	s_mul_i32 s0, s0, s20
	s_mul_hi_u32 s24, s5, s0
	s_mul_i32 s25, s5, s0
	s_mul_i32 s27, s20, s14
	s_mul_hi_u32 s0, s20, s0
	s_mul_hi_u32 s26, s20, s14
	s_add_u32 s0, s0, s27
	s_addc_u32 s20, 0, s26
	s_add_u32 s0, s0, s25
	s_mul_hi_u32 s1, s5, s14
	s_addc_u32 s0, s20, s24
	s_addc_u32 s1, s1, 0
	s_mul_i32 s14, s5, s14
	s_add_u32 s0, s0, s14
	s_addc_u32 s1, 0, s1
	v_add_co_u32_e32 v0, vcc, s0, v0
	s_cmp_lg_u64 vcc, 0
	s_addc_u32 s5, s5, s1
	s_ashr_i32 s0, s11, 31
	s_add_u32 s24, s4, s0
	s_mov_b32 s1, s0
	s_addc_u32 s25, s11, s0
	s_xor_b64 s[24:25], s[24:25], s[0:1]
	v_readfirstlane_b32 s14, v0
	s_mul_i32 s11, s24, s5
	s_mul_hi_u32 s20, s24, s14
	s_mul_hi_u32 s1, s24, s5
	s_add_u32 s11, s20, s11
	s_addc_u32 s1, 0, s1
	s_mul_hi_u32 s26, s25, s14
	s_mul_i32 s14, s25, s14
	s_add_u32 s11, s11, s14
	s_mul_hi_u32 s20, s25, s5
	s_addc_u32 s1, s1, s26
	s_addc_u32 s11, s20, 0
	s_mul_i32 s5, s25, s5
	s_add_u32 s1, s1, s5
	s_addc_u32 s5, 0, s11
	s_mul_i32 s5, s9, s5
	s_mul_hi_u32 s20, s9, s1
	s_add_i32 s20, s20, s5
	s_mul_i32 s5, s9, s1
	v_mov_b32_e32 v0, s5
	s_add_u32 s11, s1, 1
	s_add_u32 s14, s1, 2
	v_sub_co_u32_e32 v0, vcc, s24, v0
	s_cmp_lg_u64 vcc, 0
	s_subb_u32 s5, s25, s20
	v_subrev_co_u32_e32 v1, vcc, s9, v0
	s_cmp_lg_u64 vcc, 0
	s_subb_u32 s20, s5, 0
	v_cmp_le_u32_e32 vcc, s9, v1
	s_cmp_eq_u32 s20, 0
	v_cndmask_b32_e64 v1, 0, -1, vcc
	s_cselect_b64 vcc, -1, 0
	v_cndmask_b32_e32 v1, -1, v1, vcc
	v_mov_b32_e32 v13, s11
	v_mov_b32_e32 v14, s14
	v_cmp_ne_u32_e32 vcc, 0, v1
	v_cndmask_b32_e32 v1, v13, v14, vcc
	v_cmp_le_u32_e32 vcc, s9, v0
	s_cmp_eq_u32 s5, 0
	v_cndmask_b32_e64 v0, 0, -1, vcc
	s_cselect_b64 vcc, -1, 0
	v_cndmask_b32_e32 v0, -1, v0, vcc
	v_mov_b32_e32 v13, s1
	v_cmp_ne_u32_e32 vcc, 0, v0
	v_cndmask_b32_e32 v0, v13, v1, vcc
	v_xor_b32_e32 v0, s0, v0
	v_subrev_co_u32_e32 v0, vcc, s0, v0
	s_cbranch_execnz .LBB7_11
.LBB7_10:
	s_sub_i32 s0, 0, s9
	v_mul_lo_u32 v0, s0, v11
	v_mul_hi_u32 v0, v11, v0
	v_add_u32_e32 v0, v11, v0
	v_mul_hi_u32 v0, s4, v0
	v_mul_lo_u32 v13, v0, s9
	v_sub_u32_e32 v13, s4, v13
	v_add_u32_e32 v1, 1, v0
	v_subrev_u32_e32 v14, s9, v13
	v_cmp_le_u32_e32 vcc, s9, v13
	v_cndmask_b32_e32 v13, v13, v14, vcc
	v_cndmask_b32_e32 v0, v0, v1, vcc
	v_add_u32_e32 v1, 1, v0
	v_cmp_le_u32_e32 vcc, s9, v13
	v_cndmask_b32_e32 v0, v0, v1, vcc
.LBB7_11:
	v_cmp_ne_u32_e32 vcc, v8, v0
	s_cbranch_vccz .LBB7_14
; %bb.12:
	s_add_i32 s0, s8, s9
	s_lshl_b32 s0, s0, 5
	v_mul_hi_u32 v1, v0, s16
	s_add_i32 s0, s0, s21
	s_mov_b32 s1, s10
	v_add_u32_e32 v1, v1, v0
	s_lshl_b64 s[0:1], s[0:1], 3
	v_lshrrev_b32_e32 v1, s17, v1
	s_add_u32 s4, s2, s0
	v_mul_lo_u32 v13, v1, s18
	s_addc_u32 s5, s3, s1
	v_cmp_eq_u32_e32 vcc, v13, v0
	v_cmp_gt_u32_e64 s[0:1], s19, v1
	s_or_b64 s[0:1], s[0:1], vcc
	s_and_b64 vcc, exec, s[0:1]
	s_cbranch_vccnz .LBB7_16
; %bb.13:
	s_add_i32 s11, s8, -1
	s_mov_b64 s[0:1], 0
	s_branch .LBB7_17
.LBB7_14:
                                        ; implicit-def: $sgpr0_sgpr1
                                        ; implicit-def: $vgpr14
                                        ; implicit-def: $vgpr1
                                        ; implicit-def: $vgpr13
                                        ; implicit-def: $sgpr11
                                        ; implicit-def: $vgpr0
	s_branch .LBB7_18
.LBB7_15:
                                        ; implicit-def: $vgpr0_vgpr1
	s_branch .LBB7_10
.LBB7_16:
	s_mov_b64 s[0:1], -1
	s_mov_b32 s11, s8
	v_mov_b32_e32 v0, v8
.LBB7_17:
	v_lshl_add_u32 v14, s8, 11, v4
	v_ashrrev_i32_e32 v15, 31, v14
	v_lshlrev_b64 v[14:15], 2, v[14:15]
	v_mov_b32_e32 v1, s23
	v_add_co_u32_e32 v14, vcc, s22, v14
	v_addc_co_u32_e32 v15, vcc, v1, v15, vcc
	global_load_dword v14, v[14:15], off
	s_load_dwordx2 s[4:5], s[4:5], 0x0
	v_max_f32_e32 v1, v7, v7
	s_waitcnt lgkmcnt(0)
	v_max_f32_e64 v13, s4, s4
	v_max_f32_e32 v1, v1, v13
	v_sub_f32_e32 v13, v7, v1
	v_sub_f32_e32 v15, s4, v1
	v_mul_f32_e32 v16, 0x3fb8aa3b, v13
	v_mul_f32_e32 v17, 0x3fb8aa3b, v15
	v_fma_f32 v18, v13, s6, -v16
	v_rndne_f32_e32 v19, v16
	v_fma_f32 v20, v15, s6, -v17
	v_rndne_f32_e32 v21, v17
	v_fmac_f32_e32 v18, 0x32a5705f, v13
	v_sub_f32_e32 v16, v16, v19
	v_fmac_f32_e32 v20, 0x32a5705f, v15
	v_sub_f32_e32 v17, v17, v21
	v_add_f32_e32 v16, v16, v18
	v_cvt_i32_f32_e32 v19, v19
	v_add_f32_e32 v17, v17, v20
	v_exp_f32_e32 v16, v16
	v_cvt_i32_f32_e32 v21, v21
	v_exp_f32_e32 v17, v17
	v_cmp_ngt_f32_e32 vcc, s7, v13
	v_ldexp_f32 v16, v16, v19
	v_cndmask_b32_e32 v16, 0, v16, vcc
	v_ldexp_f32 v17, v17, v21
	v_cmp_ngt_f32_e32 vcc, s7, v15
	v_cndmask_b32_e32 v17, 0, v17, vcc
	v_cmp_nlt_f32_e32 vcc, s12, v13
	v_cndmask_b32_e32 v16, v12, v16, vcc
	v_cmp_nlt_f32_e32 vcc, s12, v15
	v_cndmask_b32_e32 v17, v12, v17, vcc
	v_cmp_le_f32_e32 vcc, s13, v13
	v_cndmask_b32_e32 v16, 0, v16, vcc
	v_cmp_le_f32_e32 vcc, s13, v15
	v_cndmask_b32_e32 v15, 0, v17, vcc
	v_mul_f32_e32 v13, s5, v15
	v_fmac_f32_e32 v13, v6, v16
	s_waitcnt vmcnt(0)
	v_mul_f32_e32 v14, v14, v15
	v_fmac_f32_e32 v14, v5, v16
	s_cbranch_execnz .LBB7_19
.LBB7_18:
	s_add_i32 s11, s8, -1
	s_mov_b64 s[0:1], 0
	v_mov_b32_e32 v0, v8
	v_mov_b32_e32 v13, v6
	;; [unrolled: 1-line block ×3, first 2 shown]
	s_waitcnt vmcnt(0)
	v_mov_b32_e32 v14, v5
.LBB7_19:
	s_andn2_b64 vcc, exec, s[0:1]
	s_cbranch_vccz .LBB7_23
; %bb.20:
	v_mov_b32_e32 v8, v0
	s_mov_b32 s8, s11
	v_mov_b32_e32 v6, v13
	v_mov_b32_e32 v7, v1
	s_waitcnt vmcnt(0)
	v_mov_b32_e32 v5, v14
	s_mul_hi_i32 s11, s8, s15
	s_cmp_lg_u64 s[10:11], 0
	s_mul_i32 s4, s8, s15
	s_cbranch_scc1 .LBB7_9
	s_branch .LBB7_15
.LBB7_21:
                                        ; implicit-def: $sgpr20_sgpr21
	s_load_dwordx4 s[16:19], s[4:5], 0x44
	s_branch .LBB7_2
.LBB7_22:
                                        ; implicit-def: $vgpr2_vgpr3
	s_branch .LBB7_5
.LBB7_23:
	v_div_scale_f32 v0, s[0:1], v13, v13, v14
	v_rcp_f32_e32 v1, v0
	v_div_scale_f32 v4, vcc, v14, v13, v14
	s_waitcnt vmcnt(0)
	v_fma_f32 v5, -v0, v1, 1.0
	v_fmac_f32_e32 v1, v5, v1
	v_mul_f32_e32 v5, v4, v1
	v_fma_f32 v6, -v0, v5, v4
	v_fmac_f32_e32 v5, v6, v1
	v_fma_f32 v0, -v0, v5, v4
	v_div_fmas_f32 v0, v0, v1, v5
	v_div_fixup_f32 v0, v0, v13, v14
	global_store_dword v[2:3], v0, off
.LBB7_24:
	s_endpgm
	.section	.rodata,"a",@progbits
	.p2align	6, 0x0
	.amdhsa_kernel _ZL33flash_attn_stream_k_fixup_generalILi64ELi16ELi2EEvPfPK15HIP_vector_typeIfLj2EEiiiiS1_IjLj3EES5_S5_S5_
		.amdhsa_group_segment_fixed_size 0
		.amdhsa_private_segment_fixed_size 0
		.amdhsa_kernarg_size 336
		.amdhsa_user_sgpr_count 6
		.amdhsa_user_sgpr_private_segment_buffer 1
		.amdhsa_user_sgpr_dispatch_ptr 0
		.amdhsa_user_sgpr_queue_ptr 0
		.amdhsa_user_sgpr_kernarg_segment_ptr 1
		.amdhsa_user_sgpr_dispatch_id 0
		.amdhsa_user_sgpr_flat_scratch_init 0
		.amdhsa_user_sgpr_kernarg_preload_length 0
		.amdhsa_user_sgpr_kernarg_preload_offset 0
		.amdhsa_user_sgpr_private_segment_size 0
		.amdhsa_uses_dynamic_stack 0
		.amdhsa_system_sgpr_private_segment_wavefront_offset 0
		.amdhsa_system_sgpr_workgroup_id_x 1
		.amdhsa_system_sgpr_workgroup_id_y 1
		.amdhsa_system_sgpr_workgroup_id_z 1
		.amdhsa_system_sgpr_workgroup_info 0
		.amdhsa_system_vgpr_workitem_id 0
		.amdhsa_next_free_vgpr 22
		.amdhsa_next_free_sgpr 32
		.amdhsa_accum_offset 24
		.amdhsa_reserve_vcc 1
		.amdhsa_reserve_flat_scratch 0
		.amdhsa_float_round_mode_32 0
		.amdhsa_float_round_mode_16_64 0
		.amdhsa_float_denorm_mode_32 3
		.amdhsa_float_denorm_mode_16_64 3
		.amdhsa_dx10_clamp 1
		.amdhsa_ieee_mode 1
		.amdhsa_fp16_overflow 0
		.amdhsa_tg_split 0
		.amdhsa_exception_fp_ieee_invalid_op 0
		.amdhsa_exception_fp_denorm_src 0
		.amdhsa_exception_fp_ieee_div_zero 0
		.amdhsa_exception_fp_ieee_overflow 0
		.amdhsa_exception_fp_ieee_underflow 0
		.amdhsa_exception_fp_ieee_inexact 0
		.amdhsa_exception_int_div_zero 0
	.end_amdhsa_kernel
	.section	.text._ZL33flash_attn_stream_k_fixup_generalILi64ELi16ELi2EEvPfPK15HIP_vector_typeIfLj2EEiiiiS1_IjLj3EES5_S5_S5_,"axG",@progbits,_ZL33flash_attn_stream_k_fixup_generalILi64ELi16ELi2EEvPfPK15HIP_vector_typeIfLj2EEiiiiS1_IjLj3EES5_S5_S5_,comdat
.Lfunc_end7:
	.size	_ZL33flash_attn_stream_k_fixup_generalILi64ELi16ELi2EEvPfPK15HIP_vector_typeIfLj2EEiiiiS1_IjLj3EES5_S5_S5_, .Lfunc_end7-_ZL33flash_attn_stream_k_fixup_generalILi64ELi16ELi2EEvPfPK15HIP_vector_typeIfLj2EEiiiiS1_IjLj3EES5_S5_S5_
                                        ; -- End function
	.section	.AMDGPU.csdata,"",@progbits
; Kernel info:
; codeLenInByte = 2824
; NumSgprs: 36
; NumVgprs: 22
; NumAgprs: 0
; TotalNumVgprs: 22
; ScratchSize: 0
; MemoryBound: 0
; FloatMode: 240
; IeeeMode: 1
; LDSByteSize: 0 bytes/workgroup (compile time only)
; SGPRBlocks: 4
; VGPRBlocks: 2
; NumSGPRsForWavesPerEU: 36
; NumVGPRsForWavesPerEU: 22
; AccumOffset: 24
; Occupancy: 8
; WaveLimiterHint : 0
; COMPUTE_PGM_RSRC2:SCRATCH_EN: 0
; COMPUTE_PGM_RSRC2:USER_SGPR: 6
; COMPUTE_PGM_RSRC2:TRAP_HANDLER: 0
; COMPUTE_PGM_RSRC2:TGID_X_EN: 1
; COMPUTE_PGM_RSRC2:TGID_Y_EN: 1
; COMPUTE_PGM_RSRC2:TGID_Z_EN: 1
; COMPUTE_PGM_RSRC2:TIDIG_COMP_CNT: 0
; COMPUTE_PGM_RSRC3_GFX90A:ACCUM_OFFSET: 5
; COMPUTE_PGM_RSRC3_GFX90A:TG_SPLIT: 0
	.section	.text._ZL26flash_attn_combine_resultsILi64EEvPKfPK15HIP_vector_typeIfLj2EEPfi,"axG",@progbits,_ZL26flash_attn_combine_resultsILi64EEvPKfPK15HIP_vector_typeIfLj2EEPfi,comdat
	.globl	_ZL26flash_attn_combine_resultsILi64EEvPKfPK15HIP_vector_typeIfLj2EEPfi ; -- Begin function _ZL26flash_attn_combine_resultsILi64EEvPKfPK15HIP_vector_typeIfLj2EEPfi
	.p2align	8
	.type	_ZL26flash_attn_combine_resultsILi64EEvPKfPK15HIP_vector_typeIfLj2EEPfi,@function
_ZL26flash_attn_combine_resultsILi64EEvPKfPK15HIP_vector_typeIfLj2EEPfi: ; @_ZL26flash_attn_combine_resultsILi64EEvPKfPK15HIP_vector_typeIfLj2EEPfi
; %bb.0:
	s_load_dwordx2 s[10:11], s[4:5], 0x20
	s_load_dword s17, s[4:5], 0x18
	s_load_dwordx4 s[0:3], s[4:5], 0x0
	s_load_dwordx2 s[14:15], s[4:5], 0x10
	s_waitcnt lgkmcnt(0)
	s_mul_i32 s4, s10, s8
	s_add_i32 s4, s4, s6
	s_mul_i32 s16, s4, s11
	s_add_i32 s16, s16, s7
	s_lshl_b32 s18, s17, 1
	s_mul_i32 s4, s16, s17
	v_cmp_gt_i32_e32 vcc, s18, v0
	s_and_saveexec_b64 s[6:7], vcc
	s_cbranch_execz .LBB8_13
; %bb.1:
	v_xad_u32 v1, v0, -1, s18
	s_ashr_i32 s5, s4, 31
	v_cmp_lt_u32_e32 vcc, 63, v1
	s_mov_b64 s[10:11], -1
	v_mov_b32_e32 v2, v0
	s_and_saveexec_b64 s[8:9], vcc
	s_cbranch_execz .LBB8_10
; %bb.2:
	v_lshrrev_b32_e32 v6, 6, v1
	s_lshl_b64 s[10:11], s[4:5], 3
	v_add_u32_e32 v2, -1, v6
	s_add_u32 s19, s2, s10
	v_or_b32_e32 v1, 64, v0
	v_lshrrev_b32_e32 v3, 1, v2
	s_addc_u32 s20, s3, s11
	v_add_u32_e32 v7, 1, v3
	v_cmp_lt_u32_e32 vcc, 13, v2
	v_mov_b32_e32 v4, 0
	v_pk_mov_b32 v[2:3], v[0:1], v[0:1] op_sel:[0,1]
	s_and_saveexec_b64 s[10:11], vcc
	s_cbranch_execz .LBB8_6
; %bb.3:
	v_and_b32_e32 v8, -8, v7
	s_mov_b32 s21, 0
	v_lshl_add_u32 v9, v0, 2, 0
	s_mov_b64 s[12:13], 0
	v_mov_b32_e32 v10, s20
	v_mov_b32_e32 v5, 0
	v_pk_mov_b32 v[2:3], v[0:1], v[0:1] op_sel:[0,1]
.LBB8_4:                                ; =>This Inner Loop Header: Depth=1
	v_mov_b32_e32 v4, v2
	v_lshlrev_b64 v[26:27], 2, v[4:5]
	v_add_u32_e32 v12, 0x80, v3
	v_mov_b32_e32 v13, v5
	v_add_co_u32_e32 v26, vcc, s19, v26
	v_lshlrev_b64 v[12:13], 2, v[12:13]
	v_addc_co_u32_e32 v27, vcc, v10, v27, vcc
	v_add_u32_e32 v14, 0x100, v3
	v_mov_b32_e32 v15, v5
	v_add_co_u32_e32 v12, vcc, s19, v12
	v_lshlrev_b64 v[14:15], 2, v[14:15]
	v_addc_co_u32_e32 v13, vcc, v10, v13, vcc
	;; [unrolled: 5-line block ×7, first 2 shown]
	v_mov_b32_e32 v4, v3
	v_add_co_u32_e32 v24, vcc, s19, v24
	v_lshlrev_b64 v[28:29], 2, v[4:5]
	v_addc_co_u32_e32 v25, vcc, v10, v25, vcc
	v_add_u32_e32 v4, 0x80, v2
	v_add_co_u32_e32 v28, vcc, s19, v28
	v_addc_co_u32_e32 v29, vcc, v10, v29, vcc
	global_load_dword v1, v[26:27], off
	v_lshlrev_b64 v[26:27], 2, v[4:5]
	v_add_u32_e32 v4, 0x100, v2
	v_add_co_u32_e32 v26, vcc, s19, v26
	v_addc_co_u32_e32 v27, vcc, v10, v27, vcc
	v_lshlrev_b64 v[30:31], 2, v[4:5]
	v_add_u32_e32 v4, 0x180, v2
	global_load_dword v11, v[28:29], off
	global_load_dword v32, v[26:27], off
	global_load_dword v33, v[12:13], off
	v_add_co_u32_e32 v12, vcc, s19, v30
	v_addc_co_u32_e32 v13, vcc, v10, v31, vcc
	v_lshlrev_b64 v[26:27], 2, v[4:5]
	v_add_u32_e32 v4, 0x200, v2
	v_add_co_u32_e32 v26, vcc, s19, v26
	v_addc_co_u32_e32 v27, vcc, v10, v27, vcc
	v_lshlrev_b64 v[28:29], 2, v[4:5]
	v_add_u32_e32 v4, 0x280, v2
	global_load_dword v30, v[12:13], off
	global_load_dword v31, v[14:15], off
	;; [unrolled: 1-line block ×4, first 2 shown]
	v_add_co_u32_e32 v12, vcc, s19, v28
	v_addc_co_u32_e32 v13, vcc, v10, v29, vcc
	v_lshlrev_b64 v[14:15], 2, v[4:5]
	v_add_u32_e32 v4, 0x300, v2
	v_add_co_u32_e32 v14, vcc, s19, v14
	v_addc_co_u32_e32 v15, vcc, v10, v15, vcc
	v_lshlrev_b64 v[16:17], 2, v[4:5]
	v_add_u32_e32 v4, 0x380, v2
	global_load_dword v26, v[12:13], off
	global_load_dword v27, v[18:19], off
	;; [unrolled: 1-line block ×4, first 2 shown]
	v_add_co_u32_e32 v12, vcc, s19, v16
	v_addc_co_u32_e32 v13, vcc, v10, v17, vcc
	v_lshlrev_b64 v[14:15], 2, v[4:5]
	v_add_co_u32_e32 v14, vcc, s19, v14
	v_addc_co_u32_e32 v15, vcc, v10, v15, vcc
	global_load_dword v16, v[12:13], off
	global_load_dword v17, v[22:23], off
	;; [unrolled: 1-line block ×4, first 2 shown]
	v_add_u32_e32 v8, -8, v8
	s_add_i32 s21, s21, 16
	v_cmp_eq_u32_e32 vcc, 0, v8
	v_add_u32_e32 v3, 0x400, v3
	v_mov_b32_e32 v4, s21
	s_or_b64 s[12:13], vcc, s[12:13]
	v_add_u32_e32 v2, 0x400, v2
	s_waitcnt vmcnt(14)
	ds_write2st64_b32 v9, v1, v11 offset1:1
	s_waitcnt vmcnt(12)
	ds_write2st64_b32 v9, v32, v33 offset0:2 offset1:3
	s_waitcnt vmcnt(10)
	ds_write2st64_b32 v9, v30, v31 offset0:4 offset1:5
	;; [unrolled: 2-line block ×7, first 2 shown]
	v_add_u32_e32 v9, 0x1000, v9
	s_andn2_b64 exec, exec, s[12:13]
	s_cbranch_execnz .LBB8_4
; %bb.5:
	s_or_b64 exec, exec, s[12:13]
.LBB8_6:
	s_or_b64 exec, exec, s[10:11]
	v_and_b32_e32 v1, 7, v7
	v_cmp_ne_u32_e32 vcc, 0, v1
	s_and_saveexec_b64 s[10:11], vcc
	s_cbranch_execz .LBB8_9
; %bb.7:
	v_lshlrev_b32_e32 v5, 2, v0
	v_lshl_or_b32 v4, v4, 8, v5
	v_add_u32_e32 v7, 0, v4
	s_mov_b64 s[12:13], 0
	v_mov_b32_e32 v8, s20
	v_mov_b32_e32 v5, 0
.LBB8_8:                                ; =>This Inner Loop Header: Depth=1
	v_mov_b32_e32 v4, v2
	v_lshlrev_b64 v[10:11], 2, v[4:5]
	v_mov_b32_e32 v4, v3
	v_add_co_u32_e32 v10, vcc, s19, v10
	v_addc_co_u32_e32 v11, vcc, v8, v11, vcc
	v_lshlrev_b64 v[12:13], 2, v[4:5]
	v_add_co_u32_e32 v12, vcc, s19, v12
	v_addc_co_u32_e32 v13, vcc, v8, v13, vcc
	global_load_dword v4, v[10:11], off
	global_load_dword v9, v[12:13], off
	v_add_u32_e32 v1, -1, v1
	v_cmp_eq_u32_e32 vcc, 0, v1
	v_add_u32_e32 v2, 0x80, v2
	v_add_u32_e32 v3, 0x80, v3
	s_or_b64 s[12:13], vcc, s[12:13]
	s_waitcnt vmcnt(0)
	ds_write2st64_b32 v7, v4, v9 offset1:1
	v_add_u32_e32 v7, 0x200, v7
	s_andn2_b64 exec, exec, s[12:13]
	s_cbranch_execnz .LBB8_8
.LBB8_9:
	s_or_b64 exec, exec, s[10:11]
	v_add_u32_e32 v1, 1, v6
	v_and_b32_e32 v3, 0x7fffffe, v1
	v_cmp_ne_u32_e32 vcc, v1, v3
	v_lshl_or_b32 v2, v3, 6, v0
	s_orn2_b64 s[10:11], vcc, exec
.LBB8_10:
	s_or_b64 exec, exec, s[8:9]
	s_and_b64 exec, exec, s[10:11]
	s_cbranch_execz .LBB8_13
; %bb.11:
	s_lshl_b64 s[8:9], s[4:5], 3
	v_mov_b32_e32 v3, 0
	s_add_u32 s2, s2, s8
	v_lshlrev_b64 v[4:5], 2, v[2:3]
	s_addc_u32 s3, s3, s9
	v_mov_b32_e32 v1, s3
	v_add_co_u32_e32 v4, vcc, s2, v4
	v_addc_co_u32_e32 v5, vcc, v1, v5, vcc
	v_lshl_add_u32 v1, v2, 2, 0
	s_mov_b64 s[2:3], 0
.LBB8_12:                               ; =>This Inner Loop Header: Depth=1
	global_load_dword v3, v[4:5], off
	v_add_co_u32_e32 v4, vcc, 0x100, v4
	v_add_u32_e32 v2, 64, v2
	v_addc_co_u32_e32 v5, vcc, 0, v5, vcc
	v_cmp_le_i32_e32 vcc, s18, v2
	s_or_b64 s[2:3], vcc, s[2:3]
	s_waitcnt vmcnt(0)
	ds_write_b32 v1, v3
	v_add_u32_e32 v1, 0x100, v1
	s_andn2_b64 exec, exec, s[2:3]
	s_cbranch_execnz .LBB8_12
.LBB8_13:
	s_or_b64 exec, exec, s[6:7]
	v_mov_b32_e32 v1, 0
	s_waitcnt lgkmcnt(0)
	; wave barrier
	s_waitcnt lgkmcnt(0)
	ds_read_b32 v1, v1
	s_cmp_lt_i32 s17, 2
	s_cbranch_scc1 .LBB8_21
; %bb.14:
	s_add_i32 s2, s17, -1
	s_add_i32 s3, s17, -2
	s_cmp_lt_u32 s3, 7
	s_cbranch_scc1 .LBB8_18
; %bb.15:
	s_mov_b32 s6, 0
	s_add_i32 s3, 0, 8
	s_and_b32 s5, s2, -8
.LBB8_16:                               ; =>This Inner Loop Header: Depth=1
	v_mov_b32_e32 v8, s3
	ds_read2_b32 v[2:3], v8 offset1:2
	ds_read2_b32 v[4:5], v8 offset0:4 offset1:6
	ds_read2_b32 v[6:7], v8 offset0:8 offset1:10
	;; [unrolled: 1-line block ×3, first 2 shown]
	s_mov_b32 s7, s6
	s_waitcnt lgkmcnt(3)
	v_max3_f32 v1, v1, v2, v3
	s_waitcnt lgkmcnt(2)
	v_max3_f32 v1, v1, v4, v5
	s_add_i32 s3, s3, 64
	s_add_i32 s6, s6, 8
	s_waitcnt lgkmcnt(1)
	v_max3_f32 v1, v1, v6, v7
	s_cmp_eq_u32 s5, s6
	s_waitcnt lgkmcnt(0)
	v_max3_f32 v1, v1, v8, v9
	s_cbranch_scc0 .LBB8_16
; %bb.17:
	s_add_i32 s3, s7, 9
	s_and_b32 s2, s2, 7
	s_cmp_eq_u32 s2, 0
	s_cbranch_scc0 .LBB8_19
	s_branch .LBB8_21
.LBB8_18:
	s_mov_b32 s3, 1
	s_and_b32 s2, s2, 7
	s_cmp_eq_u32 s2, 0
	s_cbranch_scc1 .LBB8_21
.LBB8_19:
	s_lshl_b32 s3, s3, 3
	s_add_i32 s3, s3, 0
.LBB8_20:                               ; =>This Inner Loop Header: Depth=1
	v_mov_b32_e32 v2, s3
	ds_read_b32 v2, v2
	s_waitcnt lgkmcnt(1)
	v_max_f32_e32 v1, v1, v1
	s_add_i32 s3, s3, 8
	s_add_i32 s2, s2, -1
	s_cmp_lg_u32 s2, 0
	s_waitcnt lgkmcnt(0)
	v_max_f32_e32 v2, v2, v2
	v_max_f32_e32 v1, v1, v2
	s_cbranch_scc1 .LBB8_20
.LBB8_21:
	s_cmp_lt_i32 s17, 1
	s_cbranch_scc1 .LBB8_26
; %bb.22:
	s_lshl_b32 s2, s4, 6
	s_ashr_i32 s3, s2, 31
	s_lshl_b64 s[2:3], s[2:3], 2
	s_add_u32 s18, s0, s2
	s_addc_u32 s19, s1, s3
	s_cmp_lt_u32 s17, 8
	v_mov_b32_e32 v6, 0
	s_cbranch_scc1 .LBB8_27
; %bb.23:
	s_and_b32 s20, s17, 0x7ffffff8
	v_or_b32_e32 v2, 0x1c0, v0
	s_mov_b32 s21, 0
	v_mov_b32_e32 v5, 0
	s_mov_b32 s22, 0x3fb8aa3b
	s_mov_b32 s23, 0xc2ce8ed0
	;; [unrolled: 1-line block ×3, first 2 shown]
	v_mov_b32_e32 v8, 0x7f800000
	v_mov_b32_e32 v9, s19
	s_mov_b32 s25, 0
	v_mov_b32_e32 v7, 0
	v_mov_b32_e32 v6, 0
.LBB8_24:                               ; =>This Inner Loop Header: Depth=1
	v_add_u32_e32 v4, 0xfffffe40, v2
	v_lshlrev_b64 v[26:27], 2, v[4:5]
	v_mov_b32_e32 v3, v5
	v_add_co_u32_e32 v26, vcc, s18, v26
	v_lshlrev_b64 v[28:29], 2, v[2:3]
	v_addc_co_u32_e32 v27, vcc, v9, v27, vcc
	v_add_u32_e32 v4, 0xfffffe80, v2
	v_add_co_u32_e32 v28, vcc, s18, v28
	v_mov_b32_e32 v22, s21
	v_lshlrev_b64 v[30:31], 2, v[4:5]
	v_addc_co_u32_e32 v29, vcc, v9, v29, vcc
	ds_read2_b64 v[10:13], v22 offset1:1
	ds_read2_b64 v[14:17], v22 offset0:2 offset1:3
	ds_read2_b64 v[18:21], v22 offset0:4 offset1:5
	;; [unrolled: 1-line block ×3, first 2 shown]
	v_add_u32_e32 v4, 0xfffffec0, v2
	global_load_dword v3, v[26:27], off
	v_add_co_u32_e32 v26, vcc, s18, v30
	v_addc_co_u32_e32 v27, vcc, v9, v31, vcc
	v_lshlrev_b64 v[30:31], 2, v[4:5]
	v_add_u32_e32 v4, 0xffffff00, v2
	v_add_co_u32_e32 v30, vcc, s18, v30
	v_addc_co_u32_e32 v31, vcc, v9, v31, vcc
	v_lshlrev_b64 v[32:33], 2, v[4:5]
	v_add_u32_e32 v4, 0xffffff40, v2
	global_load_dword v34, v[26:27], off
	global_load_dword v35, v[30:31], off
	v_add_co_u32_e32 v26, vcc, s18, v32
	v_addc_co_u32_e32 v27, vcc, v9, v33, vcc
	v_lshlrev_b64 v[30:31], 2, v[4:5]
	v_add_u32_e32 v4, 0xffffff80, v2
	v_add_co_u32_e32 v30, vcc, s18, v30
	v_addc_co_u32_e32 v31, vcc, v9, v31, vcc
	v_lshlrev_b64 v[32:33], 2, v[4:5]
	global_load_dword v36, v[26:27], off
	v_subrev_u32_e32 v4, 64, v2
	global_load_dword v28, v[28:29], off
	v_add_co_u32_e32 v26, vcc, s18, v32
	v_addc_co_u32_e32 v27, vcc, v9, v33, vcc
	global_load_dword v42, v[30:31], off
	s_waitcnt lgkmcnt(3)
	v_sub_f32_e32 v12, v12, v1
	global_load_dword v26, v[26:27], off
	v_lshlrev_b64 v[30:31], 2, v[4:5]
	v_add_co_u32_e32 v30, vcc, s18, v30
	v_addc_co_u32_e32 v31, vcc, v9, v31, vcc
	global_load_dword v30, v[30:31], off
	s_waitcnt lgkmcnt(2)
	v_sub_f32_e32 v14, v14, v1
	v_sub_f32_e32 v10, v10, v1
	v_mul_f32_e32 v38, 0x3fb8aa3b, v12
	v_mul_f32_e32 v39, 0x3fb8aa3b, v14
	s_waitcnt lgkmcnt(1)
	v_sub_f32_e32 v18, v18, v1
	s_waitcnt lgkmcnt(0)
	v_sub_f32_e32 v22, v22, v1
	v_mul_f32_e32 v37, 0x3fb8aa3b, v10
	v_fma_f32 v45, v12, s22, -v38
	v_rndne_f32_e32 v46, v38
	v_fma_f32 v47, v14, s22, -v39
	v_rndne_f32_e32 v48, v39
	v_sub_f32_e32 v16, v16, v1
	v_sub_f32_e32 v20, v20, v1
	v_mul_f32_e32 v41, 0x3fb8aa3b, v18
	v_mul_f32_e32 v32, 0x3fb8aa3b, v22
	v_fma_f32 v33, v10, s22, -v37
	v_rndne_f32_e32 v44, v37
	v_fmac_f32_e32 v45, 0x32a5705f, v12
	v_sub_f32_e32 v38, v38, v46
	v_fmac_f32_e32 v47, 0x32a5705f, v14
	v_sub_f32_e32 v39, v39, v48
	v_mul_f32_e32 v40, 0x3fb8aa3b, v16
	v_mul_f32_e32 v43, 0x3fb8aa3b, v20
	v_fma_f32 v27, v18, s22, -v41
	v_rndne_f32_e32 v31, v41
	v_fmac_f32_e32 v33, 0x32a5705f, v10
	v_sub_f32_e32 v37, v37, v44
	v_add_f32_e32 v38, v38, v45
	v_fma_f32 v45, v22, s22, -v32
	v_add_f32_e32 v39, v39, v47
	v_rndne_f32_e32 v47, v32
	v_fma_f32 v49, v16, s22, -v40
	v_rndne_f32_e32 v50, v40
	v_fma_f32 v29, v20, s22, -v43
	v_add_f32_e32 v33, v37, v33
	v_rndne_f32_e32 v37, v43
	v_fmac_f32_e32 v27, 0x32a5705f, v18
	v_sub_f32_e32 v41, v41, v31
	v_fmac_f32_e32 v45, 0x32a5705f, v22
	v_sub_f32_e32 v32, v32, v47
	;; [unrolled: 2-line block ×3, first 2 shown]
	v_add_f32_e32 v27, v41, v27
	v_cvt_i32_f32_e32 v44, v44
	v_fmac_f32_e32 v29, 0x32a5705f, v20
	v_sub_f32_e32 v43, v43, v37
	v_add_f32_e32 v32, v32, v45
	v_exp_f32_e32 v33, v33
	v_add_f32_e32 v40, v40, v49
	v_cvt_i32_f32_e32 v46, v46
	v_cvt_i32_f32_e32 v31, v31
	;; [unrolled: 1-line block ×3, first 2 shown]
	v_add_f32_e32 v29, v43, v29
	v_exp_f32_e32 v38, v38
	v_exp_f32_e32 v27, v27
	;; [unrolled: 1-line block ×3, first 2 shown]
	v_sub_f32_e32 v24, v24, v1
	v_cvt_i32_f32_e32 v48, v48
	v_cvt_i32_f32_e32 v50, v50
	;; [unrolled: 1-line block ×3, first 2 shown]
	v_exp_f32_e32 v39, v39
	v_exp_f32_e32 v40, v40
	v_exp_f32_e32 v29, v29
	v_mul_f32_e32 v4, 0x3fb8aa3b, v24
	v_fma_f32 v49, v24, s22, -v4
	v_rndne_f32_e32 v41, v4
	v_ldexp_f32 v33, v33, v44
	v_cmp_ngt_f32_e64 s[12:13], s23, v10
	v_fmac_f32_e32 v49, 0x32a5705f, v24
	v_sub_f32_e32 v4, v4, v41
	v_ldexp_f32 v38, v38, v46
	v_cmp_ngt_f32_e32 vcc, s23, v12
	v_ldexp_f32 v27, v27, v31
	v_ldexp_f32 v31, v32, v47
	v_cndmask_b32_e64 v32, 0, v33, s[12:13]
	v_cmp_nlt_f32_e64 s[12:13], s24, v10
	v_add_f32_e32 v4, v4, v49
	v_ldexp_f32 v39, v39, v48
	v_cmp_ngt_f32_e64 s[0:1], s23, v14
	v_ldexp_f32 v40, v40, v50
	v_cmp_ngt_f32_e64 s[2:3], s23, v16
	v_cmp_ngt_f32_e64 s[4:5], s23, v18
	v_ldexp_f32 v29, v29, v37
	v_cmp_ngt_f32_e64 s[6:7], s23, v20
	v_cmp_ngt_f32_e64 s[8:9], s23, v22
	v_cndmask_b32_e32 v33, 0, v38, vcc
	v_cmp_nlt_f32_e32 vcc, s24, v12
	v_cndmask_b32_e64 v10, v8, v32, s[12:13]
	v_cvt_i32_f32_e32 v41, v41
	v_exp_f32_e32 v4, v4
	v_cndmask_b32_e64 v12, 0, v39, s[0:1]
	v_cmp_nlt_f32_e64 s[0:1], s24, v14
	v_cndmask_b32_e64 v14, 0, v40, s[2:3]
	v_cmp_nlt_f32_e64 s[2:3], s24, v16
	;; [unrolled: 2-line block ×5, first 2 shown]
	v_cndmask_b32_e32 v22, v8, v33, vcc
	v_fmac_f32_e32 v7, v10, v11
	s_waitcnt vmcnt(7)
	v_fmac_f32_e32 v6, v3, v10
	v_cndmask_b32_e64 v12, v8, v12, s[0:1]
	v_fmac_f32_e32 v7, v22, v13
	s_waitcnt vmcnt(6)
	v_fmac_f32_e32 v6, v34, v22
	v_cndmask_b32_e64 v14, v8, v14, s[2:3]
	;; [unrolled: 4-line block ×3, first 2 shown]
	v_fmac_f32_e32 v7, v14, v17
	s_waitcnt vmcnt(4)
	v_fmac_f32_e32 v6, v36, v14
	v_ldexp_f32 v4, v4, v41
	v_cmp_ngt_f32_e64 s[10:11], s23, v24
	v_cndmask_b32_e64 v18, v8, v18, s[6:7]
	v_fmac_f32_e32 v7, v16, v19
	s_waitcnt vmcnt(2)
	v_fmac_f32_e32 v6, v42, v16
	v_cndmask_b32_e64 v4, 0, v4, s[10:11]
	v_cmp_nlt_f32_e64 s[10:11], s24, v24
	v_cndmask_b32_e64 v20, v8, v20, s[8:9]
	v_fmac_f32_e32 v7, v18, v21
	s_waitcnt vmcnt(1)
	v_fmac_f32_e32 v6, v26, v18
	s_add_i32 s25, s25, 8
	s_add_i32 s21, s21, 64
	v_cndmask_b32_e64 v4, v8, v4, s[10:11]
	v_fmac_f32_e32 v7, v20, v23
	s_waitcnt vmcnt(0)
	v_fmac_f32_e32 v6, v30, v20
	s_cmp_eq_u32 s20, s25
	v_add_u32_e32 v2, 0x200, v2
	v_fmac_f32_e32 v7, v4, v25
	v_fmac_f32_e32 v6, v28, v4
	s_cbranch_scc0 .LBB8_24
; %bb.25:
	s_and_b32 s0, s17, 7
	s_cmp_eq_u32 s0, 0
	s_cbranch_scc0 .LBB8_28
	s_branch .LBB8_30
.LBB8_26:
	s_waitcnt lgkmcnt(0)
	v_mov_b32_e32 v1, 0x7fc00000
	s_branch .LBB8_31
.LBB8_27:
	s_mov_b32 s20, 0
	v_mov_b32_e32 v7, 0
	s_and_b32 s0, s17, 7
	s_cmp_eq_u32 s0, 0
	s_cbranch_scc1 .LBB8_30
.LBB8_28:
	s_lshl_b32 s1, s20, 3
	v_lshl_or_b32 v2, s20, 6, v0
	s_add_i32 s1, s1, 0
	s_mov_b32 s2, 0x3fb8aa3b
	s_mov_b32 s3, 0xc2ce8ed0
	;; [unrolled: 1-line block ×3, first 2 shown]
	v_mov_b32_e32 v4, 0x7f800000
	v_mov_b32_e32 v3, 0
	;; [unrolled: 1-line block ×3, first 2 shown]
.LBB8_29:                               ; =>This Inner Loop Header: Depth=1
	v_lshlrev_b64 v[8:9], 2, v[2:3]
	v_add_co_u32_e32 v8, vcc, s18, v8
	v_addc_co_u32_e32 v9, vcc, v5, v9, vcc
	global_load_dword v10, v[8:9], off
	v_mov_b32_e32 v8, s1
	ds_read_b64 v[8:9], v8
	s_add_i32 s1, s1, 8
	s_add_i32 s0, s0, -1
	v_add_u32_e32 v2, 64, v2
	s_cmp_lg_u32 s0, 0
	s_waitcnt lgkmcnt(0)
	v_sub_f32_e32 v8, v8, v1
	v_mul_f32_e32 v11, 0x3fb8aa3b, v8
	v_fma_f32 v12, v8, s2, -v11
	v_rndne_f32_e32 v13, v11
	v_fmac_f32_e32 v12, 0x32a5705f, v8
	v_sub_f32_e32 v11, v11, v13
	v_add_f32_e32 v11, v11, v12
	v_cvt_i32_f32_e32 v13, v13
	v_exp_f32_e32 v11, v11
	v_cmp_ngt_f32_e32 vcc, s3, v8
	v_ldexp_f32 v11, v11, v13
	v_cndmask_b32_e32 v11, 0, v11, vcc
	v_cmp_nlt_f32_e32 vcc, s4, v8
	v_cndmask_b32_e32 v8, v4, v11, vcc
	v_fmac_f32_e32 v7, v8, v9
	s_waitcnt vmcnt(0)
	v_fmac_f32_e32 v6, v10, v8
	s_cbranch_scc1 .LBB8_29
.LBB8_30:
	s_waitcnt lgkmcnt(0)
	v_div_scale_f32 v1, s[0:1], v7, v7, v6
	v_rcp_f32_e32 v2, v1
	v_div_scale_f32 v3, vcc, v6, v7, v6
	v_fma_f32 v4, -v1, v2, 1.0
	v_fmac_f32_e32 v2, v4, v2
	v_mul_f32_e32 v4, v3, v2
	v_fma_f32 v5, -v1, v4, v3
	v_fmac_f32_e32 v4, v5, v2
	v_fma_f32 v1, -v1, v4, v3
	v_div_fmas_f32 v1, v1, v2, v4
	v_div_fixup_f32 v1, v1, v7, v6
.LBB8_31:
	s_lshl_b32 s0, s16, 6
	s_ashr_i32 s1, s0, 31
	s_lshl_b64 s[0:1], s[0:1], 2
	s_add_u32 s0, s14, s0
	s_addc_u32 s1, s15, s1
	v_lshlrev_b32_e32 v0, 2, v0
	global_store_dword v0, v1, s[0:1]
	s_endpgm
	.section	.rodata,"a",@progbits
	.p2align	6, 0x0
	.amdhsa_kernel _ZL26flash_attn_combine_resultsILi64EEvPKfPK15HIP_vector_typeIfLj2EEPfi
		.amdhsa_group_segment_fixed_size 0
		.amdhsa_private_segment_fixed_size 0
		.amdhsa_kernarg_size 288
		.amdhsa_user_sgpr_count 6
		.amdhsa_user_sgpr_private_segment_buffer 1
		.amdhsa_user_sgpr_dispatch_ptr 0
		.amdhsa_user_sgpr_queue_ptr 0
		.amdhsa_user_sgpr_kernarg_segment_ptr 1
		.amdhsa_user_sgpr_dispatch_id 0
		.amdhsa_user_sgpr_flat_scratch_init 0
		.amdhsa_user_sgpr_kernarg_preload_length 0
		.amdhsa_user_sgpr_kernarg_preload_offset 0
		.amdhsa_user_sgpr_private_segment_size 0
		.amdhsa_uses_dynamic_stack 0
		.amdhsa_system_sgpr_private_segment_wavefront_offset 0
		.amdhsa_system_sgpr_workgroup_id_x 1
		.amdhsa_system_sgpr_workgroup_id_y 1
		.amdhsa_system_sgpr_workgroup_id_z 1
		.amdhsa_system_sgpr_workgroup_info 0
		.amdhsa_system_vgpr_workitem_id 0
		.amdhsa_next_free_vgpr 51
		.amdhsa_next_free_sgpr 26
		.amdhsa_accum_offset 52
		.amdhsa_reserve_vcc 1
		.amdhsa_reserve_flat_scratch 0
		.amdhsa_float_round_mode_32 0
		.amdhsa_float_round_mode_16_64 0
		.amdhsa_float_denorm_mode_32 3
		.amdhsa_float_denorm_mode_16_64 3
		.amdhsa_dx10_clamp 1
		.amdhsa_ieee_mode 1
		.amdhsa_fp16_overflow 0
		.amdhsa_tg_split 0
		.amdhsa_exception_fp_ieee_invalid_op 0
		.amdhsa_exception_fp_denorm_src 0
		.amdhsa_exception_fp_ieee_div_zero 0
		.amdhsa_exception_fp_ieee_overflow 0
		.amdhsa_exception_fp_ieee_underflow 0
		.amdhsa_exception_fp_ieee_inexact 0
		.amdhsa_exception_int_div_zero 0
	.end_amdhsa_kernel
	.section	.text._ZL26flash_attn_combine_resultsILi64EEvPKfPK15HIP_vector_typeIfLj2EEPfi,"axG",@progbits,_ZL26flash_attn_combine_resultsILi64EEvPKfPK15HIP_vector_typeIfLj2EEPfi,comdat
.Lfunc_end8:
	.size	_ZL26flash_attn_combine_resultsILi64EEvPKfPK15HIP_vector_typeIfLj2EEPfi, .Lfunc_end8-_ZL26flash_attn_combine_resultsILi64EEvPKfPK15HIP_vector_typeIfLj2EEPfi
                                        ; -- End function
	.section	.AMDGPU.csdata,"",@progbits
; Kernel info:
; codeLenInByte = 3028
; NumSgprs: 30
; NumVgprs: 51
; NumAgprs: 0
; TotalNumVgprs: 51
; ScratchSize: 0
; MemoryBound: 0
; FloatMode: 240
; IeeeMode: 1
; LDSByteSize: 0 bytes/workgroup (compile time only)
; SGPRBlocks: 3
; VGPRBlocks: 6
; NumSGPRsForWavesPerEU: 30
; NumVGPRsForWavesPerEU: 51
; AccumOffset: 52
; Occupancy: 8
; WaveLimiterHint : 0
; COMPUTE_PGM_RSRC2:SCRATCH_EN: 0
; COMPUTE_PGM_RSRC2:USER_SGPR: 6
; COMPUTE_PGM_RSRC2:TRAP_HANDLER: 0
; COMPUTE_PGM_RSRC2:TGID_X_EN: 1
; COMPUTE_PGM_RSRC2:TGID_Y_EN: 1
; COMPUTE_PGM_RSRC2:TGID_Z_EN: 1
; COMPUTE_PGM_RSRC2:TIDIG_COMP_CNT: 0
; COMPUTE_PGM_RSRC3_GFX90A:ACCUM_OFFSET: 12
; COMPUTE_PGM_RSRC3_GFX90A:TG_SPLIT: 0
	.section	.text._ZL18flash_attn_ext_f16ILi80ELi80ELi16ELi2ELb0ELb0EEvPKcS1_S1_S1_S1_PKiPfP15HIP_vector_typeIfLj2EEffffjfiS5_IjLj3EEiiiiiiiiiiiliiliiiiil,"axG",@progbits,_ZL18flash_attn_ext_f16ILi80ELi80ELi16ELi2ELb0ELb0EEvPKcS1_S1_S1_S1_PKiPfP15HIP_vector_typeIfLj2EEffffjfiS5_IjLj3EEiiiiiiiiiiiliiliiiiil,comdat
	.globl	_ZL18flash_attn_ext_f16ILi80ELi80ELi16ELi2ELb0ELb0EEvPKcS1_S1_S1_S1_PKiPfP15HIP_vector_typeIfLj2EEffffjfiS5_IjLj3EEiiiiiiiiiiiliiliiiiil ; -- Begin function _ZL18flash_attn_ext_f16ILi80ELi80ELi16ELi2ELb0ELb0EEvPKcS1_S1_S1_S1_PKiPfP15HIP_vector_typeIfLj2EEffffjfiS5_IjLj3EEiiiiiiiiiiiliiliiiiil
	.p2align	8
	.type	_ZL18flash_attn_ext_f16ILi80ELi80ELi16ELi2ELb0ELb0EEvPKcS1_S1_S1_S1_PKiPfP15HIP_vector_typeIfLj2EEffffjfiS5_IjLj3EEiiiiiiiiiiiliiliiiiil,@function
_ZL18flash_attn_ext_f16ILi80ELi80ELi16ELi2ELb0ELb0EEvPKcS1_S1_S1_S1_PKiPfP15HIP_vector_typeIfLj2EEffffjfiS5_IjLj3EEiiiiiiiiiiiliiliiiiil: ; @_ZL18flash_attn_ext_f16ILi80ELi80ELi16ELi2ELb0ELb0EEvPKcS1_S1_S1_S1_PKiPfP15HIP_vector_typeIfLj2EEffffjfiS5_IjLj3EEiiiiiiiiiiiliiliiiiil
; %bb.0:
	s_load_dwordx2 s[2:3], s[4:5], 0x80
	s_load_dwordx4 s[20:23], s[4:5], 0x64
	s_mov_b32 s55, s6
                                        ; implicit-def: $vgpr188 : SGPR spill to VGPR lane
	s_load_dword s31, s[4:5], 0xd0
	s_mov_b32 s0, 0
	s_waitcnt lgkmcnt(0)
	s_abs_i32 s1, s3
	v_cvt_f32_u32_e32 v1, s1
	s_sub_i32 s8, 0, s1
	s_abs_i32 s7, s21
	s_xor_b32 s6, s21, s3
	v_rcp_iflag_f32_e32 v1, v1
	s_ashr_i32 s6, s6, 31
	v_cvt_f32_ubyte0_e32 v3, 0
	v_mul_f32_e32 v1, 0x4f7ffffe, v1
	v_cvt_u32_f32_e32 v1, v1
	v_readfirstlane_b32 s9, v1
	s_mul_i32 s8, s8, s9
	s_mul_hi_u32 s8, s9, s8
	s_add_i32 s9, s9, s8
	s_mul_hi_u32 s8, s7, s9
	s_mul_i32 s9, s8, s1
	s_sub_i32 s7, s7, s9
	s_add_i32 s10, s8, 1
	s_sub_i32 s9, s7, s1
	s_cmp_ge_u32 s7, s1
	s_cselect_b32 s8, s10, s8
	s_cselect_b32 s7, s9, s7
	s_add_i32 s9, s8, 1
	s_cmp_ge_u32 s7, s1
	s_cselect_b32 s1, s9, s8
	s_add_i32 s2, s2, 63
	s_xor_b32 s1, s1, s6
	s_ashr_i32 s7, s2, 31
	s_sub_i32 s33, s1, s6
	s_lshr_b32 s1, s7, 26
	s_add_i32 s2, s2, s1
	s_add_i32 s1, s20, 15
	s_lshr_b32 s6, s1, 4
	s_add_i32 s1, s33, 1
	s_ashr_i32 s90, s2, 6
	s_lshr_b32 s2, s1, 31
	s_add_i32 s1, s1, s2
	s_ashr_i32 s1, s1, 1
	v_writelane_b32 v188, s6, 0
	s_mul_i32 s2, s6, s90
	v_writelane_b32 v188, s2, 1
	s_mul_i32 s1, s2, s1
	v_writelane_b32 v188, s1, 2
	s_mul_i32 s1, s1, s3
	s_mul_i32 s6, s1, s22
	s_ashr_i32 s7, s6, 31
	v_cvt_f32_u32_e32 v1, s31
	v_writelane_b32 v188, s1, 3
	s_mul_i32 s1, s7, s55
	s_mul_hi_u32 s2, s6, s55
	s_add_i32 s1, s2, s1
	s_mul_i32 s8, s6, s55
	s_cmp_lg_u64 s[0:1], 0
	s_cbranch_scc0 .LBB9_2
; %bb.1:
	v_madmk_f32 v2, v3, 0x4f800000, v1
	v_rcp_f32_e32 v2, v2
	s_sub_u32 s0, 0, s31
	s_subb_u32 s9, 0, 0
	s_mov_b64 s[2:3], 0
	v_mul_f32_e32 v2, 0x5f7ffffc, v2
	v_mul_f32_e32 v4, 0x2f800000, v2
	v_trunc_f32_e32 v4, v4
	v_madmk_f32 v2, v4, 0xcf800000, v2
	v_cvt_u32_f32_e32 v4, v4
	v_cvt_u32_f32_e32 v2, v2
	v_readfirstlane_b32 s10, v4
	v_readfirstlane_b32 s11, v2
	s_mul_hi_u32 s13, s0, s11
	s_mul_i32 s14, s0, s10
	s_mul_i32 s12, s9, s11
	s_add_i32 s13, s13, s14
	s_add_i32 s13, s13, s12
	s_mul_i32 s15, s0, s11
	s_mul_hi_u32 s12, s11, s13
	s_mul_i32 s14, s11, s13
	s_mul_hi_u32 s11, s11, s15
	s_add_u32 s11, s11, s14
	s_addc_u32 s12, 0, s12
	s_mul_hi_u32 s16, s10, s15
	s_mul_i32 s15, s10, s15
	s_add_u32 s11, s11, s15
	s_mul_hi_u32 s14, s10, s13
	s_addc_u32 s11, s12, s16
	s_addc_u32 s12, s14, 0
	s_mul_i32 s13, s10, s13
	s_add_u32 s11, s11, s13
	s_addc_u32 s12, 0, s12
	v_add_co_u32_e32 v2, vcc, s11, v2
	s_cmp_lg_u64 vcc, 0
	s_addc_u32 s10, s10, s12
	v_readfirstlane_b32 s12, v2
	s_mul_i32 s11, s0, s10
	s_mul_hi_u32 s13, s0, s12
	s_add_i32 s11, s13, s11
	s_mul_i32 s9, s9, s12
	s_add_i32 s11, s11, s9
	s_mul_i32 s0, s0, s12
	s_mul_hi_u32 s13, s10, s0
	s_mul_i32 s14, s10, s0
	s_mul_i32 s16, s12, s11
	s_mul_hi_u32 s0, s12, s0
	s_mul_hi_u32 s15, s12, s11
	s_add_u32 s0, s0, s16
	s_addc_u32 s12, 0, s15
	s_add_u32 s0, s0, s14
	s_mul_hi_u32 s9, s10, s11
	s_addc_u32 s0, s12, s13
	s_addc_u32 s9, s9, 0
	s_mul_i32 s11, s10, s11
	s_add_u32 s0, s0, s11
	s_addc_u32 s9, 0, s9
	v_add_co_u32_e32 v2, vcc, s0, v2
	s_cmp_lg_u64 vcc, 0
	s_addc_u32 s9, s10, s9
	s_ashr_i32 s10, s1, 31
	s_add_u32 s0, s8, s10
	s_mov_b32 s11, s10
	s_addc_u32 s1, s1, s10
	s_xor_b64 s[0:1], s[0:1], s[10:11]
	v_readfirstlane_b32 s14, v2
	s_mul_i32 s13, s0, s9
	s_mul_hi_u32 s15, s0, s14
	s_mul_hi_u32 s12, s0, s9
	s_add_u32 s13, s15, s13
	s_addc_u32 s12, 0, s12
	s_mul_hi_u32 s16, s1, s14
	s_mul_i32 s14, s1, s14
	s_add_u32 s13, s13, s14
	s_mul_hi_u32 s15, s1, s9
	s_addc_u32 s12, s12, s16
	s_addc_u32 s13, s15, 0
	s_mul_i32 s9, s1, s9
	s_add_u32 s9, s12, s9
	s_addc_u32 s12, 0, s13
	s_add_u32 s13, s9, 1
	s_addc_u32 s14, s12, 0
	s_add_u32 s15, s9, 2
	s_mul_i32 s17, s31, s12
	s_mul_hi_u32 s18, s31, s9
	s_addc_u32 s16, s12, 0
	s_add_i32 s18, s18, s17
	s_mul_i32 s17, s31, s9
	v_mov_b32_e32 v2, s17
	v_sub_co_u32_e32 v2, vcc, s0, v2
	s_cmp_lg_u64 vcc, 0
	s_subb_u32 s0, s1, s18
	v_subrev_co_u32_e32 v4, vcc, s31, v2
	s_cmp_lg_u64 vcc, 0
	s_subb_u32 s1, s0, 0
	v_readfirstlane_b32 s17, v4
	s_cmp_ge_u32 s17, s31
	s_cselect_b32 s17, -1, 0
	s_cmp_eq_u32 s1, 0
	s_cselect_b32 s1, s17, -1
	s_cmp_lg_u32 s1, 0
	s_cselect_b32 s1, s16, s14
	v_readfirstlane_b32 s14, v2
	s_cselect_b32 s13, s15, s13
	s_cmp_ge_u32 s14, s31
	s_cselect_b32 s14, -1, 0
	s_cmp_eq_u32 s0, 0
	s_cselect_b32 s0, s14, -1
	s_cmp_lg_u32 s0, 0
	s_cselect_b32 s1, s1, s12
	s_cselect_b32 s0, s13, s9
	s_xor_b64 s[0:1], s[0:1], s[10:11]
	s_sub_u32 s58, s0, s10
	s_branch .LBB9_3
.LBB9_2:
	s_mov_b64 s[2:3], -1
                                        ; implicit-def: $sgpr58_sgpr59
.LBB9_3:
	s_load_dwordx2 s[0:1], s[4:5], 0x74
	v_cvt_f32_u32_e32 v2, s31
	s_andn2_b64 vcc, exec, s[2:3]
	s_waitcnt lgkmcnt(0)
	v_writelane_b32 v188, s0, 4
	v_writelane_b32 v188, s1, 5
	s_cbranch_vccnz .LBB9_5
; %bb.4:
	v_rcp_iflag_f32_e32 v4, v2
	s_sub_i32 s0, 0, s31
	v_mul_f32_e32 v4, 0x4f7ffffe, v4
	v_cvt_u32_f32_e32 v4, v4
	v_readfirstlane_b32 s1, v4
	s_mul_i32 s0, s0, s1
	s_mul_hi_u32 s0, s1, s0
	s_add_i32 s1, s1, s0
	s_mul_hi_u32 s0, s8, s1
	s_mul_i32 s2, s0, s31
	s_sub_i32 s2, s8, s2
	s_add_i32 s1, s0, 1
	s_sub_i32 s3, s2, s31
	s_cmp_ge_u32 s2, s31
	s_cselect_b32 s0, s1, s0
	s_cselect_b32 s2, s3, s2
	s_add_i32 s1, s0, 1
	s_cmp_ge_u32 s2, s31
	s_cselect_b32 s58, s1, s0
.LBB9_5:
	s_add_i32 s0, s55, 1
	s_mul_i32 s1, s7, s0
	s_mul_hi_u32 s2, s6, s0
	s_add_i32 s3, s2, s1
	s_mov_b32 s2, 0
	s_cmp_lg_u64 s[2:3], 0
	s_mul_i32 s2, s6, s0
	s_cbranch_scc0 .LBB9_222
; %bb.6:
	v_madmk_f32 v1, v3, 0x4f800000, v1
	v_rcp_f32_e32 v1, v1
	s_sub_u32 s6, 0, s31
	s_subb_u32 s7, 0, 0
	v_mul_f32_e32 v1, 0x5f7ffffc, v1
	v_mul_f32_e32 v3, 0x2f800000, v1
	v_trunc_f32_e32 v3, v3
	v_madmk_f32 v1, v3, 0xcf800000, v1
	v_cvt_u32_f32_e32 v3, v3
	v_cvt_u32_f32_e32 v1, v1
	v_readfirstlane_b32 s8, v3
	v_readfirstlane_b32 s9, v1
	s_mul_hi_u32 s11, s6, s9
	s_mul_i32 s12, s6, s8
	s_mul_i32 s10, s7, s9
	s_add_i32 s11, s11, s12
	s_add_i32 s11, s11, s10
	s_mul_i32 s13, s6, s9
	s_mul_hi_u32 s10, s9, s11
	s_mul_i32 s12, s9, s11
	s_mul_hi_u32 s9, s9, s13
	s_add_u32 s9, s9, s12
	s_addc_u32 s10, 0, s10
	s_mul_hi_u32 s14, s8, s13
	s_mul_i32 s13, s8, s13
	s_add_u32 s9, s9, s13
	s_mul_hi_u32 s12, s8, s11
	s_addc_u32 s9, s10, s14
	s_addc_u32 s10, s12, 0
	s_mul_i32 s11, s8, s11
	s_add_u32 s9, s9, s11
	s_addc_u32 s10, 0, s10
	v_add_co_u32_e32 v1, vcc, s9, v1
	s_cmp_lg_u64 vcc, 0
	s_addc_u32 s8, s8, s10
	v_readfirstlane_b32 s10, v1
	s_mul_i32 s9, s6, s8
	s_mul_hi_u32 s11, s6, s10
	s_add_i32 s9, s11, s9
	s_mul_i32 s7, s7, s10
	s_add_i32 s9, s9, s7
	s_mul_i32 s6, s6, s10
	s_mul_hi_u32 s11, s8, s6
	s_mul_i32 s12, s8, s6
	s_mul_i32 s14, s10, s9
	s_mul_hi_u32 s6, s10, s6
	s_mul_hi_u32 s13, s10, s9
	s_add_u32 s6, s6, s14
	s_addc_u32 s10, 0, s13
	s_add_u32 s6, s6, s12
	s_mul_hi_u32 s7, s8, s9
	s_addc_u32 s6, s10, s11
	s_addc_u32 s7, s7, 0
	s_mul_i32 s9, s8, s9
	s_add_u32 s6, s6, s9
	s_addc_u32 s7, 0, s7
	v_add_co_u32_e32 v1, vcc, s6, v1
	s_cmp_lg_u64 vcc, 0
	s_addc_u32 s10, s8, s7
	s_ashr_i32 s6, s3, 31
	s_add_u32 s8, s2, s6
	s_mov_b32 s7, s6
	s_addc_u32 s9, s3, s6
	s_xor_b64 s[8:9], s[8:9], s[6:7]
	v_readfirstlane_b32 s12, v1
	s_mul_i32 s11, s8, s10
	s_mul_hi_u32 s13, s8, s12
	s_mul_hi_u32 s3, s8, s10
	s_add_u32 s11, s13, s11
	s_addc_u32 s3, 0, s3
	s_mul_hi_u32 s14, s9, s12
	s_mul_i32 s12, s9, s12
	s_add_u32 s11, s11, s12
	s_mul_hi_u32 s13, s9, s10
	s_addc_u32 s3, s3, s14
	s_addc_u32 s11, s13, 0
	s_mul_i32 s10, s9, s10
	s_add_u32 s3, s3, s10
	s_addc_u32 s10, 0, s11
	s_add_u32 s11, s3, 1
	s_addc_u32 s12, s10, 0
	s_add_u32 s13, s3, 2
	s_mul_i32 s15, s31, s10
	s_mul_hi_u32 s16, s31, s3
	s_addc_u32 s14, s10, 0
	s_add_i32 s16, s16, s15
	s_mul_i32 s15, s31, s3
	v_mov_b32_e32 v1, s15
	v_sub_co_u32_e32 v1, vcc, s8, v1
	s_cmp_lg_u64 vcc, 0
	s_subb_u32 s8, s9, s16
	v_subrev_co_u32_e32 v3, vcc, s31, v1
	s_cmp_lg_u64 vcc, 0
	s_subb_u32 s9, s8, 0
	v_readfirstlane_b32 s15, v3
	s_cmp_ge_u32 s15, s31
	s_cselect_b32 s15, -1, 0
	s_cmp_eq_u32 s9, 0
	s_cselect_b32 s9, s15, -1
	s_cmp_lg_u32 s9, 0
	s_cselect_b32 s9, s14, s12
	v_readfirstlane_b32 s12, v1
	s_cselect_b32 s11, s13, s11
	s_cmp_ge_u32 s12, s31
	s_cselect_b32 s12, -1, 0
	s_cmp_eq_u32 s8, 0
	s_cselect_b32 s8, s12, -1
	s_cmp_lg_u32 s8, 0
	s_cselect_b32 s9, s9, s10
	s_cselect_b32 s8, s11, s3
	s_xor_b64 s[8:9], s[8:9], s[6:7]
	s_sub_u32 s62, s8, s6
	s_load_dwordx2 s[28:29], s[4:5], 0x5c
	s_cbranch_execnz .LBB9_8
.LBB9_7:
	v_rcp_iflag_f32_e32 v1, v2
	s_sub_i32 s0, 0, s31
	v_mul_f32_e32 v1, 0x4f7ffffe, v1
	v_cvt_u32_f32_e32 v1, v1
	v_readfirstlane_b32 s1, v1
	s_mul_i32 s0, s0, s1
	s_mul_hi_u32 s0, s1, s0
	s_add_i32 s1, s1, s0
	s_mul_hi_u32 s0, s2, s1
	s_mul_i32 s3, s0, s31
	s_sub_i32 s2, s2, s3
	s_add_i32 s1, s0, 1
	s_sub_i32 s3, s2, s31
	s_cmp_ge_u32 s2, s31
	s_cselect_b32 s0, s1, s0
	s_cselect_b32 s2, s3, s2
	s_add_i32 s1, s0, 1
	s_cmp_ge_u32 s2, s31
	s_cselect_b32 s62, s1, s0
.LBB9_8:
	s_abs_i32 s91, s90
	v_cvt_f32_u32_e32 v1, s91
	v_readlane_b32 s2, v188, 4
	s_load_dwordx16 s[36:51], s[4:5], 0x0
	s_load_dword s6, s[4:5], 0x40
	s_load_dwordx2 s[0:1], s[4:5], 0x8c
	s_load_dwordx4 s[24:27], s[4:5], 0x98
	s_load_dwordx2 s[34:35], s[4:5], 0xa8
	s_load_dwordx2 s[12:13], s[4:5], 0xb8
	s_load_dwordx2 s[52:53], s[4:5], 0xc8
	s_ashr_i32 s19, s2, 3
	v_rcp_iflag_f32_e32 v1, v1
	s_sub_i32 s2, 0, s91
	v_readlane_b32 s3, v188, 5
	s_waitcnt lgkmcnt(0)
	v_writelane_b32 v188, s0, 6
	v_mul_f32_e32 v1, 0x4f7ffffe, v1
	v_cvt_u32_f32_e32 v1, v1
	v_writelane_b32 v188, s1, 7
	s_ashr_i32 s1, s90, 31
	v_writelane_b32 v188, s1, 8
	v_readfirstlane_b32 s54, v1
	s_mul_i32 s2, s2, s54
	s_mul_hi_u32 s2, s54, s2
	s_abs_i32 s1, s58
	s_add_i32 s54, s54, s2
	s_mul_hi_u32 s2, s1, s54
	s_mul_i32 s2, s2, s91
	s_sub_i32 s1, s1, s2
	s_ashr_i32 s59, s23, 3
	s_ashr_i32 s22, s0, 2
	;; [unrolled: 1-line block ×5, first 2 shown]
	s_sub_i32 s2, s1, s91
	s_cmp_ge_u32 s1, s91
	s_cselect_b32 s1, s2, s1
	s_sub_i32 s2, s1, s91
	s_cmp_ge_u32 s1, s91
	s_cselect_b32 s1, s2, s1
	s_xor_b32 s1, s1, s0
	s_sub_i32 s15, s1, s0
	s_sub_i32 s0, s62, s58
	s_add_i32 s2, s0, s15
	s_min_i32 s56, s90, s2
	s_cmp_gt_i32 s62, s58
	s_cselect_b64 s[10:11], -1, 0
	s_cmp_le_i32 s62, s58
	v_cvt_f16_f32_e32 v1, s6
	s_cselect_b64 s[0:1], -1, 0
	s_cmp_gt_i32 s90, s2
	s_cselect_b64 s[2:3], -1, 0
	s_or_b64 s[0:1], s[2:3], s[0:1]
	v_bfe_u32 v45, v0, 10, 10
	s_mov_b32 s65, 0
	s_and_b64 vcc, exec, s[0:1]
	v_pack_b32_f16 v25, v1, v1
	v_lshlrev_b32_e32 v27, 1, v45
	v_lshlrev_b32_e32 v67, 3, v45
	;; [unrolled: 1-line block ×3, first 2 shown]
	v_and_b32_e32 v23, 1, v45
	v_mbcnt_lo_u32_b32 v71, -1, 0
	s_cbranch_vccz .LBB9_11
; %bb.9:
	s_andn2_b64 vcc, exec, s[10:11]
	s_cbranch_vccz .LBB9_198
.LBB9_10:
	s_endpgm
.LBB9_11:
	s_cmp_eq_u64 s[44:45], 0
	v_writelane_b32 v188, s31, 9
	s_cselect_b64 s[0:1], -1, 0
	v_writelane_b32 v188, s0, 10
	s_cmp_lg_u64 s[46:47], 0
	v_and_b32_e32 v1, 0x3ff, v0
	v_writelane_b32 v188, s1, 11
	s_cselect_b64 s[0:1], -1, 0
	v_and_b32_e32 v5, 0x7f0, v67
	v_lshrrev_b32_e32 v14, 2, v1
	v_writelane_b32 v188, s0, 12
	v_and_b32_e32 v19, 16, v47
	v_and_b32_e32 v15, 60, v14
	v_and_or_b32 v17, v1, 14, v5
	v_writelane_b32 v188, s1, 13
	s_movk_i32 s0, 0x90
	v_lshrrev_b32_e32 v17, 1, v17
	v_add_u16_e32 v18, v15, v19
	v_add_u32_e32 v16, v15, v19
	v_mad_u32_u24 v17, v17, s0, 0
	v_lshrrev_b16_e32 v18, 1, v18
	v_and_b32_e32 v2, 15, v1
	v_lshl_add_u32 v41, v18, 2, v17
	v_lshl_add_u32 v24, v16, 1, v17
	v_mul_u32_u24_e32 v16, 0x58, v15
	v_and_b32_e32 v18, 8, v67
	s_movk_i32 s0, 0x160
	v_or_b32_e32 v14, 3, v14
	v_mul_u32_u24_e32 v17, 0xb0, v15
	v_or_b32_e32 v16, v16, v2
	v_mul_u32_u24_e32 v20, 0x160, v18
	v_mad_u32_u24 v21, v18, s0, 0
	v_lshlrev_b32_e32 v22, 1, v2
	v_lshrrev_b32_e32 v4, 3, v1
	s_movk_i32 s2, 0xb0
	v_mul_u32_u24_e32 v14, 0xb0, v14
	v_lshlrev_b32_e32 v16, 1, v16
	v_add3_u32 v82, v21, v17, v22
	v_add3_u32 v17, 0, 32, v20
	v_and_b32_e32 v6, 30, v4
	v_add_u32_e32 v73, v21, v16
	v_add3_u32 v83, v21, v14, v22
	v_add_u32_e32 v84, v17, v16
	v_mad_u32_u24 v21, v15, s2, v17
	v_add3_u32 v86, v17, v14, v22
	v_add3_u32 v17, 0, 64, v20
	s_add_i32 s3, 0, 0x60
	v_mul_u32_u24_e32 v3, 0xb0, v2
	v_lshlrev_b32_e32 v7, 2, v6
	v_add_u32_e32 v87, v17, v16
	v_mad_u32_u24 v20, v15, s2, v17
	v_add3_u32 v89, v17, v14, v22
	v_mov_b32_e32 v17, s3
	v_add3_u32 v37, 0, v3, v7
	v_lshrrev_b32_e32 v3, 1, v1
	v_lshlrev_b32_e32 v12, 2, v1
	s_movk_i32 s1, 0x1600
	v_mad_u32_u24 v17, v18, s0, v17
	s_add_i32 s3, 0, 0x80
	v_lshl_add_u32 v7, v45, 5, v3
	v_and_b32_e32 v10, 4, v12
	v_add3_u32 v88, v20, v22, s1
	v_add_u32_e32 v90, v17, v16
	v_mad_u32_u24 v20, v15, s2, v17
	v_add3_u32 v92, v17, v14, v22
	v_mov_b32_e32 v17, s3
	v_add_u32_e32 v8, v67, v4
	v_mad_u32_u24 v9, v7, s2, 0
	v_lshlrev_b32_e32 v13, 2, v10
	s_movk_i32 s61, 0x80
	v_mad_u32_u24 v17, v18, s0, v17
	v_and_b32_e32 v12, 28, v12
	v_add3_u32 v39, v9, v13, s61
	v_mul_u32_u24_e32 v9, 0xb0, v8
	v_mad_u32_u24 v15, v15, s2, v17
	v_add3_u32 v95, v17, v14, v22
	v_lshlrev_b32_e32 v14, 2, v12
	s_lshl_b32 s64, s55, 5
	v_lshrrev_b32_e32 v11, 5, v1
	s_ashr_i32 s31, s30, 31
	s_ashr_i32 s23, s22, 31
	s_mov_b32 s10, s19
	s_ashr_i32 s19, s18, 31
	v_add3_u32 v85, v21, v22, s1
	v_add3_u32 v91, v20, v22, s1
	;; [unrolled: 1-line block ×4, first 2 shown]
	v_add_u32_e32 v9, 0, v13
	s_lshl_b64 s[0:1], s[64:65], 3
	v_or_b32_e32 v13, v67, v1
	v_mul_u32_u24_e32 v3, 0xb0, v7
	s_add_u32 s0, s50, s0
	v_lshlrev_b32_e32 v13, 3, v13
	v_or_b32_e32 v2, v47, v2
	v_add_u32_e32 v40, v11, v45
	v_add_co_u32_e32 v14, vcc, s0, v13
	v_mad_u32_u24 v13, v2, 44, v6
	v_add3_u32 v97, v9, v3, s61
	v_lshlrev_b32_e32 v2, 1, v40
	v_and_b32_e32 v3, 15, v40
	s_movk_i32 s0, 0x3e0
	v_add_u32_e32 v29, 4, v40
	v_and_or_b32 v28, v2, s0, v3
	v_lshlrev_b32_e32 v2, 1, v29
	v_and_b32_e32 v9, 15, v29
	s_movk_i32 s0, 0x7e0
	v_add_u32_e32 v31, 8, v40
	v_and_or_b32 v30, v2, s0, v9
	v_lshlrev_b32_e32 v2, 1, v31
	v_and_b32_e32 v9, 15, v31
	v_add_u32_e32 v33, 12, v40
	v_and_or_b32 v32, v2, s0, v9
	v_lshlrev_b32_e32 v2, 1, v33
	v_and_b32_e32 v9, 15, v33
	v_add_u32_e32 v35, 16, v40
	v_and_or_b32 v34, v2, s0, v9
	v_lshlrev_b32_e32 v2, 1, v35
	v_add_u32_e32 v38, 20, v40
	v_and_or_b32 v36, v2, s0, v3
	v_lshlrev_b32_e32 v2, 1, v38
	v_and_b32_e32 v3, 15, v38
	v_add_u32_e32 v43, 24, v40
	v_and_or_b32 v42, v2, s0, v3
	v_lshlrev_b32_e32 v2, 1, v43
	v_and_b32_e32 v3, 15, v43
	v_add_u32_e32 v46, 28, v40
	v_writelane_b32 v188, s55, 14
	v_lshlrev_b32_e32 v6, 2, v45
	v_and_or_b32 v44, v2, s0, v3
	v_lshlrev_b32_e32 v2, 1, v46
	v_and_b32_e32 v3, 15, v46
	v_and_or_b32 v48, v2, s0, v3
	v_add_u32_e32 v2, v4, v6
	v_readlane_b32 s7, v188, 3
	s_addc_u32 s1, s51, s1
	s_movk_i32 s0, 0xfe0
	v_lshlrev_b32_e32 v3, 1, v2
	v_and_b32_e32 v9, 15, v2
	s_abs_i32 s92, s7
	v_and_or_b32 v49, v3, s0, v9
	v_cvt_f32_u32_e32 v3, s92
	v_readlane_b32 s9, v188, 2
	s_abs_i32 s93, s9
	v_add_u32_e32 v93, v17, v16
	v_rcp_iflag_f32_e32 v3, v3
	v_cvt_f32_u32_e32 v16, s93
	v_add_u32_e32 v50, 16, v2
	s_movk_i32 s0, 0x1fe0
	v_lshlrev_b32_e32 v2, 1, v50
	v_readlane_b32 s8, v188, 1
	v_and_or_b32 v51, v2, s0, v9
	v_mul_f32_e32 v2, 0x4f7ffffe, v3
	s_abs_i32 s94, s8
	s_abs_i32 s95, s12
	v_cvt_u32_f32_e32 v2, v2
	v_rcp_iflag_f32_e32 v3, v16
	v_cvt_f32_u32_e32 v9, s94
	v_cvt_f32_u32_e32 v16, s95
	v_readfirstlane_b32 s4, v2
	s_mov_b32 s0, s12
	v_rcp_iflag_f32_e32 v2, v9
	v_rcp_iflag_f32_e32 v9, v16
	v_mov_b32_e32 v15, s1
	v_writelane_b32 v188, s0, 15
	v_mul_f32_e32 v2, 0x4f7ffffe, v2
	v_mul_f32_e32 v9, 0x4f7ffffe, v9
	v_cvt_u32_f32_e32 v2, v2
	v_cvt_u32_f32_e32 v9, v9
	v_mul_f32_e32 v3, 0x4f7ffffe, v3
	v_writelane_b32 v188, s1, 16
	v_cvt_u32_f32_e32 v3, v3
	s_sub_i32 s0, 0, s95
	v_readfirstlane_b32 s6, v2
	v_mul_lo_u32 v2, s0, v9
	v_mul_hi_u32 v2, v9, v2
	v_add_u32_e32 v98, v9, v2
	v_mul_lo_u32 v2, s18, v7
	v_readfirstlane_b32 s5, v3
	v_ashrrev_i32_e32 v3, 31, v2
	v_and_b32_e32 v18, 1, v1
	v_cmp_eq_u32_e64 s[12:13], 1, v23
	v_addc_co_u32_e32 v15, vcc, 0, v15, vcc
	v_lshlrev_b64 v[16:17], 2, v[2:3]
	v_lshlrev_b32_e32 v9, 4, v18
	v_writelane_b32 v188, s12, 17
	v_add_co_u32_e32 v2, vcc, v9, v16
	v_writelane_b32 v188, s13, 18
	v_cmp_gt_u32_e64 s[12:13], 16, v1
	v_addc_co_u32_e32 v3, vcc, 0, v17, vcc
	v_writelane_b32 v188, s12, 19
	v_mov_b32_e32 v20, s41
	v_add_co_u32_e32 v52, vcc, s40, v2
	v_mul_lo_u32 v2, s22, v7
	v_writelane_b32 v188, s13, 20
	v_cmp_gt_u32_e64 s[12:13], 32, v1
	v_addc_co_u32_e32 v53, vcc, v3, v20, vcc
	v_ashrrev_i32_e32 v3, 31, v2
	v_writelane_b32 v188, s12, 21
	v_lshlrev_b64 v[20:21], 2, v[2:3]
	v_writelane_b32 v188, s13, 22
	s_ashr_i32 s7, s7, 31
	v_add_co_u32_e32 v2, vcc, v9, v20
	v_writelane_b32 v188, s7, 23
	s_sub_i32 s7, 0, s92
	v_addc_co_u32_e32 v3, vcc, 0, v21, vcc
	s_mul_i32 s7, s7, s4
	v_add_co_u32_e32 v54, vcc, s38, v2
	v_add_u16_e32 v2, v67, v4
	v_and_b32_e32 v22, 7, v1
	s_mul_hi_u32 s7, s4, s7
	v_cmp_gt_u32_e64 s[0:1], 64, v7
	v_mov_b32_e32 v7, s39
	v_lshrrev_b16_e32 v99, 1, v2
	v_mad_u32_u24 v2, v8, 44, v22
	v_lshl_add_u32 v107, v13, 2, 0
	v_add_u16_e32 v13, v11, v27
	s_add_i32 s4, s4, s7
	v_addc_co_u32_e32 v55, vcc, v3, v7, vcc
	v_add_u16_e32 v56, v4, v6
	v_lshl_add_u32 v100, v2, 2, 0
	v_mul_lo_u32 v2, s22, v8
	v_add_u32_e32 v6, 32, v8
	v_mul_lo_u32 v8, s18, v8
	v_lshrrev_b16_e32 v108, 1, v13
	v_lshlrev_b32_e32 v13, 1, v1
	v_writelane_b32 v188, s4, 24
	s_ashr_i32 s4, s9, 31
	v_ashrrev_i32_e32 v9, 31, v8
	v_add_u32_e32 v109, v11, v27
	v_and_b32_e32 v26, 62, v13
	v_add_u16_e32 v11, v11, v45
	v_writelane_b32 v188, s4, 25
	s_sub_i32 s4, 0, s93
	v_add_co_u32_e32 v144, vcc, s61, v52
	v_mul_lo_u32 v6, s18, v6
	v_lshl_add_u32 v110, v26, 1, 0
	v_lshrrev_b16_e32 v114, 1, v11
	v_mul_u32_u24_e32 v115, 0xb0, v28
	v_mul_u32_u24_e32 v11, 44, v28
	v_lshrrev_b32_e32 v117, 1, v29
	s_mul_i32 s4, s4, s5
	v_addc_co_u32_e32 v145, vcc, 0, v53, vcc
	v_lshlrev_b64 v[28:29], 2, v[8:9]
	v_ashrrev_i32_e32 v7, 31, v6
	v_lshl_add_u32 v116, v11, 2, v110
	v_mul_u32_u24_e32 v11, 44, v30
	s_mul_hi_u32 s4, s5, s4
	v_mov_b32_e32 v8, s41
	v_add_co_u32_e32 v146, vcc, s40, v28
	v_mul_u32_u24_e32 v118, 0xb0, v30
	v_lshl_add_u32 v119, v11, 2, v110
	v_lshrrev_b32_e32 v120, 1, v31
	v_mul_u32_u24_e32 v11, 44, v32
	s_add_i32 s4, s5, s4
	v_addc_co_u32_e32 v147, vcc, v8, v29, vcc
	v_lshlrev_b64 v[30:31], 2, v[6:7]
	v_lshl_add_u32 v122, v11, 2, v110
	v_mul_u32_u24_e32 v11, 44, v34
	v_writelane_b32 v188, s4, 26
	s_ashr_i32 s4, s8, 31
	v_mov_b32_e32 v6, s41
	v_add_co_u32_e32 v148, vcc, s40, v30
	v_lshl_add_u32 v125, v11, 2, v110
	v_mul_u32_u24_e32 v11, 44, v36
	v_writelane_b32 v188, s4, 27
	s_sub_i32 s4, 0, s94
	v_addc_co_u32_e32 v149, vcc, v6, v31, vcc
	v_ashrrev_i32_e32 v3, 31, v2
	v_lshl_add_u32 v128, v11, 2, v110
	v_mul_u32_u24_e32 v11, 44, v42
	s_mul_i32 s4, s4, s6
	v_add_co_u32_e32 v150, vcc, s61, v54
	v_lshl_add_u32 v4, s22, 5, v2
	v_mul_u32_u24_e32 v121, 0xb0, v32
	v_lshrrev_b32_e32 v123, 1, v33
	v_lshl_add_u32 v131, v11, 2, v110
	v_mul_u32_u24_e32 v11, 44, v44
	s_mul_hi_u32 s4, s6, s4
	v_addc_co_u32_e32 v151, vcc, 0, v55, vcc
	v_lshlrev_b64 v[32:33], 2, v[2:3]
	v_mad_u32_u24 v101, v5, s2, v37
	v_ashrrev_i32_e32 v5, 31, v4
	v_mul_u32_u24_e32 v13, 44, v109
	v_lshl_add_u32 v134, v11, 2, v110
	v_mul_u32_u24_e32 v11, 44, v48
	s_add_i32 s4, s6, s4
	v_mov_b32_e32 v2, s39
	v_add_co_u32_e32 v152, vcc, s38, v32
	v_mul_u32_u24_e32 v102, 0xb0, v19
	v_add_u32_e32 v103, 64, v24
	v_add_u32_e32 v104, 0x44, v24
	;; [unrolled: 1-line block ×3, first 2 shown]
	v_and_b32_e32 v24, 31, v1
	v_lshl_add_u32 v111, v13, 2, v110
	v_add_u32_e32 v13, 16, v109
	v_mul_u32_u24_e32 v124, 0xb0, v34
	v_lshrrev_b32_e32 v126, 1, v35
	v_mul_u32_u24_e32 v127, 0xb0, v36
	v_lshl_add_u32 v137, v11, 2, v110
	v_mad_u32_u24 v11, v49, 44, v22
	v_writelane_b32 v188, s4, 28
	s_lshl_b64 s[4:5], s[30:31], 1
	v_addc_co_u32_e32 v153, vcc, v2, v33, vcc
	v_lshlrev_b64 v[34:35], 2, v[4:5]
	v_bfe_u32 v36, v1, 3, 1
	v_mul_u32_u24_e32 v105, 0xb0, v19
	v_add_u32_e32 v19, v47, v24
	v_lshrrev_b32_e32 v112, 1, v13
	v_add_u32_e32 v13, 24, v109
	v_lshl_add_u32 v140, v11, 2, 0
	v_mad_u32_u24 v11, v51, 44, v22
	v_writelane_b32 v188, s4, 29
	v_add_co_u32_e32 v154, vcc, s38, v34
	v_bfe_u32 v156, v1, 5, 1
	v_mul_lo_u32 v1, s10, v36
	v_add_u32_e32 v159, 8, v109
	v_cmp_eq_u32_e64 s[2:3], 0, v23
	v_mul_u32_u24_e32 v106, 0xb0, v19
	v_lshrrev_b32_e32 v113, 1, v13
	v_lshrrev_b32_e32 v129, 1, v38
	v_mul_u32_u24_e32 v130, 0xb0, v42
	v_lshrrev_b32_e32 v132, 1, v43
	v_mul_u32_u24_e32 v133, 0xb0, v44
	;; [unrolled: 2-line block ×3, first 2 shown]
	v_lshrrev_b16_e32 v138, 1, v56
	v_mul_u32_u24_e32 v139, 0xb0, v49
	v_lshrrev_b32_e32 v141, 1, v50
	v_mul_u32_u24_e32 v142, 0xb0, v51
	v_lshl_add_u32 v143, v11, 2, 0
	v_writelane_b32 v188, s5, 30
	s_lshl_b64 s[72:73], s[18:19], 8
	s_lshl_b64 s[74:75], s[22:23], 8
	v_addc_co_u32_e32 v155, vcc, v2, v35, vcc
	s_mov_b32 s31, 0x3fb8aa3b
	s_mov_b32 s55, 0xc2ce8ed0
	;; [unrolled: 1-line block ×5, first 2 shown]
	v_mov_b32_e32 v157, 0
	v_add3_u32 v38, v1, v22, 32
	v_mul_u32_u24_e32 v158, 0x90, v109
	v_add_u32_e32 v160, 0x1600, v82
	v_add_u32_e32 v161, 32, v82
	;; [unrolled: 1-line block ×6, first 2 shown]
	v_and_b32_e32 v40, 1, v40
	v_lshrrev_b32_e32 v166, 1, v159
	v_mbcnt_hi_u32_b32 v167, -1, v71
	v_mov_b32_e32 v168, 0x7f800000
	v_mad_u64_u32 v[42:43], s[4:5], v156, s10, v[24:25]
	v_lshlrev_b32_e32 v44, 2, v24
	v_lshlrev_b32_e32 v46, 4, v22
	v_writelane_b32 v188, s10, 31
	s_branch .LBB9_14
.LBB9_12:                               ;   in Loop: Header=BB9_14 Depth=1
	s_or_b64 exec, exec, s[16:17]
	s_barrier
.LBB9_13:                               ;   in Loop: Header=BB9_14 Depth=1
	s_add_i32 s4, s58, s90
	s_abs_i32 s6, s4
	s_mul_hi_u32 s7, s6, s54
	s_mul_i32 s7, s7, s91
	s_sub_i32 s6, s6, s7
	s_ashr_i32 s5, s4, 31
	s_sub_i32 s7, s6, s91
	s_cmp_ge_u32 s6, s91
	s_cselect_b32 s6, s7, s6
	s_sub_i32 s7, s6, s91
	s_cmp_ge_u32 s6, s91
	s_cselect_b32 s6, s7, s6
	s_xor_b32 s6, s6, s5
	s_sub_i32 s5, s5, s6
	s_add_i32 s58, s4, s5
	s_sub_i32 s4, s62, s58
	s_min_i32 s56, s90, s4
	s_cmp_gt_i32 s62, s58
	s_cselect_b64 s[10:11], -1, 0
	s_cmp_le_i32 s90, s4
	s_cselect_b64 s[4:5], -1, 0
	s_and_b64 s[4:5], s[4:5], s[10:11]
	s_mov_b32 s15, 0
	s_and_b64 vcc, exec, s[4:5]
	s_cbranch_vccz .LBB9_197
.LBB9_14:                               ; =>This Loop Header: Depth=1
                                        ;     Child Loop BB9_132 Depth 2
                                        ;     Child Loop BB9_41 Depth 2
	s_ashr_i32 s4, s58, 31
	v_readlane_b32 s5, v188, 23
	s_xor_b32 s4, s4, s5
	s_abs_i32 s5, s58
	v_readlane_b32 s6, v188, 24
	s_mul_hi_u32 s6, s5, s6
	s_mul_i32 s7, s6, s92
	s_sub_i32 s5, s5, s7
	s_add_i32 s7, s6, 1
	s_sub_i32 s10, s5, s92
	s_cmp_ge_u32 s5, s92
	s_cselect_b32 s6, s7, s6
	s_cselect_b32 s5, s10, s5
	s_add_i32 s7, s6, 1
	s_cmp_ge_u32 s5, s92
	s_cselect_b32 s5, s7, s6
	s_xor_b32 s5, s5, s4
	s_sub_i32 s12, s5, s4
	v_readlane_b32 s4, v188, 3
	s_mul_i32 s4, s12, s4
	s_sub_i32 s4, s58, s4
	s_ashr_i32 s5, s4, 31
	v_readlane_b32 s6, v188, 25
	s_xor_b32 s5, s5, s6
	s_abs_i32 s6, s4
	v_readlane_b32 s7, v188, 26
	s_mul_hi_u32 s7, s6, s7
	s_mul_i32 s10, s7, s93
	s_sub_i32 s6, s6, s10
	s_add_i32 s10, s7, 1
	s_sub_i32 s11, s6, s93
	s_cmp_ge_u32 s6, s93
	s_cselect_b32 s7, s10, s7
	s_cselect_b32 s6, s11, s6
	s_add_i32 s10, s7, 1
	s_cmp_ge_u32 s6, s93
	s_cselect_b32 s6, s10, s7
	s_xor_b32 s6, s6, s5
	s_sub_i32 s13, s6, s5
	v_readlane_b32 s5, v188, 2
	s_mul_i32 s5, s13, s5
	s_sub_i32 s5, s4, s5
	;; [unrolled: 21-line block ×3, first 2 shown]
	s_ashr_i32 s6, s5, 31
	v_readlane_b32 s7, v188, 8
	s_abs_i32 s5, s5
	s_xor_b32 s6, s6, s7
	s_mul_hi_u32 s7, s5, s54
	s_mul_i32 s10, s7, s91
	s_sub_i32 s5, s5, s10
	s_add_i32 s10, s7, 1
	s_sub_i32 s11, s5, s91
	s_cmp_ge_u32 s5, s91
	s_cselect_b32 s7, s10, s7
	s_cselect_b32 s5, s11, s5
	s_add_i32 s10, s7, 1
	s_cmp_ge_u32 s5, s91
	s_cselect_b32 s5, s10, s7
	v_readlane_b32 s10, v188, 12
	s_xor_b32 s5, s5, s6
	v_readlane_b32 s11, v188, 13
	s_andn2_b64 vcc, exec, s[10:11]
	s_sub_i32 s5, s5, s6
	s_cbranch_vccnz .LBB9_16
; %bb.15:                               ;   in Loop: Header=BB9_14 Depth=1
	v_readlane_b32 s6, v188, 0
	s_mul_i32 s6, s12, s6
	s_add_i32 s6, s5, s6
	s_ashr_i32 s7, s6, 31
	s_lshl_b64 s[6:7], s[6:7], 2
	s_add_u32 s6, s46, s6
	s_addc_u32 s7, s47, s7
	global_load_dword v1, v157, s[6:7]
	s_waitcnt vmcnt(0)
	v_readfirstlane_b32 s6, v1
	s_ashr_i32 s7, s6, 31
	s_lshr_b32 s7, s7, 26
	s_add_i32 s6, s6, s7
	s_ashr_i32 s6, s6, 6
	s_min_i32 s56, s56, s6
.LBB9_16:                               ;   in Loop: Header=BB9_14 Depth=1
	v_readlane_b32 s10, v188, 4
	v_readlane_b32 s11, v188, 5
	s_mul_i32 s6, s13, s33
	s_lshl_b32 s88, s4, 1
	s_mul_i32 s4, s12, s11
	s_add_i32 s16, s88, s6
	s_ashr_i32 s6, s4, 31
	s_add_u32 s4, s36, s4
	s_mul_i32 s7, s16, s10
	s_addc_u32 s6, s37, s6
	s_ashr_i32 s10, s7, 31
	s_add_u32 s26, s4, s7
	s_addc_u32 s4, s6, s10
	s_ashr_i32 s14, s12, 31
	s_mul_i32 s6, s12, s25
	s_mul_hi_u32 s7, s12, s24
	s_add_i32 s6, s7, s6
	s_mul_i32 s7, s14, s24
	s_add_i32 s57, s6, s7
	v_readlane_b32 s6, v188, 6
	s_mul_i32 s63, s12, s24
	v_readlane_b32 s7, v188, 7
	s_add_u32 s10, s38, s63
	s_mul_i32 s7, s13, s7
	s_addc_u32 s11, s39, s57
	s_ashr_i32 s6, s7, 31
	s_add_u32 s69, s10, s7
	s_addc_u32 s68, s11, s6
	s_abs_i32 s10, s12
	v_mul_hi_u32 v1, s10, v98
	v_mul_lo_u32 v1, v1, s95
	v_sub_u32_e32 v1, s10, v1
	s_mul_i32 s17, s20, s21
	v_subrev_u32_e32 v2, s95, v1
	v_cmp_le_u32_e32 vcc, s95, v1
	s_mul_i32 s17, s17, s12
	v_cndmask_b32_e32 v1, v1, v2, vcc
	s_add_i32 s17, s16, s17
	v_subrev_u32_e32 v2, s95, v1
	v_cmp_le_u32_e32 vcc, s95, v1
	s_mul_i32 s64, s17, 40
	v_cndmask_b32_e32 v1, v1, v2, vcc
	s_lshl_b64 s[66:67], s[64:65], 3
	v_xor_b32_e32 v1, s14, v1
	s_add_u32 s89, s48, s66
	s_mul_i32 s17, s12, s35
	s_mul_hi_u32 s60, s12, s34
	v_subrev_u32_e32 v1, s14, v1
	s_addc_u32 s86, s49, s67
	s_add_i32 s17, s60, s17
	s_mul_i32 s14, s14, s34
	s_add_i32 s64, s17, s14
	s_mul_i32 s60, s12, s34
	s_add_u32 s12, s40, s60
	s_mul_i32 s70, s13, s27
	s_addc_u32 s14, s41, s64
	s_ashr_i32 s71, s70, 31
	s_add_u32 s66, s12, s70
	s_addc_u32 s67, s14, s71
	s_ashr_i32 s17, s16, 31
	s_lshl_b64 s[12:13], s[16:17], 2
	v_ashrrev_i32_e32 v2, 31, v1
	v_mul_lo_u32 v3, v1, s53
	v_mul_hi_u32 v4, v1, s52
	s_add_u32 s14, s44, s12
	v_add_u32_e32 v3, v4, v3
	v_mul_lo_u32 v2, v2, s52
	v_mul_lo_u32 v1, v1, s52
	s_addc_u32 s16, s45, s13
	v_readlane_b32 s12, v188, 10
	v_add_u32_e32 v13, v3, v2
	v_mov_b32_e32 v2, s43
	v_add_co_u32_e64 v48, s[10:11], s42, v1
	v_readlane_b32 s13, v188, 11
	v_addc_co_u32_e64 v43, vcc, v2, v13, s[10:11]
	s_and_b64 s[12:13], s[12:13], exec
	v_or_b32_e32 v19, s88, v156
	s_cselect_b32 s77, 0, s16
	s_cselect_b32 s76, 0, s14
	s_cmp_lg_u32 s15, 0
	v_cmp_gt_i32_e32 vcc, s33, v19
	s_cbranch_scc0 .LBB9_37
; %bb.17:                               ;   in Loop: Header=BB9_14 Depth=1
	s_lshl_b32 s14, s5, 4
	v_add_u32_e32 v1, s14, v108
	v_cmp_le_i32_e64 s[12:13], s20, v1
	s_xor_b64 s[16:17], vcc, -1
	s_or_b64 s[12:13], s[12:13], s[16:17]
	s_and_saveexec_b64 s[78:79], s[12:13]
	s_xor_b64 s[12:13], exec, s[78:79]
	s_cbranch_execz .LBB9_19
; %bb.18:                               ;   in Loop: Header=BB9_14 Depth=1
	ds_write_b32 v111, v157
                                        ; implicit-def: $vgpr1
.LBB9_19:                               ;   in Loop: Header=BB9_14 Depth=1
	s_andn2_saveexec_b64 s[12:13], s[12:13]
	s_cbranch_execz .LBB9_21
; %bb.20:                               ;   in Loop: Header=BB9_14 Depth=1
	v_mad_u64_u32 v[2:3], s[78:79], v1, s59, v[42:43]
	v_ashrrev_i32_e32 v3, 31, v2
	v_lshlrev_b64 v[2:3], 3, v[2:3]
	v_mov_b32_e32 v1, s4
	v_add_co_u32_e32 v2, vcc, s26, v2
	v_addc_co_u32_e32 v3, vcc, v1, v3, vcc
	global_load_dwordx2 v[2:3], v[2:3], off
	s_waitcnt vmcnt(0)
	v_cvt_f16_f32_e32 v1, v2
	v_cvt_f16_f32_e32 v2, v3
	v_pack_b32_f16 v1, v1, v2
	v_pk_mul_f16 v1, v25, v1
	ds_write_b32 v111, v1
.LBB9_21:                               ;   in Loop: Header=BB9_14 Depth=1
	s_or_b64 exec, exec, s[12:13]
	v_add_u32_e32 v1, s14, v166
	v_cmp_le_i32_e32 vcc, s20, v1
	s_or_b64 s[12:13], vcc, s[16:17]
	s_and_saveexec_b64 s[78:79], s[12:13]
	s_xor_b64 s[12:13], exec, s[78:79]
	s_cbranch_execz .LBB9_23
; %bb.22:                               ;   in Loop: Header=BB9_14 Depth=1
	ds_write_b32 v111, v157 offset:1408
                                        ; implicit-def: $vgpr1
.LBB9_23:                               ;   in Loop: Header=BB9_14 Depth=1
	s_andn2_saveexec_b64 s[12:13], s[12:13]
	s_cbranch_execz .LBB9_25
; %bb.24:                               ;   in Loop: Header=BB9_14 Depth=1
	v_mad_u64_u32 v[2:3], s[78:79], v1, s59, v[42:43]
	v_ashrrev_i32_e32 v3, 31, v2
	v_lshlrev_b64 v[2:3], 3, v[2:3]
	v_mov_b32_e32 v1, s4
	v_add_co_u32_e32 v2, vcc, s26, v2
	v_addc_co_u32_e32 v3, vcc, v1, v3, vcc
	global_load_dwordx2 v[2:3], v[2:3], off
	s_waitcnt vmcnt(0)
	v_cvt_f16_f32_e32 v1, v2
	v_cvt_f16_f32_e32 v2, v3
	v_pack_b32_f16 v1, v1, v2
	v_pk_mul_f16 v1, v25, v1
	ds_write_b32 v111, v1 offset:1408
.LBB9_25:                               ;   in Loop: Header=BB9_14 Depth=1
	s_or_b64 exec, exec, s[12:13]
	v_add_u32_e32 v1, s14, v112
	v_cmp_le_i32_e32 vcc, s20, v1
	s_or_b64 s[12:13], vcc, s[16:17]
	s_and_saveexec_b64 s[78:79], s[12:13]
	s_xor_b64 s[12:13], exec, s[78:79]
	s_cbranch_execz .LBB9_27
; %bb.26:                               ;   in Loop: Header=BB9_14 Depth=1
	ds_write_b32 v111, v157 offset:2816
                                        ; implicit-def: $vgpr1
.LBB9_27:                               ;   in Loop: Header=BB9_14 Depth=1
	s_andn2_saveexec_b64 s[12:13], s[12:13]
	s_cbranch_execz .LBB9_29
; %bb.28:                               ;   in Loop: Header=BB9_14 Depth=1
	v_mad_u64_u32 v[2:3], s[78:79], v1, s59, v[42:43]
	v_ashrrev_i32_e32 v3, 31, v2
	v_lshlrev_b64 v[2:3], 3, v[2:3]
	v_mov_b32_e32 v1, s4
	v_add_co_u32_e32 v2, vcc, s26, v2
	v_addc_co_u32_e32 v3, vcc, v1, v3, vcc
	global_load_dwordx2 v[2:3], v[2:3], off
	s_waitcnt vmcnt(0)
	v_cvt_f16_f32_e32 v1, v2
	v_cvt_f16_f32_e32 v2, v3
	v_pack_b32_f16 v1, v1, v2
	v_pk_mul_f16 v1, v25, v1
	ds_write_b32 v111, v1 offset:2816
.LBB9_29:                               ;   in Loop: Header=BB9_14 Depth=1
	;; [unrolled: 28-line block ×3, first 2 shown]
	s_or_b64 exec, exec, s[12:13]
	v_add_u32_e32 v1, s14, v99
	v_or_b32_e32 v2, s88, v36
	v_cmp_gt_i32_e32 vcc, s20, v1
	v_cmp_gt_i32_e64 s[12:13], s33, v2
	s_and_b64 s[78:79], vcc, s[12:13]
	v_mov_b32_e32 v2, 0
	s_and_saveexec_b64 s[16:17], s[78:79]
	s_cbranch_execz .LBB9_35
; %bb.34:                               ;   in Loop: Header=BB9_14 Depth=1
	v_mad_u64_u32 v[2:3], s[78:79], v1, s59, v[38:39]
	v_ashrrev_i32_e32 v3, 31, v2
	v_lshlrev_b64 v[2:3], 3, v[2:3]
	v_mov_b32_e32 v1, s4
	v_add_co_u32_e32 v2, vcc, s26, v2
	v_addc_co_u32_e32 v3, vcc, v1, v3, vcc
	global_load_dwordx2 v[2:3], v[2:3], off
	s_waitcnt vmcnt(0)
	v_cvt_f16_f32_e32 v1, v2
	v_cvt_f16_f32_e32 v2, v3
	v_pack_b32_f16 v1, v1, v2
	v_pk_mul_f16 v2, v25, v1
.LBB9_35:                               ;   in Loop: Header=BB9_14 Depth=1
	s_or_b64 exec, exec, s[16:17]
	ds_write_b32 v100, v2 offset:128
	s_waitcnt lgkmcnt(0)
	s_barrier
	ds_read2_b64 v[6:9], v101 offset1:4
	ds_read2_b64 v[2:5], v101 offset0:8 offset1:12
	ds_read_b64 v[50:51], v101 offset:128
	s_add_i32 s80, s56, -1
	v_add_u32_e32 v60, s14, v109
	v_add_u32_e32 v58, s14, v159
	s_cmp_gt_i32 s80, s15
	v_mul_hi_u32 v61, s28, v60
	v_mul_hi_u32 v59, s28, v58
	s_waitcnt lgkmcnt(0)
	s_barrier
	s_cbranch_scc1 .LBB9_38
; %bb.36:                               ;   in Loop: Header=BB9_14 Depth=1
	v_add_u32_e32 v1, v60, v61
	v_lshrrev_b32_e32 v1, s29, v1
	v_mul_lo_u32 v1, v1, s20
	v_sub_u32_e32 v1, v60, v1
	v_mad_i64_i32 v[54:55], s[16:17], v1, s30, 0
	v_add_u32_e32 v1, v58, v59
	v_lshrrev_b32_e32 v1, s29, v1
	v_mul_lo_u32 v1, v1, s20
	v_sub_u32_e32 v1, v58, v1
	v_mad_i64_i32 v[56:57], s[16:17], v1, s30, 0
	s_mov_b64 s[16:17], 0
	s_mov_b32 s78, 0xfeffffff
	s_mov_b32 s81, 0
	;; [unrolled: 1-line block ×3, first 2 shown]
	s_branch .LBB9_39
.LBB9_37:                               ;   in Loop: Header=BB9_14 Depth=1
	s_cbranch_execz .LBB9_13
	s_branch .LBB9_109
.LBB9_38:                               ;   in Loop: Header=BB9_14 Depth=1
	s_mov_b64 s[16:17], -1
                                        ; implicit-def: $sgpr79
                                        ; implicit-def: $sgpr81
                                        ; implicit-def: $sgpr78
                                        ; implicit-def: $vgpr54_vgpr55
                                        ; implicit-def: $vgpr56_vgpr57
.LBB9_39:                               ;   in Loop: Header=BB9_14 Depth=1
	s_andn2_b64 vcc, exec, s[16:17]
	v_mov_b32_e32 v78, s79
	v_mov_b32_e32 v11, s81
	;; [unrolled: 1-line block ×12, first 2 shown]
	s_cbranch_vccnz .LBB9_47
; %bb.40:                               ;   in Loop: Header=BB9_14 Depth=1
	v_lshlrev_b32_e32 v1, 1, v26
	v_add_co_u32_e32 v49, vcc, v48, v1
	v_add_u32_e32 v1, v60, v61
	v_lshrrev_b32_e32 v1, s29, v1
	v_mul_lo_u32 v1, v1, s20
	v_sub_u32_e32 v1, v60, v1
	v_mad_i64_i32 v[54:55], s[16:17], v1, s30, 0
	v_add_u32_e32 v1, v58, v59
	v_lshrrev_b32_e32 v1, s29, v1
	v_mul_lo_u32 v1, v1, s20
	v_sub_u32_e32 v1, v58, v1
	v_mad_i64_i32 v[56:57], s[16:17], v1, s30, 0
	v_and_b32_e32 v1, 64, v167
	v_addc_co_u32_e32 v69, vcc, 0, v43, vcc
	v_add_u32_e32 v1, 64, v1
	v_xor_b32_e32 v11, 32, v167
	v_cmp_lt_i32_e32 vcc, v11, v1
	v_cndmask_b32_e32 v11, v167, v11, vcc
	v_lshlrev_b32_e32 v70, 2, v11
	v_xor_b32_e32 v11, 16, v167
	v_cmp_lt_i32_e32 vcc, v11, v1
	v_cndmask_b32_e32 v1, v167, v11, vcc
	v_mov_b32_e32 v66, 0
	v_lshlrev_b32_e32 v72, 2, v1
	s_lshl_b32 s16, s15, 6
	v_mov_b32_e32 v81, 0
	v_mov_b32_e32 v169, 0xfeffffff
	;; [unrolled: 1-line block ×11, first 2 shown]
.LBB9_41:                               ;   Parent Loop BB9_14 Depth=1
                                        ; =>  This Inner Loop Header: Depth=2
	s_ashr_i32 s17, s16, 31
	s_lshl_b64 s[78:79], s[16:17], 1
	v_add_co_u32_e32 v11, vcc, s78, v49
	v_mov_b32_e32 v52, s79
	v_addc_co_u32_e32 v52, vcc, v69, v52, vcc
	v_lshlrev_b64 v[58:59], 1, v[54:55]
	v_add_co_u32_e32 v58, vcc, v11, v58
	v_addc_co_u32_e32 v59, vcc, v52, v59, vcc
	global_load_dword v58, v[58:59], off
	v_add_u32_e32 v60, v110, v158
	s_mul_hi_i32 s79, s16, s22
	s_mul_i32 s78, s16, s22
	s_lshl_b64 s[78:79], s[78:79], 2
	s_add_u32 s81, s69, s78
	s_addc_u32 s17, s68, s79
	s_waitcnt vmcnt(0)
	ds_write_b32 v60, v58 offset:11264
	v_lshlrev_b64 v[58:59], 1, v[56:57]
	v_add_co_u32_e32 v58, vcc, v11, v58
	v_addc_co_u32_e32 v59, vcc, v52, v59, vcc
	global_load_dword v11, v[58:59], off
	s_waitcnt vmcnt(0)
	ds_write_b32 v60, v11 offset:12416
	s_and_saveexec_b64 s[78:79], s[0:1]
	s_cbranch_execz .LBB9_43
; %bb.42:                               ;   in Loop: Header=BB9_41 Depth=2
	v_mov_b32_e32 v11, s17
	v_add_co_u32_e32 v52, vcc, s81, v20
	v_addc_co_u32_e32 v11, vcc, v11, v21, vcc
	v_lshlrev_b32_e32 v58, 2, v10
	v_add_co_u32_e32 v58, vcc, v52, v58
	v_addc_co_u32_e32 v59, vcc, 0, v11, vcc
	global_load_dwordx4 v[58:61], v[58:59], off offset:128
	s_waitcnt vmcnt(0)
	ds_write_b128 v39, v[58:61]
.LBB9_43:                               ;   in Loop: Header=BB9_41 Depth=2
	s_or_b64 exec, exec, s[78:79]
	v_add_co_u32_e32 v11, vcc, s81, v32
	v_mov_b32_e32 v52, s17
	v_addc_co_u32_e32 v52, vcc, v52, v33, vcc
	v_lshlrev_b32_e32 v80, 2, v12
	v_add_co_u32_e32 v58, vcc, v11, v80
	v_addc_co_u32_e32 v59, vcc, 0, v52, vcc
	global_load_dwordx4 v[58:61], v[58:59], off
	v_add_co_u32_e32 v11, vcc, s81, v34
	v_mov_b32_e32 v52, s17
	v_addc_co_u32_e32 v52, vcc, v52, v35, vcc
	s_mul_hi_i32 s79, s16, s18
	s_mul_i32 s78, s16, s18
	s_lshl_b64 s[78:79], s[78:79], 2
	s_add_u32 s81, s66, s78
	s_addc_u32 s17, s67, s79
	s_waitcnt vmcnt(0)
	ds_write_b128 v96, v[58:61]
	v_add_co_u32_e32 v58, vcc, v11, v80
	v_addc_co_u32_e32 v59, vcc, 0, v52, vcc
	global_load_dwordx4 v[58:61], v[58:59], off
	v_add_u32_e32 v11, v37, v102
	v_add_u32_e32 v52, 0x1000, v11
	s_waitcnt vmcnt(0)
	ds_write_b128 v165, v[58:61]
	s_waitcnt lgkmcnt(0)
	s_barrier
	ds_read2_b64 v[58:61], v11 offset1:4
	s_waitcnt lgkmcnt(0)
	v_mfma_f32_16x16x16f16 v[62:65], v[58:59], v[6:7], 0
	v_mfma_f32_16x16x16f16 v[58:61], v[60:61], v[8:9], v[62:65]
	s_nop 7
	s_nop 1
	ds_read2_b64 v[62:65], v11 offset0:8 offset1:12
	s_waitcnt lgkmcnt(0)
	v_mfma_f32_16x16x16f16 v[58:61], v[62:63], v[2:3], v[58:61]
	ds_read_b64 v[62:63], v11 offset:128
	v_mfma_f32_16x16x16f16 v[58:61], v[64:65], v[4:5], v[58:61]
	s_waitcnt lgkmcnt(0)
	v_mfma_f32_16x16x16f16 v[58:61], v[62:63], v[50:51], v[58:61]
	ds_read2_b64 v[62:65], v52 offset0:192 offset1:196
	s_waitcnt lgkmcnt(0)
	v_mfma_f32_16x16x16f16 v[170:173], v[62:63], v[6:7], 0
	v_mfma_f32_16x16x16f16 v[62:65], v[64:65], v[8:9], v[170:173]
	s_nop 7
	s_nop 1
	ds_read2_b64 v[170:173], v52 offset0:200 offset1:204
	s_waitcnt lgkmcnt(0)
	v_mfma_f32_16x16x16f16 v[62:65], v[170:171], v[2:3], v[62:65]
	ds_read_b64 v[170:171], v11 offset:5760
	v_add_u32_e32 v11, 0x2c00, v41
	s_waitcnt lgkmcnt(0)
	s_barrier
	v_mfma_f32_16x16x16f16 v[62:65], v[172:173], v[4:5], v[62:65]
	v_mfma_f32_16x16x16f16 v[170:173], v[170:171], v[50:51], v[62:65]
	s_nop 7
	s_nop 1
	ds_read2_b32 v[62:63], v11 offset1:1
	ds_read_b32 v11, v103 offset:11264
	ds_read_b32 v52, v104 offset:11264
	s_waitcnt lgkmcnt(2)
	v_cvt_f32_f16_e32 v64, v63
	v_cvt_f32_f16_sdwa v65, v63 dst_sel:DWORD dst_unused:UNUSED_PAD src0_sel:WORD_1
	v_pk_add_f32 v[60:61], v[60:61], v[64:65]
	v_cvt_f32_f16_e32 v64, v62
	v_cvt_f32_f16_sdwa v65, v62 dst_sel:DWORD dst_unused:UNUSED_PAD src0_sel:WORD_1
	v_add_f32_e32 v63, 0x40051340, v60
	v_add_f32_e32 v174, 0x40051340, v61
	s_waitcnt lgkmcnt(1)
	v_cvt_f32_f16_e32 v62, v11
	v_pk_add_f32 v[64:65], v[58:59], v[64:65]
	v_add_f32_e32 v58, 0x40051340, v64
	v_add_f32_e32 v59, 0x40051340, v65
	v_max3_f32 v58, v169, v58, v59
	v_max3_f32 v174, v58, v63, v174
	v_cvt_f32_f16_sdwa v63, v11 dst_sel:DWORD dst_unused:UNUSED_PAD src0_sel:WORD_1
	s_waitcnt lgkmcnt(0)
	v_cvt_f32_f16_sdwa v59, v52 dst_sel:DWORD dst_unused:UNUSED_PAD src0_sel:WORD_1
	v_cvt_f32_f16_e32 v58, v52
	v_pk_add_f32 v[62:63], v[170:171], v[62:63]
	v_add_f32_e32 v11, 0x40051340, v62
	v_pk_add_f32 v[58:59], v[172:173], v[58:59]
	v_add_f32_e32 v170, 0x40051340, v63
	v_add_f32_e32 v52, 0x40051340, v58
	;; [unrolled: 1-line block ×3, first 2 shown]
	v_max3_f32 v11, v174, v11, v170
	v_max3_f32 v11, v11, v52, v172
	ds_bpermute_b32 v52, v70, v11
	s_waitcnt lgkmcnt(0)
	v_max_f32_e32 v52, v52, v52
	v_max_f32_e32 v11, v11, v52
	ds_bpermute_b32 v52, v72, v11
	s_and_saveexec_b64 s[78:79], s[0:1]
	s_cbranch_execz .LBB9_45
; %bb.44:                               ;   in Loop: Header=BB9_41 Depth=2
	v_mov_b32_e32 v170, s17
	v_add_co_u32_e32 v171, vcc, s81, v16
	v_addc_co_u32_e32 v172, vcc, v170, v17, vcc
	v_lshlrev_b32_e32 v170, 2, v10
	v_add_co_u32_e32 v170, vcc, v171, v170
	v_addc_co_u32_e32 v171, vcc, 0, v172, vcc
	global_load_dwordx4 v[170:173], v[170:171], off offset:128
	s_waitcnt vmcnt(0)
	ds_write_b128 v39, v[170:173]
.LBB9_45:                               ;   in Loop: Header=BB9_41 Depth=2
	s_or_b64 exec, exec, s[78:79]
	s_waitcnt lgkmcnt(0)
	v_max_f32_e32 v52, v52, v52
	v_max_f32_e32 v11, v11, v11
	;; [unrolled: 1-line block ×3, first 2 shown]
	v_pk_add_f32 v[64:65], v[64:65], v[52:53] op_sel_hi:[1,0] neg_lo:[0,1] neg_hi:[0,1]
	v_mul_f32_e32 v11, 0x3fb8aa3b, v65
	v_fma_f32 v170, v65, s31, -v11
	v_rndne_f32_e32 v171, v11
	v_fmac_f32_e32 v170, 0x32a5705f, v65
	v_sub_f32_e32 v11, v11, v171
	v_add_f32_e32 v11, v11, v170
	v_exp_f32_e32 v11, v11
	v_cvt_i32_f32_e32 v170, v171
	v_cmp_ngt_f32_e32 vcc, s55, v65
	v_pk_add_f32 v[60:61], v[60:61], v[52:53] op_sel_hi:[1,0] neg_lo:[0,1] neg_hi:[0,1]
	v_pk_add_f32 v[58:59], v[58:59], v[52:53] op_sel_hi:[1,0] neg_lo:[0,1] neg_hi:[0,1]
	v_ldexp_f32 v11, v11, v170
	v_cndmask_b32_e32 v11, 0, v11, vcc
	v_cmp_nlt_f32_e32 vcc, s87, v65
	v_cndmask_b32_e32 v170, v168, v11, vcc
	v_mul_f32_e32 v11, 0x3fb8aa3b, v64
	v_fma_f32 v65, v64, s31, -v11
	v_rndne_f32_e32 v171, v11
	v_fmac_f32_e32 v65, 0x32a5705f, v64
	v_sub_f32_e32 v11, v11, v171
	v_add_f32_e32 v11, v11, v65
	v_exp_f32_e32 v11, v11
	v_cvt_i32_f32_e32 v65, v171
	v_cmp_ngt_f32_e32 vcc, s55, v64
	s_add_i32 s15, s15, 1
	s_add_i32 s16, s16, 64
	v_ldexp_f32 v11, v11, v65
	v_cndmask_b32_e32 v11, 0, v11, vcc
	v_cmp_nlt_f32_e32 vcc, s87, v64
	v_cndmask_b32_e32 v171, v168, v11, vcc
	v_mul_f32_e32 v11, 0x3fb8aa3b, v61
	v_fma_f32 v64, v61, s31, -v11
	v_rndne_f32_e32 v65, v11
	v_fmac_f32_e32 v64, 0x32a5705f, v61
	v_sub_f32_e32 v11, v11, v65
	v_add_f32_e32 v11, v11, v64
	v_exp_f32_e32 v11, v11
	v_cvt_i32_f32_e32 v64, v65
	v_cmp_ngt_f32_e32 vcc, s55, v61
	s_cmp_lt_i32 s15, s80
	v_ldexp_f32 v11, v11, v64
	v_cndmask_b32_e32 v11, 0, v11, vcc
	v_cmp_nlt_f32_e32 vcc, s87, v61
	v_cndmask_b32_e32 v172, v168, v11, vcc
	v_mul_f32_e32 v11, 0x3fb8aa3b, v60
	v_fma_f32 v61, v60, s31, -v11
	v_rndne_f32_e32 v64, v11
	v_fmac_f32_e32 v61, 0x32a5705f, v60
	v_sub_f32_e32 v11, v11, v64
	v_add_f32_e32 v11, v11, v61
	v_exp_f32_e32 v11, v11
	v_cvt_i32_f32_e32 v61, v64
	v_cmp_ngt_f32_e32 vcc, s55, v60
	v_ldexp_f32 v11, v11, v61
	v_cndmask_b32_e32 v11, 0, v11, vcc
	v_cmp_nlt_f32_e32 vcc, s87, v60
	v_pk_add_f32 v[60:61], v[62:63], v[52:53] op_sel_hi:[1,0] neg_lo:[0,1] neg_hi:[0,1]
	v_cndmask_b32_e32 v173, v168, v11, vcc
	v_mul_f32_e32 v11, 0x3fb8aa3b, v61
	v_fma_f32 v62, v61, s31, -v11
	v_rndne_f32_e32 v63, v11
	v_fmac_f32_e32 v62, 0x32a5705f, v61
	v_sub_f32_e32 v11, v11, v63
	v_add_f32_e32 v11, v11, v62
	v_exp_f32_e32 v11, v11
	v_cvt_i32_f32_e32 v62, v63
	v_cmp_ngt_f32_e32 vcc, s55, v61
	v_ldexp_f32 v11, v11, v62
	v_cndmask_b32_e32 v11, 0, v11, vcc
	v_cmp_nlt_f32_e32 vcc, s87, v61
	v_cndmask_b32_e32 v61, v168, v11, vcc
	v_mul_f32_e32 v11, 0x3fb8aa3b, v60
	v_fma_f32 v62, v60, s31, -v11
	v_rndne_f32_e32 v63, v11
	v_fmac_f32_e32 v62, 0x32a5705f, v60
	v_sub_f32_e32 v11, v11, v63
	v_add_f32_e32 v11, v11, v62
	v_exp_f32_e32 v11, v11
	v_cvt_i32_f32_e32 v62, v63
	v_cmp_ngt_f32_e32 vcc, s55, v60
	v_ldexp_f32 v11, v11, v62
	v_cndmask_b32_e32 v11, 0, v11, vcc
	v_cmp_nlt_f32_e32 vcc, s87, v60
	;; [unrolled: 13-line block ×4, first 2 shown]
	v_sub_f32_e32 v58, v169, v52
	v_mul_f32_e32 v62, 0x3fb8aa3b, v58
	v_fma_f32 v63, v58, s31, -v62
	v_rndne_f32_e32 v64, v62
	v_fmac_f32_e32 v63, 0x32a5705f, v58
	v_sub_f32_e32 v62, v62, v64
	v_add_f32_e32 v62, v62, v63
	v_exp_f32_e32 v62, v62
	v_cvt_i32_f32_e32 v63, v64
	v_cndmask_b32_e32 v174, v168, v11, vcc
	v_add_f32_e32 v11, v171, v170
	v_add_f32_e32 v11, v173, v11
	;; [unrolled: 1-line block ×4, first 2 shown]
	v_ldexp_f32 v62, v62, v63
	v_cmp_ngt_f32_e32 vcc, s55, v58
	v_add_f32_e32 v11, v61, v11
	v_cndmask_b32_e32 v62, 0, v62, vcc
	v_cmp_nlt_f32_e32 vcc, s87, v58
	v_add_f32_e32 v11, v174, v11
	v_cndmask_b32_e32 v62, v168, v62, vcc
	v_cmp_le_f32_e32 vcc, s8, v58
	v_add_f32_e32 v11, v59, v11
	v_cndmask_b32_e32 v58, 0, v62, vcc
	v_fmac_f32_e32 v11, v81, v58
	v_cvt_f16_f32_e32 v58, v58
	v_cvt_f16_f32_e32 v60, v60
	;; [unrolled: 1-line block ×3, first 2 shown]
	v_pk_mul_f16 v53, v58, v53 op_sel_hi:[0,1]
	v_pk_mul_f16 v1, v58, v1 op_sel_hi:[0,1]
	;; [unrolled: 1-line block ×10, first 2 shown]
	v_cvt_f16_f32_e32 v58, v61
	v_cvt_f16_f32_e32 v61, v171
	;; [unrolled: 1-line block ×3, first 2 shown]
	v_mov_b32_e32 v76, s17
	v_pack_b32_f16 v58, v60, v58
	v_cvt_f16_f32_e32 v60, v174
	v_pack_b32_f16 v59, v60, v59
	v_cvt_f16_f32_e32 v60, v170
	;; [unrolled: 2-line block ×3, first 2 shown]
	v_pack_b32_f16 v61, v68, v61
	v_add_co_u32_e32 v68, vcc, s81, v28
	v_addc_co_u32_e32 v77, vcc, v76, v29, vcc
	v_add_co_u32_e32 v76, vcc, v68, v80
	v_addc_co_u32_e32 v77, vcc, 0, v77, vcc
	global_load_dwordx4 v[76:79], v[76:77], off
	v_add_co_u32_e32 v68, vcc, s81, v30
	s_waitcnt vmcnt(0)
	ds_write_b128 v96, v[76:79]
	v_mov_b32_e32 v76, s17
	v_addc_co_u32_e32 v77, vcc, v76, v31, vcc
	v_add_co_u32_e32 v76, vcc, v68, v80
	v_addc_co_u32_e32 v77, vcc, 0, v77, vcc
	global_load_dwordx4 v[76:79], v[76:77], off
	s_waitcnt vmcnt(0)
	ds_write_b128 v165, v[76:79]
	s_waitcnt lgkmcnt(0)
	s_barrier
	ds_read_u16 v68, v82 offset:176
	ds_read_u16 v80, v82 offset:352
	v_cvt_f32_f16_e32 v78, v1
	v_cvt_f32_f16_sdwa v79, v1 dst_sel:DWORD dst_unused:UNUSED_PAD src0_sel:WORD_1
	ds_read_u16 v1, v83
	ds_read_u16 v169, v83 offset:32
	v_cvt_f32_f16_e32 v76, v53
	v_cvt_f32_f16_sdwa v77, v53 dst_sel:DWORD dst_unused:UNUSED_PAD src0_sel:WORD_1
	s_waitcnt lgkmcnt(1)
	v_perm_b32 v171, v1, v80, s9
	ds_read_u16 v1, v73
	ds_read_u16 v80, v73 offset:32
	s_waitcnt lgkmcnt(1)
	v_perm_b32 v170, v68, v1, s9
	s_nop 1
	v_mfma_f32_16x16x16f16 v[76:79], v[170:171], v[60:61], v[76:79]
	ds_read_u16 v170, v73 offset:5632
	ds_read_u16 v172, v160 offset:176
	;; [unrolled: 1-line block ×4, first 2 shown]
	s_waitcnt lgkmcnt(2)
	v_perm_b32 v170, v172, v170, s9
	s_waitcnt lgkmcnt(0)
	v_perm_b32 v171, v173, v171, s9
	s_nop 2
	v_cvt_f16_f32_e32 v1, v76
	v_cvt_f16_f32_e32 v53, v77
	;; [unrolled: 1-line block ×4, first 2 shown]
	v_cvt_f32_f16_e32 v76, v1
	v_cvt_f32_f16_e32 v77, v53
	;; [unrolled: 1-line block ×4, first 2 shown]
	s_nop 1
	v_mfma_f32_16x16x16f16 v[76:79], v[170:171], v[58:59], v[76:79]
	s_nop 7
	s_nop 2
	v_cvt_f16_f32_e32 v1, v76
	v_cvt_f16_f32_e32 v53, v77
	;; [unrolled: 1-line block ×4, first 2 shown]
	v_cvt_f32_f16_sdwa v77, v81 dst_sel:DWORD dst_unused:UNUSED_PAD src0_sel:WORD_1
	v_pack_b32_f16 v53, v1, v53
	v_cvt_f32_f16_e32 v78, v66
	v_pack_b32_f16 v1, v68, v76
	ds_read_u16 v68, v161 offset:176
	ds_read_u16 v170, v161 offset:352
	v_cvt_f32_f16_e32 v76, v81
	v_cvt_f32_f16_sdwa v79, v66 dst_sel:DWORD dst_unused:UNUSED_PAD src0_sel:WORD_1
	s_waitcnt lgkmcnt(1)
	v_perm_b32 v80, v68, v80, s9
	s_waitcnt lgkmcnt(0)
	v_perm_b32 v81, v169, v170, s9
	s_nop 1
	v_mfma_f32_16x16x16f16 v[76:79], v[80:81], v[60:61], v[76:79]
	ds_read_u16 v80, v84 offset:5632
	ds_read_u16 v169, v85 offset:176
	;; [unrolled: 1-line block ×4, first 2 shown]
	s_waitcnt lgkmcnt(2)
	v_perm_b32 v80, v169, v80, s9
	s_waitcnt lgkmcnt(0)
	v_perm_b32 v81, v170, v81, s9
	s_nop 2
	v_cvt_f16_f32_e32 v66, v76
	v_cvt_f16_f32_e32 v68, v77
	;; [unrolled: 1-line block ×4, first 2 shown]
	v_cvt_f32_f16_e32 v76, v66
	v_cvt_f32_f16_e32 v77, v68
	;; [unrolled: 1-line block ×4, first 2 shown]
	s_nop 1
	v_mfma_f32_16x16x16f16 v[76:79], v[80:81], v[58:59], v[76:79]
	ds_read_u16 v80, v73 offset:64
	ds_read_u16 v81, v162 offset:176
	;; [unrolled: 1-line block ×4, first 2 shown]
	s_nop 6
	v_cvt_f16_f32_e32 v66, v76
	v_cvt_f16_f32_e32 v68, v77
	;; [unrolled: 1-line block ×4, first 2 shown]
	v_cvt_f32_f16_e32 v78, v74
	v_pack_b32_f16 v66, v66, v68
	v_cvt_f32_f16_sdwa v79, v74 dst_sel:DWORD dst_unused:UNUSED_PAD src0_sel:WORD_1
	v_pack_b32_f16 v68, v76, v77
	v_cvt_f32_f16_e32 v76, v75
	v_cvt_f32_f16_sdwa v77, v75 dst_sel:DWORD dst_unused:UNUSED_PAD src0_sel:WORD_1
	s_waitcnt lgkmcnt(0)
	v_perm_b32 v75, v170, v169, s9
	v_perm_b32 v74, v81, v80, s9
	s_nop 1
	v_mfma_f32_16x16x16f16 v[74:77], v[74:75], v[60:61], v[76:79]
	s_nop 6
	ds_read_u16 v78, v87 offset:5632
	ds_read_u16 v80, v88 offset:176
	;; [unrolled: 1-line block ×4, first 2 shown]
	s_waitcnt lgkmcnt(2)
	v_perm_b32 v78, v80, v78, s9
	s_waitcnt lgkmcnt(0)
	v_perm_b32 v79, v81, v79, s9
	ds_read_u16 v80, v73 offset:96
	ds_read_u16 v81, v163 offset:176
	;; [unrolled: 1-line block ×4, first 2 shown]
	v_cvt_f16_f32_e32 v74, v74
	v_cvt_f16_f32_e32 v75, v75
	;; [unrolled: 1-line block ×4, first 2 shown]
	v_cvt_f32_f16_e32 v74, v74
	v_cvt_f32_f16_e32 v75, v75
	;; [unrolled: 1-line block ×4, first 2 shown]
	s_nop 1
	v_mfma_f32_16x16x16f16 v[74:77], v[78:79], v[58:59], v[74:77]
	v_cvt_f32_f16_e32 v78, v64
	v_cvt_f32_f16_sdwa v79, v64 dst_sel:DWORD dst_unused:UNUSED_PAD src0_sel:WORD_1
	s_waitcnt lgkmcnt(2)
	v_perm_b32 v64, v81, v80, s9
	s_nop 6
	v_cvt_f16_f32_e32 v74, v74
	v_cvt_f16_f32_e32 v75, v75
	;; [unrolled: 1-line block ×4, first 2 shown]
	v_pack_b32_f16 v75, v74, v75
	v_pack_b32_f16 v74, v76, v77
	v_cvt_f32_f16_e32 v76, v65
	v_cvt_f32_f16_sdwa v77, v65 dst_sel:DWORD dst_unused:UNUSED_PAD src0_sel:WORD_1
	s_waitcnt lgkmcnt(0)
	v_perm_b32 v65, v170, v169, s9
	ds_read_u16 v80, v90 offset:5632
	ds_read_u16 v81, v91 offset:176
	;; [unrolled: 1-line block ×4, first 2 shown]
	v_mfma_f32_16x16x16f16 v[76:79], v[64:65], v[60:61], v[76:79]
	s_nop 7
	s_nop 2
	v_cvt_f16_f32_e32 v64, v76
	v_cvt_f16_f32_e32 v65, v77
	;; [unrolled: 1-line block ×4, first 2 shown]
	v_cvt_f32_f16_e32 v76, v64
	v_cvt_f32_f16_e32 v77, v65
	s_waitcnt lgkmcnt(0)
	v_perm_b32 v65, v170, v169, s9
	v_perm_b32 v64, v81, v80, s9
	v_cvt_f32_f16_e32 v78, v78
	v_cvt_f32_f16_e32 v79, v79
	;; [unrolled: 1-line block ×3, first 2 shown]
	v_cvt_f32_f16_sdwa v81, v62 dst_sel:DWORD dst_unused:UNUSED_PAD src0_sel:WORD_1
	v_mfma_f32_16x16x16f16 v[76:79], v[64:65], v[58:59], v[76:79]
	s_nop 7
	s_nop 2
	v_cvt_f16_f32_e32 v64, v76
	v_cvt_f16_f32_e32 v65, v77
	;; [unrolled: 1-line block ×4, first 2 shown]
	v_cvt_f32_f16_sdwa v79, v63 dst_sel:DWORD dst_unused:UNUSED_PAD src0_sel:WORD_1
	v_pack_b32_f16 v77, v64, v65
	ds_read_u16 v64, v73 offset:128
	ds_read_u16 v65, v164 offset:176
	;; [unrolled: 1-line block ×4, first 2 shown]
	v_pack_b32_f16 v76, v76, v78
	v_cvt_f32_f16_e32 v78, v63
	s_waitcnt lgkmcnt(2)
	v_perm_b32 v62, v65, v64, s9
	s_waitcnt lgkmcnt(0)
	v_perm_b32 v63, v170, v169, s9
	s_nop 1
	v_mfma_f32_16x16x16f16 v[60:63], v[62:63], v[60:61], v[78:81]
	ds_read_u16 v64, v93 offset:5632
	s_nop 5
	ds_read_u16 v78, v94 offset:176
	ds_read_u16 v65, v94 offset:352
	;; [unrolled: 1-line block ×3, first 2 shown]
	s_waitcnt lgkmcnt(0)
	s_barrier
	v_perm_b32 v64, v78, v64, s9
	v_perm_b32 v65, v79, v65, s9
	v_cvt_f16_f32_e32 v60, v60
	v_cvt_f16_f32_e32 v61, v61
	;; [unrolled: 1-line block ×4, first 2 shown]
	v_cvt_f32_f16_e32 v60, v60
	v_cvt_f32_f16_e32 v61, v61
	;; [unrolled: 1-line block ×4, first 2 shown]
	s_nop 1
	v_mfma_f32_16x16x16f16 v[58:61], v[64:65], v[58:59], v[60:63]
	s_nop 7
	s_nop 2
	v_cvt_f16_f32_e32 v58, v58
	v_cvt_f16_f32_e32 v59, v59
	;; [unrolled: 1-line block ×4, first 2 shown]
	v_pack_b32_f16 v79, v58, v59
	v_pack_b32_f16 v78, v60, v61
	s_cbranch_scc0 .LBB9_47
; %bb.46:                               ;   in Loop: Header=BB9_41 Depth=2
	v_mov_b32_e32 v81, v11
	v_mov_b32_e32 v169, v52
	s_branch .LBB9_41
.LBB9_47:                               ;   in Loop: Header=BB9_14 Depth=1
	s_lshl_b32 s16, s15, 6
	s_ashr_i32 s17, s16, 31
	s_lshl_b64 s[78:79], s[16:17], 1
	v_mov_b32_e32 v49, s79
	v_add_co_u32_e32 v58, vcc, s78, v48
	v_addc_co_u32_e32 v49, vcc, v43, v49, vcc
	v_lshlrev_b32_e32 v59, 1, v26
	v_add_co_u32_e32 v58, vcc, v58, v59
	v_addc_co_u32_e32 v49, vcc, 0, v49, vcc
	v_lshlrev_b64 v[54:55], 1, v[54:55]
	v_add_co_u32_e32 v54, vcc, v58, v54
	v_addc_co_u32_e32 v55, vcc, v49, v55, vcc
	v_lshlrev_b64 v[56:57], 1, v[56:57]
	v_add_co_u32_e32 v56, vcc, v58, v56
	v_addc_co_u32_e32 v57, vcc, v49, v57, vcc
	global_load_dword v49, v[54:55], off
	s_nop 0
	global_load_dword v54, v[56:57], off
	s_mul_hi_i32 s79, s22, s16
	s_mul_i32 s78, s22, s16
	s_lshl_b64 s[78:79], s[78:79], 2
	s_add_u32 s17, s69, s78
	v_add_u32_e32 v55, v110, v158
	s_addc_u32 s15, s68, s79
	s_waitcnt vmcnt(1)
	ds_write_b32 v55, v49 offset:11264
	s_waitcnt vmcnt(0)
	ds_write_b32 v55, v54 offset:12416
	s_and_saveexec_b64 s[78:79], s[0:1]
	s_cbranch_execz .LBB9_49
; %bb.48:                               ;   in Loop: Header=BB9_14 Depth=1
	v_mov_b32_e32 v49, s15
	v_add_co_u32_e32 v54, vcc, s17, v20
	v_addc_co_u32_e32 v49, vcc, v49, v21, vcc
	v_lshlrev_b32_e32 v55, 2, v10
	v_add_co_u32_e32 v54, vcc, v54, v55
	v_addc_co_u32_e32 v55, vcc, 0, v49, vcc
	global_load_dwordx4 v[54:57], v[54:55], off offset:128
	s_waitcnt vmcnt(0)
	ds_write_b128 v97, v[54:57]
.LBB9_49:                               ;   in Loop: Header=BB9_14 Depth=1
	s_or_b64 exec, exec, s[78:79]
	v_add_co_u32_e32 v49, vcc, s17, v32
	v_mov_b32_e32 v54, s15
	v_addc_co_u32_e32 v55, vcc, v54, v33, vcc
	v_lshlrev_b32_e32 v57, 2, v12
	v_add_co_u32_e32 v54, vcc, v49, v57
	v_addc_co_u32_e32 v55, vcc, 0, v55, vcc
	global_load_dwordx4 v[58:61], v[54:55], off
	v_add_co_u32_e32 v49, vcc, s17, v34
	v_mov_b32_e32 v54, s15
	v_addc_co_u32_e32 v55, vcc, v54, v35, vcc
	v_add_co_u32_e32 v54, vcc, v49, v57
	v_addc_co_u32_e32 v55, vcc, 0, v55, vcc
	v_add_u32_e32 v49, v37, v102
	s_mul_hi_i32 s17, s16, s18
	s_mul_i32 s16, s16, s18
	s_lshl_b64 s[16:17], s[16:17], 2
	s_add_u32 s78, s66, s16
	s_addc_u32 s15, s67, s17
	s_waitcnt vmcnt(0)
	ds_write_b128 v96, v[58:61]
	global_load_dwordx4 v[58:61], v[54:55], off
	s_waitcnt vmcnt(0)
	ds_write_b128 v165, v[58:61]
	s_waitcnt lgkmcnt(0)
	s_barrier
	ds_read2_b64 v[58:61], v49 offset1:4
	s_waitcnt lgkmcnt(0)
	v_mfma_f32_16x16x16f16 v[62:65], v[58:59], v[6:7], 0
	ds_read_b64 v[54:55], v49 offset:128
	v_mfma_f32_16x16x16f16 v[58:61], v[60:61], v[8:9], v[62:65]
	s_nop 7
	s_nop 0
	ds_read2_b64 v[62:65], v49 offset0:8 offset1:12
	s_waitcnt lgkmcnt(0)
	v_mfma_f32_16x16x16f16 v[58:61], v[62:63], v[2:3], v[58:61]
	v_mfma_f32_16x16x16f16 v[58:61], v[64:65], v[4:5], v[58:61]
	;; [unrolled: 1-line block ×3, first 2 shown]
	v_add_u32_e32 v54, 0x1000, v49
	ds_read2_b64 v[62:65], v54 offset0:192 offset1:196
	s_waitcnt lgkmcnt(0)
	v_mfma_f32_16x16x16f16 v[170:173], v[62:63], v[6:7], 0
	v_mfma_f32_16x16x16f16 v[6:9], v[64:65], v[8:9], v[170:173]
	ds_read2_b64 v[62:65], v54 offset0:200 offset1:204
	s_waitcnt lgkmcnt(0)
	v_mfma_f32_16x16x16f16 v[6:9], v[62:63], v[2:3], v[6:9]
	v_mfma_f32_16x16x16f16 v[2:5], v[64:65], v[4:5], v[6:9]
	s_nop 7
	s_nop 1
	ds_read_b64 v[6:7], v49 offset:5760
	s_waitcnt lgkmcnt(0)
	v_mfma_f32_16x16x16f16 v[62:65], v[6:7], v[50:51], v[2:5]
	s_nop 6
	v_add_u32_e32 v2, 0x2c00, v41
	v_and_b32_e32 v3, 64, v167
	s_barrier
	ds_read2_b32 v[4:5], v2 offset1:1
	ds_read_b32 v2, v103 offset:11264
	ds_read_b32 v54, v104 offset:11264
	v_add_u32_e32 v6, 64, v3
	v_xor_b32_e32 v3, 32, v167
	v_cmp_lt_i32_e32 vcc, v3, v6
	v_xor_b32_e32 v7, 16, v167
	v_cndmask_b32_e32 v3, v167, v3, vcc
	v_cmp_lt_i32_e32 vcc, v7, v6
	v_cndmask_b32_e32 v6, v167, v7, vcc
	s_waitcnt lgkmcnt(2)
	v_cvt_f32_f16_e32 v8, v4
	v_cvt_f32_f16_sdwa v9, v4 dst_sel:DWORD dst_unused:UNUSED_PAD src0_sel:WORD_1
	v_lshlrev_b32_e32 v49, 2, v6
	v_cvt_f32_f16_e32 v6, v5
	v_cvt_f32_f16_sdwa v7, v5 dst_sel:DWORD dst_unused:UNUSED_PAD src0_sel:WORD_1
	v_pk_add_f32 v[50:51], v[58:59], v[8:9]
	v_add_f32_e32 v4, 0x40051340, v50
	v_add_f32_e32 v8, 0x40051340, v51
	v_pk_add_f32 v[6:7], v[60:61], v[6:7]
	v_add_f32_e32 v5, 0x40051340, v6
	v_add_f32_e32 v55, 0x40051340, v7
	v_max3_f32 v4, v52, v4, v8
	s_waitcnt lgkmcnt(1)
	v_cvt_f32_f16_sdwa v9, v2 dst_sel:DWORD dst_unused:UNUSED_PAD src0_sel:WORD_1
	v_cvt_f32_f16_e32 v8, v2
	v_max3_f32 v55, v4, v5, v55
	s_waitcnt lgkmcnt(0)
	v_cvt_f32_f16_sdwa v5, v54 dst_sel:DWORD dst_unused:UNUSED_PAD src0_sel:WORD_1
	v_cvt_f32_f16_e32 v4, v54
	v_pk_add_f32 v[8:9], v[62:63], v[8:9]
	v_add_f32_e32 v2, 0x40051340, v8
	v_add_f32_e32 v58, 0x40051340, v9
	v_pk_add_f32 v[4:5], v[64:65], v[4:5]
	v_add_f32_e32 v54, 0x40051340, v4
	v_add_f32_e32 v56, 0x40051340, v5
	v_max3_f32 v2, v55, v2, v58
	v_lshlrev_b32_e32 v3, 2, v3
	v_max3_f32 v2, v2, v54, v56
	ds_bpermute_b32 v54, v3, v2
	s_waitcnt lgkmcnt(0)
	v_max_f32_e32 v54, v54, v54
	v_max_f32_e32 v2, v2, v54
	ds_bpermute_b32 v54, v49, v2
	s_and_saveexec_b64 s[16:17], s[0:1]
	s_cbranch_execz .LBB9_51
; %bb.50:                               ;   in Loop: Header=BB9_14 Depth=1
	v_mov_b32_e32 v55, s15
	v_add_co_u32_e32 v56, vcc, s78, v16
	v_addc_co_u32_e32 v55, vcc, v55, v17, vcc
	v_lshlrev_b32_e32 v58, 2, v10
	v_add_co_u32_e32 v58, vcc, v56, v58
	v_addc_co_u32_e32 v59, vcc, 0, v55, vcc
	global_load_dwordx4 v[58:61], v[58:59], off offset:128
	s_waitcnt vmcnt(0)
	ds_write_b128 v39, v[58:61]
.LBB9_51:                               ;   in Loop: Header=BB9_14 Depth=1
	s_or_b64 exec, exec, s[16:17]
	s_waitcnt lgkmcnt(0)
	v_max_f32_e32 v54, v54, v54
	v_max_f32_e32 v2, v2, v2
	;; [unrolled: 1-line block ×3, first 2 shown]
	v_pk_add_f32 v[50:51], v[50:51], v[2:3] op_sel_hi:[1,0] neg_lo:[0,1] neg_hi:[0,1]
	v_mul_f32_e32 v54, 0x3fb8aa3b, v51
	v_fma_f32 v55, v51, s31, -v54
	v_rndne_f32_e32 v56, v54
	v_fmac_f32_e32 v55, 0x32a5705f, v51
	v_sub_f32_e32 v54, v54, v56
	v_add_f32_e32 v54, v54, v55
	v_exp_f32_e32 v54, v54
	v_cvt_i32_f32_e32 v55, v56
	v_cmp_ngt_f32_e32 vcc, s55, v51
	v_pk_add_f32 v[6:7], v[6:7], v[2:3] op_sel_hi:[1,0] neg_lo:[0,1] neg_hi:[0,1]
	v_pk_add_f32 v[4:5], v[4:5], v[2:3] op_sel_hi:[1,0] neg_lo:[0,1] neg_hi:[0,1]
	v_ldexp_f32 v54, v54, v55
	v_cndmask_b32_e32 v54, 0, v54, vcc
	v_cmp_nlt_f32_e32 vcc, s87, v51
	v_mul_f32_e32 v51, 0x3fb8aa3b, v50
	v_cndmask_b32_e32 v58, v168, v54, vcc
	v_fma_f32 v54, v50, s31, -v51
	v_rndne_f32_e32 v55, v51
	v_fmac_f32_e32 v54, 0x32a5705f, v50
	v_sub_f32_e32 v51, v51, v55
	v_add_f32_e32 v51, v51, v54
	v_exp_f32_e32 v51, v51
	v_cvt_i32_f32_e32 v54, v55
	v_cmp_ngt_f32_e32 vcc, s55, v50
	s_cmp_eq_u64 s[76:77], 0
	s_cselect_b64 s[16:17], -1, 0
	v_ldexp_f32 v51, v51, v54
	v_cndmask_b32_e32 v51, 0, v51, vcc
	v_cmp_nlt_f32_e32 vcc, s87, v50
	v_mul_f32_e32 v50, 0x3fb8aa3b, v7
	v_cndmask_b32_e32 v59, v168, v51, vcc
	v_fma_f32 v51, v7, s31, -v50
	v_rndne_f32_e32 v54, v50
	v_fmac_f32_e32 v51, 0x32a5705f, v7
	v_sub_f32_e32 v50, v50, v54
	v_add_f32_e32 v50, v50, v51
	v_exp_f32_e32 v50, v50
	v_cvt_i32_f32_e32 v51, v54
	v_cmp_ngt_f32_e32 vcc, s55, v7
	v_ldexp_f32 v50, v50, v51
	v_cndmask_b32_e32 v50, 0, v50, vcc
	v_cmp_nlt_f32_e32 vcc, s87, v7
	v_mul_f32_e32 v7, 0x3fb8aa3b, v6
	v_cndmask_b32_e32 v60, v168, v50, vcc
	v_fma_f32 v50, v6, s31, -v7
	v_rndne_f32_e32 v51, v7
	v_fmac_f32_e32 v50, 0x32a5705f, v6
	v_sub_f32_e32 v7, v7, v51
	v_add_f32_e32 v7, v7, v50
	v_exp_f32_e32 v7, v7
	v_cvt_i32_f32_e32 v50, v51
	v_cmp_ngt_f32_e32 vcc, s55, v6
	v_ldexp_f32 v7, v7, v50
	v_cndmask_b32_e32 v7, 0, v7, vcc
	v_cmp_nlt_f32_e32 vcc, s87, v6
	v_cndmask_b32_e32 v61, v168, v7, vcc
	v_pk_add_f32 v[6:7], v[8:9], v[2:3] op_sel_hi:[1,0] neg_lo:[0,1] neg_hi:[0,1]
	v_mul_f32_e32 v8, 0x3fb8aa3b, v7
	v_fma_f32 v9, v7, s31, -v8
	v_rndne_f32_e32 v50, v8
	v_fmac_f32_e32 v9, 0x32a5705f, v7
	v_sub_f32_e32 v8, v8, v50
	v_add_f32_e32 v8, v8, v9
	v_exp_f32_e32 v8, v8
	v_cvt_i32_f32_e32 v9, v50
	v_cmp_ngt_f32_e32 vcc, s55, v7
	v_ldexp_f32 v8, v8, v9
	v_cndmask_b32_e32 v8, 0, v8, vcc
	v_cmp_nlt_f32_e32 vcc, s87, v7
	v_mul_f32_e32 v7, 0x3fb8aa3b, v6
	v_cndmask_b32_e32 v62, v168, v8, vcc
	v_fma_f32 v8, v6, s31, -v7
	v_rndne_f32_e32 v9, v7
	v_fmac_f32_e32 v8, 0x32a5705f, v6
	v_sub_f32_e32 v7, v7, v9
	v_add_f32_e32 v7, v7, v8
	v_exp_f32_e32 v7, v7
	v_cvt_i32_f32_e32 v8, v9
	v_cmp_ngt_f32_e32 vcc, s55, v6
	v_ldexp_f32 v7, v7, v8
	v_cndmask_b32_e32 v7, 0, v7, vcc
	v_cmp_nlt_f32_e32 vcc, s87, v6
	v_mul_f32_e32 v6, 0x3fb8aa3b, v5
	v_cndmask_b32_e32 v63, v168, v7, vcc
	v_fma_f32 v7, v5, s31, -v6
	v_rndne_f32_e32 v8, v6
	v_fmac_f32_e32 v7, 0x32a5705f, v5
	v_sub_f32_e32 v6, v6, v8
	v_add_f32_e32 v6, v6, v7
	v_exp_f32_e32 v6, v6
	v_cvt_i32_f32_e32 v7, v8
	v_cmp_ngt_f32_e32 vcc, s55, v5
	v_ldexp_f32 v6, v6, v7
	v_cndmask_b32_e32 v6, 0, v6, vcc
	v_cmp_nlt_f32_e32 vcc, s87, v5
	v_cndmask_b32_e32 v5, v168, v6, vcc
	v_mul_f32_e32 v6, 0x3fb8aa3b, v4
	v_fma_f32 v7, v4, s31, -v6
	v_rndne_f32_e32 v8, v6
	v_fmac_f32_e32 v7, 0x32a5705f, v4
	v_sub_f32_e32 v6, v6, v8
	v_add_f32_e32 v6, v6, v7
	v_exp_f32_e32 v6, v6
	v_cvt_i32_f32_e32 v7, v8
	v_cmp_ngt_f32_e32 vcc, s55, v4
	v_ldexp_f32 v6, v6, v7
	v_cndmask_b32_e32 v6, 0, v6, vcc
	v_cmp_nlt_f32_e32 vcc, s87, v4
	v_add_f32_e32 v4, v59, v58
	v_add_f32_e32 v4, v61, v4
	v_add_f32_e32 v4, v60, v4
	v_add_f32_e32 v4, v63, v4
	v_cndmask_b32_e32 v64, v168, v6, vcc
	v_add_f32_e32 v4, v62, v4
	v_add_f32_e32 v4, v64, v4
	;; [unrolled: 1-line block ×3, first 2 shown]
	v_sub_f32_e32 v4, v52, v2
	v_mul_f32_e32 v6, 0x3fb8aa3b, v4
	v_fma_f32 v7, v4, s31, -v6
	v_rndne_f32_e32 v8, v6
	v_fmac_f32_e32 v7, 0x32a5705f, v4
	v_sub_f32_e32 v6, v6, v8
	v_add_f32_e32 v6, v6, v7
	v_exp_f32_e32 v6, v6
	v_cvt_i32_f32_e32 v7, v8
	v_cmp_ngt_f32_e32 vcc, s55, v4
	v_cvt_f16_f32_e32 v52, v63
	v_cvt_f16_f32_e32 v5, v5
	v_ldexp_f32 v6, v6, v7
	v_cndmask_b32_e32 v6, 0, v6, vcc
	v_cmp_nlt_f32_e32 vcc, s87, v4
	v_cndmask_b32_e32 v6, v168, v6, vcc
	v_cmp_le_f32_e32 vcc, s8, v4
	v_cndmask_b32_e32 v4, 0, v6, vcc
	v_fmac_f32_e32 v51, v11, v4
	v_cvt_f16_f32_e32 v4, v4
	ds_bpermute_b32 v3, v3, v51
	v_pk_mul_f16 v6, v4, v53 op_sel_hi:[0,1]
	v_pk_mul_f16 v1, v4, v1 op_sel_hi:[0,1]
	;; [unrolled: 1-line block ×10, first 2 shown]
	v_cvt_f16_f32_e32 v4, v62
	v_cvt_f16_f32_e32 v53, v59
	v_mov_b32_e32 v59, s15
	s_waitcnt lgkmcnt(0)
	v_add_f32_e32 v3, v51, v3
	v_pack_b32_f16 v4, v52, v4
	v_cvt_f16_f32_e32 v52, v64
	ds_bpermute_b32 v51, v49, v3
	v_pack_b32_f16 v5, v52, v5
	v_cvt_f16_f32_e32 v52, v58
	v_cvt_f16_f32_e32 v58, v61
	s_waitcnt lgkmcnt(0)
	v_add_f32_e32 v3, v3, v51
	v_pack_b32_f16 v52, v53, v52
	v_cvt_f16_f32_e32 v53, v60
	v_pack_b32_f16 v53, v58, v53
	v_add_co_u32_e32 v58, vcc, s78, v28
	v_addc_co_u32_e32 v59, vcc, v59, v29, vcc
	v_add_co_u32_e32 v58, vcc, v58, v57
	v_addc_co_u32_e32 v59, vcc, 0, v59, vcc
	global_load_dwordx4 v[58:61], v[58:59], off
	s_waitcnt vmcnt(0)
	ds_write_b128 v96, v[58:61]
	v_add_co_u32_e32 v58, vcc, s78, v30
	v_mov_b32_e32 v59, s15
	v_addc_co_u32_e32 v59, vcc, v59, v31, vcc
	v_add_co_u32_e32 v58, vcc, v58, v57
	v_addc_co_u32_e32 v59, vcc, 0, v59, vcc
	global_load_dwordx4 v[58:61], v[58:59], off
	s_xor_b64 s[78:79], s[2:3], -1
	s_or_b64 s[16:17], s[78:79], s[16:17]
	s_waitcnt vmcnt(0)
	ds_write_b128 v165, v[58:61]
	s_waitcnt lgkmcnt(0)
	s_barrier
	ds_read_u16 v57, v82 offset:176
	ds_read_u16 v62, v82 offset:352
	v_cvt_f32_f16_e32 v60, v1
	v_cvt_f32_f16_sdwa v61, v1 dst_sel:DWORD dst_unused:UNUSED_PAD src0_sel:WORD_1
	ds_read_u16 v1, v83
	ds_read_u16 v64, v83 offset:32
	v_cvt_f32_f16_e32 v58, v6
	v_cvt_f32_f16_sdwa v59, v6 dst_sel:DWORD dst_unused:UNUSED_PAD src0_sel:WORD_1
	s_waitcnt lgkmcnt(1)
	v_perm_b32 v63, v1, v62, s9
	ds_read_u16 v1, v73
	ds_read_u16 v65, v73 offset:32
	s_waitcnt lgkmcnt(1)
	v_perm_b32 v62, v57, v1, s9
	s_nop 1
	v_mfma_f32_16x16x16f16 v[58:61], v[62:63], v[52:53], v[58:61]
	ds_read_u16 v62, v73 offset:5632
	ds_read_u16 v66, v160 offset:176
	;; [unrolled: 1-line block ×4, first 2 shown]
	s_waitcnt lgkmcnt(2)
	v_perm_b32 v62, v66, v62, s9
	s_waitcnt lgkmcnt(0)
	v_perm_b32 v63, v68, v63, s9
	s_nop 2
	v_cvt_f16_f32_e32 v1, v58
	v_cvt_f16_f32_e32 v6, v59
	;; [unrolled: 1-line block ×4, first 2 shown]
	v_cvt_f32_f16_e32 v58, v1
	v_cvt_f32_f16_e32 v59, v6
	;; [unrolled: 1-line block ×4, first 2 shown]
	s_nop 1
	v_mfma_f32_16x16x16f16 v[58:61], v[62:63], v[4:5], v[58:61]
	s_nop 7
	s_nop 2
	v_cvt_f16_f32_e32 v1, v58
	v_cvt_f16_f32_e32 v6, v59
	;; [unrolled: 1-line block ×4, first 2 shown]
	v_cvt_f32_f16_sdwa v59, v8 dst_sel:DWORD dst_unused:UNUSED_PAD src0_sel:WORD_1
	v_pack_b32_f16 v6, v1, v6
	v_cvt_f32_f16_e32 v60, v7
	v_pack_b32_f16 v1, v57, v58
	ds_read_u16 v57, v161 offset:176
	ds_read_u16 v62, v161 offset:352
	v_cvt_f32_f16_e32 v58, v8
	v_cvt_f32_f16_sdwa v61, v7 dst_sel:DWORD dst_unused:UNUSED_PAD src0_sel:WORD_1
	s_waitcnt lgkmcnt(0)
	v_perm_b32 v63, v64, v62, s9
	v_perm_b32 v62, v57, v65, s9
	s_nop 1
	v_mfma_f32_16x16x16f16 v[58:61], v[62:63], v[52:53], v[58:61]
	ds_read_u16 v62, v84 offset:5632
	ds_read_u16 v64, v85 offset:176
	ds_read_u16 v63, v85 offset:352
	ds_read_u16 v65, v86 offset:5632
	s_waitcnt lgkmcnt(2)
	v_perm_b32 v62, v64, v62, s9
	s_waitcnt lgkmcnt(0)
	v_perm_b32 v63, v65, v63, s9
	s_nop 2
	v_cvt_f16_f32_e32 v7, v58
	v_cvt_f16_f32_e32 v8, v59
	v_cvt_f16_f32_e32 v57, v60
	v_cvt_f16_f32_e32 v61, v61
	v_cvt_f32_f16_e32 v58, v7
	v_cvt_f32_f16_e32 v59, v8
	v_cvt_f32_f16_e32 v60, v57
	v_cvt_f32_f16_e32 v61, v61
	s_nop 1
	v_mfma_f32_16x16x16f16 v[58:61], v[62:63], v[4:5], v[58:61]
	s_nop 7
	s_nop 2
	v_cvt_f16_f32_e32 v7, v58
	v_cvt_f16_f32_e32 v8, v59
	v_cvt_f16_f32_e32 v57, v60
	v_cvt_f16_f32_e32 v58, v61
	v_cvt_f32_f16_sdwa v59, v50 dst_sel:DWORD dst_unused:UNUSED_PAD src0_sel:WORD_1
	v_pack_b32_f16 v8, v7, v8
	v_cvt_f32_f16_e32 v60, v9
	v_pack_b32_f16 v7, v57, v58
	ds_read_u16 v57, v73 offset:64
	ds_read_u16 v62, v162 offset:176
	ds_read_u16 v63, v162 offset:352
	ds_read_u16 v64, v83 offset:64
	v_cvt_f32_f16_e32 v58, v50
	v_cvt_f32_f16_sdwa v61, v9 dst_sel:DWORD dst_unused:UNUSED_PAD src0_sel:WORD_1
	s_waitcnt lgkmcnt(2)
	v_perm_b32 v62, v62, v57, s9
	s_waitcnt lgkmcnt(0)
	v_perm_b32 v63, v64, v63, s9
	s_nop 1
	v_mfma_f32_16x16x16f16 v[58:61], v[62:63], v[52:53], v[58:61]
	ds_read_u16 v62, v87 offset:5632
	ds_read_u16 v64, v88 offset:176
	ds_read_u16 v63, v88 offset:352
	ds_read_u16 v65, v89 offset:5632
	s_waitcnt lgkmcnt(2)
	v_perm_b32 v62, v64, v62, s9
	s_waitcnt lgkmcnt(0)
	v_perm_b32 v63, v65, v63, s9
	s_nop 2
	v_cvt_f16_f32_e32 v9, v58
	v_cvt_f16_f32_e32 v50, v59
	v_cvt_f16_f32_e32 v57, v60
	v_cvt_f16_f32_e32 v61, v61
	v_cvt_f32_f16_e32 v58, v9
	v_cvt_f32_f16_e32 v59, v50
	v_cvt_f32_f16_e32 v60, v57
	v_cvt_f32_f16_e32 v61, v61
	s_nop 1
	v_mfma_f32_16x16x16f16 v[58:61], v[62:63], v[4:5], v[58:61]
	s_nop 7
	s_nop 2
	v_cvt_f16_f32_e32 v9, v58
	v_cvt_f16_f32_e32 v50, v59
	v_cvt_f16_f32_e32 v57, v60
	v_cvt_f16_f32_e32 v58, v61
	v_cvt_f32_f16_sdwa v59, v54 dst_sel:DWORD dst_unused:UNUSED_PAD src0_sel:WORD_1
	v_pack_b32_f16 v50, v9, v50
	v_cvt_f32_f16_e32 v60, v11
	v_pack_b32_f16 v9, v57, v58
	ds_read_u16 v57, v73 offset:96
	ds_read_u16 v62, v163 offset:176
	ds_read_u16 v63, v163 offset:352
	ds_read_u16 v64, v83 offset:96
	v_cvt_f32_f16_e32 v58, v54
	v_cvt_f32_f16_sdwa v61, v11 dst_sel:DWORD dst_unused:UNUSED_PAD src0_sel:WORD_1
	s_waitcnt lgkmcnt(2)
	v_perm_b32 v62, v62, v57, s9
	s_waitcnt lgkmcnt(0)
	;; [unrolled: 41-line block ×3, first 2 shown]
	v_perm_b32 v57, v64, v57, s9
	s_nop 1
	v_mfma_f32_16x16x16f16 v[56:59], v[56:57], v[52:53], v[58:61]
	s_nop 6
	ds_read_u16 v60, v93 offset:5632
	ds_read_u16 v61, v94 offset:176
	;; [unrolled: 1-line block ×4, first 2 shown]
	s_waitcnt lgkmcnt(0)
	s_barrier
	v_cvt_f16_f32_e32 v52, v56
	v_cvt_f16_f32_e32 v53, v57
	v_cvt_f16_f32_e32 v55, v58
	v_cvt_f16_f32_e32 v59, v59
	v_cvt_f32_f16_e32 v56, v52
	v_cvt_f32_f16_e32 v57, v53
	v_perm_b32 v53, v63, v62, s9
	v_perm_b32 v52, v61, v60, s9
	v_cvt_f32_f16_e32 v58, v55
	v_cvt_f32_f16_e32 v59, v59
	s_nop 1
	v_mfma_f32_16x16x16f16 v[56:59], v[52:53], v[4:5], v[56:59]
	s_nop 7
	s_nop 2
	v_cvt_f16_f32_e32 v4, v56
	v_cvt_f16_f32_e32 v5, v57
	;; [unrolled: 1-line block ×4, first 2 shown]
	v_pack_b32_f16 v4, v4, v5
	v_pack_b32_f16 v5, v52, v53
	s_and_saveexec_b64 s[78:79], s[16:17]
	s_xor_b64 s[16:17], exec, s[78:79]
	s_andn2_saveexec_b64 s[16:17], s[16:17]
	s_cbranch_execz .LBB9_53
; %bb.52:                               ;   in Loop: Header=BB9_14 Depth=1
	v_lshlrev_b32_e32 v51, 2, v18
	global_load_dword v51, v51, s[76:77]
	v_max_f32_e32 v53, v2, v2
	s_waitcnt vmcnt(0)
	v_max_f32_e32 v52, v51, v51
	v_max_f32_e32 v52, v53, v52
	v_sub_f32_e32 v2, v2, v52
	v_mul_f32_e32 v53, 0x3fb8aa3b, v2
	v_fma_f32 v55, v2, s31, -v53
	v_rndne_f32_e32 v56, v53
	v_fmac_f32_e32 v55, 0x32a5705f, v2
	v_sub_f32_e32 v53, v53, v56
	v_add_f32_e32 v53, v53, v55
	v_exp_f32_e32 v53, v53
	v_cvt_i32_f32_e32 v55, v56
	v_cmp_ngt_f32_e32 vcc, s55, v2
	v_sub_f32_e32 v51, v51, v52
	v_ldexp_f32 v53, v53, v55
	v_cndmask_b32_e32 v53, 0, v53, vcc
	v_cmp_nlt_f32_e32 vcc, s87, v2
	v_cndmask_b32_e32 v53, v168, v53, vcc
	v_cmp_le_f32_e32 vcc, s8, v2
	v_cndmask_b32_e32 v2, 0, v53, vcc
	v_cvt_f16_f32_e32 v53, v2
	v_cmp_ngt_f32_e32 vcc, s55, v51
	v_pk_mul_f16 v6, v53, v6 op_sel_hi:[0,1]
	v_pk_mul_f16 v1, v53, v1 op_sel_hi:[0,1]
	;; [unrolled: 1-line block ×10, first 2 shown]
	v_mul_f32_e32 v53, 0x3fb8aa3b, v51
	v_fma_f32 v55, v51, s31, -v53
	v_rndne_f32_e32 v56, v53
	v_fmac_f32_e32 v55, 0x32a5705f, v51
	v_sub_f32_e32 v53, v53, v56
	v_add_f32_e32 v53, v53, v55
	v_exp_f32_e32 v53, v53
	v_cvt_i32_f32_e32 v55, v56
	v_ldexp_f32 v53, v53, v55
	v_cndmask_b32_e32 v53, 0, v53, vcc
	v_cmp_nlt_f32_e32 vcc, s87, v51
	v_cndmask_b32_e32 v53, v168, v53, vcc
	v_fmac_f32_e32 v53, v3, v2
	v_pk_mov_b32 v[2:3], v[52:53], v[52:53] op_sel:[0,1]
.LBB9_53:                               ;   in Loop: Header=BB9_14 Depth=1
	s_or_b64 exec, exec, s[16:17]
	s_mov_b64 s[16:17], exec
	v_readlane_b32 s78, v188, 19
	v_readlane_b32 s79, v188, 20
	s_and_b64 s[78:79], s[16:17], s[78:79]
	s_mov_b64 exec, s[78:79]
	s_cbranch_execz .LBB9_55
; %bb.54:                               ;   in Loop: Header=BB9_14 Depth=1
	v_add_u32_e32 v51, 0, v105
	ds_write2_b32 v51, v2, v3 offset0:40 offset1:41
.LBB9_55:                               ;   in Loop: Header=BB9_14 Depth=1
	s_or_b64 exec, exec, s[16:17]
	s_waitcnt lgkmcnt(0)
	s_barrier
	s_mov_b64 s[16:17], exec
	v_readlane_b32 s78, v188, 17
	v_readlane_b32 s79, v188, 18
	s_and_b64 s[78:79], s[16:17], s[78:79]
	s_xor_b64 s[16:17], s[78:79], s[16:17]
	s_mov_b64 exec, s[78:79]
	s_cbranch_execz .LBB9_57
; %bb.56:                               ;   in Loop: Header=BB9_14 Depth=1
	s_barrier
	s_waitcnt lgkmcnt(0)
                                        ; implicit-def: $vgpr49
.LBB9_57:                               ;   in Loop: Header=BB9_14 Depth=1
	s_andn2_saveexec_b64 s[16:17], s[16:17]
	s_cbranch_execz .LBB9_63
; %bb.58:                               ;   in Loop: Header=BB9_14 Depth=1
	v_add_u32_e32 v3, 0, v106
	ds_read_b64 v[56:57], v3 offset:160
	s_waitcnt lgkmcnt(0)
	s_barrier
	ds_bpermute_b32 v2, v49, v56
	v_max_f32_e32 v51, v56, v56
	s_waitcnt lgkmcnt(0)
	v_max_f32_e32 v2, v2, v2
	v_max_f32_e32 v2, v51, v2
	v_sub_f32_e32 v51, v56, v2
	v_mul_f32_e32 v52, 0x3fb8aa3b, v51
	v_fma_f32 v53, v51, s31, -v52
	v_rndne_f32_e32 v55, v52
	v_fmac_f32_e32 v53, 0x32a5705f, v51
	v_sub_f32_e32 v52, v52, v55
	v_add_f32_e32 v52, v52, v53
	v_cvt_i32_f32_e32 v55, v55
	v_exp_f32_e32 v52, v52
	v_cmp_ngt_f32_e32 vcc, s55, v51
	v_ldexp_f32 v52, v52, v55
	v_cndmask_b32_e32 v52, 0, v52, vcc
	v_cmp_nlt_f32_e32 vcc, s87, v51
	v_cndmask_b32_e32 v52, v168, v52, vcc
	v_mul_f32_e32 v51, v57, v52
	ds_bpermute_b32 v53, v49, v51
	s_waitcnt lgkmcnt(0)
	v_fmac_f32_e32 v53, v57, v52
	s_mov_b64 s[78:79], exec
	v_readlane_b32 s80, v188, 21
	v_readlane_b32 s81, v188, 22
	s_and_b64 s[80:81], s[78:79], s[80:81]
	s_mov_b64 exec, s[80:81]
	s_cbranch_execz .LBB9_60
; %bb.59:                               ;   in Loop: Header=BB9_14 Depth=1
	ds_write_b64 v3, v[52:53] offset:160
.LBB9_60:                               ;   in Loop: Header=BB9_14 Depth=1
	s_or_b64 exec, exec, s[78:79]
	s_mov_b64 s[78:79], exec
	v_readlane_b32 s80, v188, 19
	v_readlane_b32 s81, v188, 20
	s_and_b64 s[80:81], s[78:79], s[80:81]
	s_mov_b64 exec, s[80:81]
	s_cbranch_execz .LBB9_62
; %bb.61:                               ;   in Loop: Header=BB9_14 Depth=1
	v_mov_b32_e32 v3, v53
	global_store_dwordx2 v[14:15], v[2:3], off
.LBB9_62:                               ;   in Loop: Header=BB9_14 Depth=1
	s_or_b64 exec, exec, s[78:79]
.LBB9_63:                               ;   in Loop: Header=BB9_14 Depth=1
	s_or_b64 exec, exec, s[16:17]
	ds_write2_b32 v107, v6, v1 offset1:1
	ds_write2_b32 v107, v8, v7 offset0:8 offset1:9
	ds_write2_b32 v107, v50, v9 offset0:16 offset1:17
	;; [unrolled: 1-line block ×4, first 2 shown]
	s_waitcnt lgkmcnt(0)
	s_barrier
	s_and_saveexec_b64 s[78:79], s[2:3]
	s_cbranch_execz .LBB9_108
; %bb.64:                               ;   in Loop: Header=BB9_14 Depth=1
	v_add_u32_e32 v2, s14, v114
	v_or_b32_e32 v1, s88, v40
	v_cmp_gt_i32_e64 s[16:17], s20, v2
	v_cmp_gt_i32_e32 vcc, s33, v1
	s_and_b64 s[16:17], s[16:17], vcc
	v_mov_b32_e32 v1, 0x47
	s_and_saveexec_b64 s[80:81], s[16:17]
	s_cbranch_execz .LBB9_66
; %bb.65:                               ;   in Loop: Header=BB9_14 Depth=1
	v_add_u32_e32 v1, 0, v115
	v_add_u32_e32 v1, 0xa0, v1
	ds_read2st64_b32 v[4:5], v1 offset1:11
	ds_read2st64_b32 v[6:7], v116 offset1:11
	v_mad_u64_u32 v[2:3], s[16:17], v2, s21, v[40:41]
	v_mad_u64_u32 v[2:3], s[16:17], v2, 40, v[24:25]
	s_waitcnt lgkmcnt(0)
	v_cvt_f32_f16_sdwa v9, v6 dst_sel:DWORD dst_unused:UNUSED_PAD src0_sel:WORD_1
	v_cvt_f32_f16_e32 v8, v6
	v_cvt_f32_f16_sdwa v51, v7 dst_sel:DWORD dst_unused:UNUSED_PAD src0_sel:WORD_1
	v_cvt_f32_f16_e32 v50, v7
	v_ashrrev_i32_e32 v3, 31, v2
	v_lshlrev_b64 v[2:3], 3, v[2:3]
	v_add_co_u32_e64 v2, s[16:17], s89, v2
	v_mov_b32_e32 v1, s86
	v_pk_fma_f32 v[8:9], v[4:5], v[8:9], 0 op_sel_hi:[0,1,0]
	v_mov_b32_e32 v4, v5
	v_addc_co_u32_e64 v3, s[16:17], v1, v3, s[16:17]
	v_pk_fma_f32 v[4:5], v[4:5], v[50:51], v[8:9] op_sel_hi:[0,1,1]
	v_mov_b32_e32 v1, 0
	global_store_dwordx2 v[2:3], v[4:5], off
.LBB9_66:                               ;   in Loop: Header=BB9_14 Depth=1
	s_or_b64 exec, exec, s[80:81]
	s_movk_i32 s15, 0x47
	v_cmp_gt_i32_e64 s[16:17], s15, v1
	s_mov_b64 s[82:83], -1
	s_and_saveexec_b64 s[80:81], s[16:17]
; %bb.67:                               ;   in Loop: Header=BB9_14 Depth=1
	v_cmp_eq_u32_e64 s[16:17], 0, v1
	s_orn2_b64 s[82:83], s[16:17], exec
; %bb.68:                               ;   in Loop: Header=BB9_14 Depth=1
	s_or_b64 exec, exec, s[80:81]
	s_and_saveexec_b64 s[80:81], s[82:83]
	s_cbranch_execz .LBB9_101
; %bb.69:                               ;   in Loop: Header=BB9_14 Depth=1
	v_add_u32_e32 v2, s14, v117
	v_cmp_gt_i32_e64 s[16:17], s20, v2
	s_and_b64 s[16:17], s[16:17], vcc
	v_mov_b32_e32 v1, 0x47
	s_and_saveexec_b64 s[82:83], s[16:17]
	s_cbranch_execz .LBB9_71
; %bb.70:                               ;   in Loop: Header=BB9_14 Depth=1
	v_add_u32_e32 v1, 0, v118
	v_add_u32_e32 v1, 0xa0, v1
	ds_read2st64_b32 v[4:5], v1 offset1:11
	ds_read2st64_b32 v[6:7], v119 offset1:11
	v_mad_u64_u32 v[2:3], s[16:17], v2, s21, v[40:41]
	v_mad_u64_u32 v[2:3], s[16:17], v2, 40, v[24:25]
	s_waitcnt lgkmcnt(0)
	v_cvt_f32_f16_sdwa v9, v6 dst_sel:DWORD dst_unused:UNUSED_PAD src0_sel:WORD_1
	v_cvt_f32_f16_e32 v8, v6
	v_cvt_f32_f16_sdwa v51, v7 dst_sel:DWORD dst_unused:UNUSED_PAD src0_sel:WORD_1
	v_cvt_f32_f16_e32 v50, v7
	v_ashrrev_i32_e32 v3, 31, v2
	v_lshlrev_b64 v[2:3], 3, v[2:3]
	v_add_co_u32_e64 v2, s[16:17], s89, v2
	v_mov_b32_e32 v1, s86
	v_pk_fma_f32 v[8:9], v[4:5], v[8:9], 0 op_sel_hi:[0,1,0]
	v_mov_b32_e32 v4, v5
	v_addc_co_u32_e64 v3, s[16:17], v1, v3, s[16:17]
	v_pk_fma_f32 v[4:5], v[4:5], v[50:51], v[8:9] op_sel_hi:[0,1,1]
	v_mov_b32_e32 v1, 0
	global_store_dwordx2 v[2:3], v[4:5], off
.LBB9_71:                               ;   in Loop: Header=BB9_14 Depth=1
	s_or_b64 exec, exec, s[82:83]
	v_cmp_gt_i32_e64 s[16:17], s15, v1
	s_mov_b64 s[82:83], -1
	s_and_saveexec_b64 s[84:85], s[16:17]
; %bb.72:                               ;   in Loop: Header=BB9_14 Depth=1
	v_cmp_eq_u32_e64 s[16:17], 0, v1
	s_orn2_b64 s[82:83], s[16:17], exec
; %bb.73:                               ;   in Loop: Header=BB9_14 Depth=1
	s_or_b64 exec, exec, s[84:85]
	s_and_b64 exec, exec, s[82:83]
	s_cbranch_execz .LBB9_101
; %bb.74:                               ;   in Loop: Header=BB9_14 Depth=1
	v_add_u32_e32 v2, s14, v120
	v_cmp_gt_i32_e64 s[16:17], s20, v2
	s_and_b64 s[16:17], s[16:17], vcc
	v_mov_b32_e32 v1, 0x47
	s_and_saveexec_b64 s[82:83], s[16:17]
	s_cbranch_execz .LBB9_76
; %bb.75:                               ;   in Loop: Header=BB9_14 Depth=1
	v_add_u32_e32 v1, 0, v121
	v_add_u32_e32 v1, 0xa0, v1
	ds_read2st64_b32 v[4:5], v1 offset1:11
	ds_read2st64_b32 v[6:7], v122 offset1:11
	v_mad_u64_u32 v[2:3], s[16:17], v2, s21, v[40:41]
	v_mad_u64_u32 v[2:3], s[16:17], v2, 40, v[24:25]
	s_waitcnt lgkmcnt(0)
	v_cvt_f32_f16_sdwa v9, v6 dst_sel:DWORD dst_unused:UNUSED_PAD src0_sel:WORD_1
	v_cvt_f32_f16_e32 v8, v6
	v_cvt_f32_f16_sdwa v51, v7 dst_sel:DWORD dst_unused:UNUSED_PAD src0_sel:WORD_1
	v_cvt_f32_f16_e32 v50, v7
	v_ashrrev_i32_e32 v3, 31, v2
	v_lshlrev_b64 v[2:3], 3, v[2:3]
	v_add_co_u32_e64 v2, s[16:17], s89, v2
	v_mov_b32_e32 v1, s86
	v_pk_fma_f32 v[8:9], v[4:5], v[8:9], 0 op_sel_hi:[0,1,0]
	v_mov_b32_e32 v4, v5
	v_addc_co_u32_e64 v3, s[16:17], v1, v3, s[16:17]
	v_pk_fma_f32 v[4:5], v[4:5], v[50:51], v[8:9] op_sel_hi:[0,1,1]
	v_mov_b32_e32 v1, 0
	global_store_dwordx2 v[2:3], v[4:5], off
.LBB9_76:                               ;   in Loop: Header=BB9_14 Depth=1
	s_or_b64 exec, exec, s[82:83]
	v_cmp_gt_i32_e64 s[16:17], s15, v1
	s_mov_b64 s[82:83], -1
	s_and_saveexec_b64 s[84:85], s[16:17]
; %bb.77:                               ;   in Loop: Header=BB9_14 Depth=1
	v_cmp_eq_u32_e64 s[16:17], 0, v1
	s_orn2_b64 s[82:83], s[16:17], exec
; %bb.78:                               ;   in Loop: Header=BB9_14 Depth=1
	s_or_b64 exec, exec, s[84:85]
	s_and_b64 exec, exec, s[82:83]
	;; [unrolled: 41-line block ×6, first 2 shown]
	s_cbranch_execz .LBB9_101
; %bb.99:                               ;   in Loop: Header=BB9_14 Depth=1
	v_add_u32_e32 v1, s14, v135
	v_cmp_gt_i32_e64 s[16:17], s20, v1
	s_and_b64 s[16:17], s[16:17], vcc
	s_and_b64 exec, exec, s[16:17]
	s_cbranch_execz .LBB9_101
; %bb.100:                              ;   in Loop: Header=BB9_14 Depth=1
	v_mad_u64_u32 v[2:3], s[16:17], v1, s21, v[40:41]
	v_add_u32_e32 v1, 0, v136
	v_add_u32_e32 v1, 0xa0, v1
	ds_read2st64_b32 v[4:5], v1 offset1:11
	ds_read2st64_b32 v[6:7], v137 offset1:11
	v_mad_u64_u32 v[2:3], s[16:17], v2, 40, v[24:25]
	v_ashrrev_i32_e32 v3, 31, v2
	v_lshlrev_b64 v[2:3], 3, v[2:3]
	s_waitcnt lgkmcnt(0)
	v_cvt_f32_f16_sdwa v9, v6 dst_sel:DWORD dst_unused:UNUSED_PAD src0_sel:WORD_1
	v_cvt_f32_f16_e32 v8, v6
	v_cvt_f32_f16_sdwa v51, v7 dst_sel:DWORD dst_unused:UNUSED_PAD src0_sel:WORD_1
	v_cvt_f32_f16_e32 v50, v7
	v_add_co_u32_e32 v2, vcc, s89, v2
	v_mov_b32_e32 v1, s86
	v_pk_fma_f32 v[8:9], v[4:5], v[8:9], 0 op_sel_hi:[0,1,0]
	v_mov_b32_e32 v4, v5
	v_addc_co_u32_e32 v3, vcc, v1, v3, vcc
	v_pk_fma_f32 v[4:5], v[4:5], v[50:51], v[8:9] op_sel_hi:[0,1,1]
	global_store_dwordx2 v[2:3], v[4:5], off
.LBB9_101:                              ;   in Loop: Header=BB9_14 Depth=1
	s_or_b64 exec, exec, s[80:81]
	v_add_u32_e32 v2, s14, v138
	v_cmp_gt_i32_e32 vcc, s20, v2
	s_and_b64 s[80:81], vcc, s[12:13]
	v_mov_b32_e32 v1, 0x47
	s_and_saveexec_b64 s[16:17], s[80:81]
	s_cbranch_execz .LBB9_103
; %bb.102:                              ;   in Loop: Header=BB9_14 Depth=1
	v_add_u32_e32 v4, 0x80, v140
	ds_read2st64_b32 v[4:5], v4 offset1:11
	v_mad_u64_u32 v[2:3], s[80:81], v2, s21, v[36:37]
	v_mul_lo_u32 v1, v2, 40
	v_add_u32_e32 v2, 0, v139
	v_add_u32_e32 v2, 0xa0, v2
	ds_read2st64_b32 v[2:3], v2 offset1:11
	s_waitcnt lgkmcnt(1)
	v_cvt_f32_f16_sdwa v9, v4 dst_sel:DWORD dst_unused:UNUSED_PAD src0_sel:WORD_1
	v_cvt_f32_f16_e32 v8, v4
	v_ashrrev_i32_e32 v6, 31, v1
	v_cvt_f32_f16_sdwa v51, v5 dst_sel:DWORD dst_unused:UNUSED_PAD src0_sel:WORD_1
	v_cvt_f32_f16_e32 v50, v5
	v_or_b32_e32 v7, 0, v6
	v_or_b32_e32 v6, v1, v22
	v_lshlrev_b64 v[6:7], 3, v[6:7]
	v_add_co_u32_e32 v6, vcc, s89, v6
	v_mov_b32_e32 v1, s86
	s_waitcnt lgkmcnt(0)
	v_pk_fma_f32 v[8:9], v[2:3], v[8:9], 0 op_sel_hi:[0,1,0]
	v_mov_b32_e32 v2, v3
	v_addc_co_u32_e32 v7, vcc, v1, v7, vcc
	v_pk_fma_f32 v[2:3], v[2:3], v[50:51], v[8:9] op_sel_hi:[0,1,1]
	v_mov_b32_e32 v1, 0
	global_store_dwordx2 v[6:7], v[2:3], off offset:256
.LBB9_103:                              ;   in Loop: Header=BB9_14 Depth=1
	s_or_b64 exec, exec, s[16:17]
	v_cmp_gt_i32_e32 vcc, s15, v1
	s_mov_b64 s[16:17], -1
	s_and_saveexec_b64 s[80:81], vcc
; %bb.104:                              ;   in Loop: Header=BB9_14 Depth=1
	v_cmp_eq_u32_e32 vcc, 0, v1
	s_orn2_b64 s[16:17], vcc, exec
; %bb.105:                              ;   in Loop: Header=BB9_14 Depth=1
	s_or_b64 exec, exec, s[80:81]
	s_and_b64 exec, exec, s[16:17]
	s_cbranch_execz .LBB9_108
; %bb.106:                              ;   in Loop: Header=BB9_14 Depth=1
	v_add_u32_e32 v1, s14, v141
	v_cmp_gt_i32_e32 vcc, s20, v1
	s_and_b64 s[12:13], vcc, s[12:13]
	s_and_b64 exec, exec, s[12:13]
	s_cbranch_execz .LBB9_108
; %bb.107:                              ;   in Loop: Header=BB9_14 Depth=1
	v_add_u32_e32 v4, 0x80, v143
	ds_read2st64_b32 v[4:5], v4 offset1:11
	v_mad_u64_u32 v[2:3], s[12:13], v1, s21, v[36:37]
	v_mul_lo_u32 v1, v2, 40
	v_add_u32_e32 v2, 0, v142
	v_add_u32_e32 v2, 0xa0, v2
	ds_read2st64_b32 v[2:3], v2 offset1:11
	s_waitcnt lgkmcnt(1)
	v_cvt_f32_f16_sdwa v9, v4 dst_sel:DWORD dst_unused:UNUSED_PAD src0_sel:WORD_1
	v_cvt_f32_f16_e32 v8, v4
	v_ashrrev_i32_e32 v6, 31, v1
	v_cvt_f32_f16_sdwa v51, v5 dst_sel:DWORD dst_unused:UNUSED_PAD src0_sel:WORD_1
	v_cvt_f32_f16_e32 v50, v5
	v_or_b32_e32 v7, 0, v6
	v_or_b32_e32 v6, v1, v22
	v_lshlrev_b64 v[6:7], 3, v[6:7]
	v_add_co_u32_e32 v6, vcc, s89, v6
	v_mov_b32_e32 v1, s86
	s_waitcnt lgkmcnt(0)
	v_pk_fma_f32 v[8:9], v[2:3], v[8:9], 0 op_sel_hi:[0,1,0]
	v_mov_b32_e32 v2, v3
	v_addc_co_u32_e32 v7, vcc, v1, v7, vcc
	v_pk_fma_f32 v[2:3], v[2:3], v[50:51], v[8:9] op_sel_hi:[0,1,1]
	global_store_dwordx2 v[6:7], v[2:3], off offset:256
.LBB9_108:                              ;   in Loop: Header=BB9_14 Depth=1
	s_or_b64 exec, exec, s[78:79]
	s_barrier
	s_branch .LBB9_13
.LBB9_109:                              ;   in Loop: Header=BB9_14 Depth=1
	s_lshl_b32 s82, s5, 4
	v_add_u32_e32 v1, s82, v108
	v_cmp_gt_i32_e64 s[12:13], s33, v19
	v_cmp_le_i32_e32 vcc, s20, v1
	s_xor_b64 s[12:13], s[12:13], -1
	s_or_b64 s[14:15], vcc, s[12:13]
	s_and_saveexec_b64 s[16:17], s[14:15]
	s_xor_b64 s[16:17], exec, s[16:17]
	s_cbranch_execz .LBB9_111
; %bb.110:                              ;   in Loop: Header=BB9_14 Depth=1
	ds_write_b32 v111, v157
                                        ; implicit-def: $vgpr1
.LBB9_111:                              ;   in Loop: Header=BB9_14 Depth=1
	s_andn2_saveexec_b64 s[16:17], s[16:17]
	s_cbranch_execz .LBB9_113
; %bb.112:                              ;   in Loop: Header=BB9_14 Depth=1
	v_mad_u64_u32 v[2:3], s[14:15], v1, s59, v[42:43]
	v_ashrrev_i32_e32 v3, 31, v2
	v_lshlrev_b64 v[2:3], 3, v[2:3]
	v_mov_b32_e32 v1, s4
	v_add_co_u32_e32 v2, vcc, s26, v2
	v_addc_co_u32_e32 v3, vcc, v1, v3, vcc
	global_load_dwordx2 v[2:3], v[2:3], off
	s_waitcnt vmcnt(0)
	v_cvt_f16_f32_e32 v1, v2
	v_cvt_f16_f32_e32 v2, v3
	v_pack_b32_f16 v1, v1, v2
	v_pk_mul_f16 v1, v25, v1
	ds_write_b32 v111, v1
.LBB9_113:                              ;   in Loop: Header=BB9_14 Depth=1
	s_or_b64 exec, exec, s[16:17]
	v_add_u32_e32 v1, s82, v166
	v_cmp_le_i32_e32 vcc, s20, v1
	s_or_b64 s[14:15], vcc, s[12:13]
	s_and_saveexec_b64 s[16:17], s[14:15]
	s_xor_b64 s[16:17], exec, s[16:17]
	s_cbranch_execz .LBB9_115
; %bb.114:                              ;   in Loop: Header=BB9_14 Depth=1
	ds_write_b32 v111, v157 offset:1408
                                        ; implicit-def: $vgpr1
.LBB9_115:                              ;   in Loop: Header=BB9_14 Depth=1
	s_andn2_saveexec_b64 s[16:17], s[16:17]
	s_cbranch_execz .LBB9_117
; %bb.116:                              ;   in Loop: Header=BB9_14 Depth=1
	v_mad_u64_u32 v[2:3], s[14:15], v1, s59, v[42:43]
	v_ashrrev_i32_e32 v3, 31, v2
	v_lshlrev_b64 v[2:3], 3, v[2:3]
	v_mov_b32_e32 v1, s4
	v_add_co_u32_e32 v2, vcc, s26, v2
	v_addc_co_u32_e32 v3, vcc, v1, v3, vcc
	global_load_dwordx2 v[2:3], v[2:3], off
	s_waitcnt vmcnt(0)
	v_cvt_f16_f32_e32 v1, v2
	v_cvt_f16_f32_e32 v2, v3
	v_pack_b32_f16 v1, v1, v2
	v_pk_mul_f16 v1, v25, v1
	ds_write_b32 v111, v1 offset:1408
.LBB9_117:                              ;   in Loop: Header=BB9_14 Depth=1
	s_or_b64 exec, exec, s[16:17]
	v_add_u32_e32 v1, s82, v112
	v_cmp_le_i32_e32 vcc, s20, v1
	s_or_b64 s[14:15], vcc, s[12:13]
	s_and_saveexec_b64 s[16:17], s[14:15]
	s_xor_b64 s[16:17], exec, s[16:17]
	s_cbranch_execz .LBB9_119
; %bb.118:                              ;   in Loop: Header=BB9_14 Depth=1
	ds_write_b32 v111, v157 offset:2816
                                        ; implicit-def: $vgpr1
.LBB9_119:                              ;   in Loop: Header=BB9_14 Depth=1
	s_andn2_saveexec_b64 s[16:17], s[16:17]
	s_cbranch_execz .LBB9_121
; %bb.120:                              ;   in Loop: Header=BB9_14 Depth=1
	v_mad_u64_u32 v[2:3], s[14:15], v1, s59, v[42:43]
	v_ashrrev_i32_e32 v3, 31, v2
	v_lshlrev_b64 v[2:3], 3, v[2:3]
	v_mov_b32_e32 v1, s4
	v_add_co_u32_e32 v2, vcc, s26, v2
	v_addc_co_u32_e32 v3, vcc, v1, v3, vcc
	global_load_dwordx2 v[2:3], v[2:3], off
	s_waitcnt vmcnt(0)
	v_cvt_f16_f32_e32 v1, v2
	v_cvt_f16_f32_e32 v2, v3
	v_pack_b32_f16 v1, v1, v2
	v_pk_mul_f16 v1, v25, v1
	ds_write_b32 v111, v1 offset:2816
.LBB9_121:                              ;   in Loop: Header=BB9_14 Depth=1
	s_or_b64 exec, exec, s[16:17]
	v_add_u32_e32 v1, s82, v113
	v_cmp_le_i32_e32 vcc, s20, v1
	s_or_b64 s[12:13], vcc, s[12:13]
	s_and_saveexec_b64 s[14:15], s[12:13]
	s_xor_b64 s[12:13], exec, s[14:15]
	s_cbranch_execz .LBB9_123
; %bb.122:                              ;   in Loop: Header=BB9_14 Depth=1
	ds_write_b32 v111, v157 offset:4224
                                        ; implicit-def: $vgpr1
.LBB9_123:                              ;   in Loop: Header=BB9_14 Depth=1
	s_andn2_saveexec_b64 s[12:13], s[12:13]
	s_cbranch_execz .LBB9_125
; %bb.124:                              ;   in Loop: Header=BB9_14 Depth=1
	v_mad_u64_u32 v[2:3], s[14:15], v1, s59, v[42:43]
	v_ashrrev_i32_e32 v3, 31, v2
	v_lshlrev_b64 v[2:3], 3, v[2:3]
	v_mov_b32_e32 v1, s4
	v_add_co_u32_e32 v2, vcc, s26, v2
	v_addc_co_u32_e32 v3, vcc, v1, v3, vcc
	global_load_dwordx2 v[2:3], v[2:3], off
	s_waitcnt vmcnt(0)
	v_cvt_f16_f32_e32 v1, v2
	v_cvt_f16_f32_e32 v2, v3
	v_pack_b32_f16 v1, v1, v2
	v_pk_mul_f16 v1, v25, v1
	ds_write_b32 v111, v1 offset:4224
.LBB9_125:                              ;   in Loop: Header=BB9_14 Depth=1
	s_or_b64 exec, exec, s[12:13]
	v_add_u32_e32 v1, s82, v99
	v_or_b32_e32 v2, s88, v36
	v_cmp_gt_i32_e32 vcc, s20, v1
	v_cmp_gt_i32_e64 s[12:13], s33, v2
	s_and_b64 s[14:15], vcc, s[12:13]
	v_mov_b32_e32 v2, 0
	s_and_saveexec_b64 s[16:17], s[14:15]
	s_cbranch_execz .LBB9_127
; %bb.126:                              ;   in Loop: Header=BB9_14 Depth=1
	v_mad_u64_u32 v[2:3], s[14:15], v1, s59, v[38:39]
	v_ashrrev_i32_e32 v3, 31, v2
	v_lshlrev_b64 v[2:3], 3, v[2:3]
	v_mov_b32_e32 v1, s4
	v_add_co_u32_e32 v2, vcc, s26, v2
	v_addc_co_u32_e32 v3, vcc, v1, v3, vcc
	global_load_dwordx2 v[2:3], v[2:3], off
	s_waitcnt vmcnt(0)
	v_cvt_f16_f32_e32 v1, v2
	v_cvt_f16_f32_e32 v2, v3
	v_pack_b32_f16 v1, v1, v2
	v_pk_mul_f16 v2, v25, v1
.LBB9_127:                              ;   in Loop: Header=BB9_14 Depth=1
	s_or_b64 exec, exec, s[16:17]
	ds_write_b32 v100, v2 offset:128
	s_waitcnt lgkmcnt(0)
	s_barrier
	ds_read2_b64 v[6:9], v101 offset1:4
	ds_read2_b64 v[2:5], v101 offset0:8 offset1:12
	ds_read_b64 v[52:53], v101 offset:128
	s_cmp_gt_i32 s56, 1
	s_waitcnt lgkmcnt(0)
	s_barrier
	s_cbranch_scc1 .LBB9_129
; %bb.128:                              ;   in Loop: Header=BB9_14 Depth=1
	v_add_u32_e32 v1, s82, v109
	v_mul_hi_u32 v11, s28, v1
	v_add_u32_e32 v11, v1, v11
	v_lshrrev_b32_e32 v11, s29, v11
	v_mul_lo_u32 v11, v11, s20
	v_sub_u32_e32 v1, v1, v11
	v_mad_i64_i32 v[54:55], s[4:5], v1, s30, 0
	v_add_u32_e32 v1, s82, v159
	v_mul_hi_u32 v11, s28, v1
	v_add_u32_e32 v11, v1, v11
	v_lshrrev_b32_e32 v11, s29, v11
	v_mul_lo_u32 v11, v11, s20
	v_sub_u32_e32 v1, v1, v11
	v_mad_i64_i32 v[56:57], s[4:5], v1, s30, 0
	s_mov_b64 s[16:17], 0
	s_mov_b32 s5, 0xfeffffff
	s_mov_b32 s14, 0
	;; [unrolled: 1-line block ×3, first 2 shown]
	s_branch .LBB9_130
.LBB9_129:                              ;   in Loop: Header=BB9_14 Depth=1
	s_mov_b64 s[16:17], -1
                                        ; implicit-def: $sgpr4
                                        ; implicit-def: $sgpr14
                                        ; implicit-def: $sgpr5
                                        ; implicit-def: $vgpr54_vgpr55
                                        ; implicit-def: $vgpr56_vgpr57
.LBB9_130:                              ;   in Loop: Header=BB9_14 Depth=1
	s_andn2_b64 vcc, exec, s[16:17]
	v_mov_b32_e32 v178, s4
	v_mov_b32_e32 v51, s14
	;; [unrolled: 1-line block ×12, first 2 shown]
	s_cbranch_vccnz .LBB9_138
; %bb.131:                              ;   in Loop: Header=BB9_14 Depth=1
	v_add_u32_e32 v1, s82, v109
	v_mul_hi_u32 v11, s28, v1
	v_add_u32_e32 v11, v1, v11
	v_lshrrev_b32_e32 v11, s29, v11
	v_mul_lo_u32 v11, v11, s20
	v_sub_u32_e32 v1, v1, v11
	v_add_u32_e32 v11, s82, v159
	v_mul_hi_u32 v19, s28, v11
	v_add_u32_e32 v19, v11, v19
	v_lshrrev_b32_e32 v19, s29, v19
	v_mul_lo_u32 v19, v19, s20
	v_sub_u32_e32 v11, v11, v19
	v_and_b32_e32 v19, 64, v167
	v_add_u32_e32 v19, 64, v19
	v_xor_b32_e32 v49, 32, v167
	v_cmp_lt_i32_e32 vcc, v49, v19
	v_cndmask_b32_e32 v49, v167, v49, vcc
	v_lshlrev_b32_e32 v172, 2, v49
	v_xor_b32_e32 v49, 16, v167
	v_cmp_lt_i32_e32 vcc, v49, v19
	v_cndmask_b32_e32 v19, v167, v49, vcc
	v_lshlrev_b32_e32 v173, 2, v19
	v_mov_b32_e32 v19, s43
	v_mad_i64_i32 v[54:55], s[14:15], v1, s30, 0
	v_mad_i64_i32 v[56:57], s[14:15], v11, s30, 0
	v_addc_co_u32_e64 v49, vcc, v19, v13, s[10:11]
	v_readlane_b32 s10, v188, 29
	s_add_i32 s4, s56, -1
	v_readlane_b32 s11, v188, 30
	s_mov_b32 s14, s10
	v_mad_i64_i32 v[58:59], s[10:11], s14, v1, v[48:49]
	v_mad_i64_i32 v[60:61], s[10:11], s14, v11, v[48:49]
	s_add_u32 s5, s60, s70
	s_addc_u32 s10, s64, s71
	v_mov_b32_e32 v1, s10
	v_add_co_u32_e32 v62, vcc, s5, v144
	v_addc_co_u32_e32 v63, vcc, v145, v1, vcc
	v_add_co_u32_e32 v64, vcc, s5, v146
	v_addc_co_u32_e32 v1, vcc, v147, v1, vcc
	v_mov_b32_e32 v11, s10
	v_add_co_u32_e32 v66, vcc, s5, v148
	s_add_u32 s5, s63, s7
	v_addc_co_u32_e32 v11, vcc, v149, v11, vcc
	s_addc_u32 s6, s57, s6
	v_mov_b32_e32 v13, s6
	v_add_co_u32_e32 v68, vcc, s5, v150
	v_addc_co_u32_e32 v69, vcc, v151, v13, vcc
	v_add_co_u32_e32 v70, vcc, s5, v152
	v_addc_co_u32_e32 v13, vcc, v153, v13, vcc
	v_mov_b32_e32 v19, s6
	v_add_co_u32_e32 v72, vcc, s5, v154
	v_mov_b32_e32 v65, 0
	v_addc_co_u32_e32 v19, vcc, v155, v19, vcc
	v_mov_b32_e32 v49, 0
	v_mov_b32_e32 v180, 0xfeffffff
	s_mov_b32 s5, s4
	v_mov_b32_e32 v171, 0
	v_mov_b32_e32 v170, 0
	;; [unrolled: 1-line block ×9, first 2 shown]
.LBB9_132:                              ;   Parent Loop BB9_14 Depth=1
                                        ; =>  This Inner Loop Header: Depth=2
	v_add_co_u32_e32 v50, vcc, v58, v44
	v_addc_co_u32_e32 v51, vcc, 0, v59, vcc
	global_load_dword v74, v[50:51], off
	v_add_co_u32_e32 v50, vcc, v60, v44
	v_addc_co_u32_e32 v51, vcc, 0, v61, vcc
	global_load_dword v50, v[50:51], off
	v_add_u32_e32 v51, v110, v158
	s_waitcnt vmcnt(1)
	ds_write_b32 v51, v74 offset:11264
	s_waitcnt vmcnt(0)
	ds_write_b32 v51, v50 offset:12416
	s_and_saveexec_b64 s[10:11], s[0:1]
	s_cbranch_execz .LBB9_134
; %bb.133:                              ;   in Loop: Header=BB9_132 Depth=2
	global_load_dwordx4 v[74:77], v[68:69], off
	s_waitcnt vmcnt(0)
	ds_write_b128 v39, v[74:77]
.LBB9_134:                              ;   in Loop: Header=BB9_132 Depth=2
	s_or_b64 exec, exec, s[10:11]
	v_add_co_u32_e32 v50, vcc, v70, v46
	v_addc_co_u32_e32 v51, vcc, 0, v13, vcc
	global_load_dwordx4 v[74:77], v[50:51], off
	v_add_co_u32_e32 v50, vcc, v72, v46
	v_addc_co_u32_e32 v51, vcc, 0, v19, vcc
	v_add_u32_e32 v181, v37, v102
	s_waitcnt vmcnt(0)
	ds_write_b128 v96, v[74:77]
	global_load_dwordx4 v[74:77], v[50:51], off
	s_waitcnt vmcnt(0)
	ds_write_b128 v165, v[74:77]
	s_waitcnt lgkmcnt(0)
	s_barrier
	ds_read2_b64 v[74:77], v181 offset1:4
	ds_read_b64 v[50:51], v181 offset:128
	s_waitcnt lgkmcnt(1)
	v_mfma_f32_16x16x16f16 v[78:81], v[74:75], v[6:7], 0
	v_mfma_f32_16x16x16f16 v[74:77], v[76:77], v[8:9], v[78:81]
	s_nop 7
	s_nop 1
	ds_read2_b64 v[78:81], v181 offset0:8 offset1:12
	s_waitcnt lgkmcnt(0)
	v_mfma_f32_16x16x16f16 v[74:77], v[78:79], v[2:3], v[74:77]
	v_mfma_f32_16x16x16f16 v[74:77], v[80:81], v[4:5], v[74:77]
	v_mfma_f32_16x16x16f16 v[74:77], v[50:51], v[52:53], v[74:77]
	v_add_u32_e32 v50, 0x1000, v181
	ds_read2_b64 v[78:81], v50 offset0:192 offset1:196
	s_waitcnt lgkmcnt(0)
	v_mfma_f32_16x16x16f16 v[182:185], v[78:79], v[6:7], 0
	v_mfma_f32_16x16x16f16 v[78:81], v[80:81], v[8:9], v[182:185]
	s_nop 7
	s_nop 1
	ds_read2_b64 v[182:185], v50 offset0:200 offset1:204
	s_waitcnt lgkmcnt(0)
	v_mfma_f32_16x16x16f16 v[78:81], v[182:183], v[2:3], v[78:81]
	ds_read_b64 v[50:51], v181 offset:5760
	s_waitcnt lgkmcnt(0)
	s_barrier
	v_mfma_f32_16x16x16f16 v[78:81], v[184:185], v[4:5], v[78:81]
	v_mfma_f32_16x16x16f16 v[182:185], v[50:51], v[52:53], v[78:81]
	v_add_u32_e32 v50, 0x2c00, v41
	ds_read2_b32 v[50:51], v50 offset1:1
	ds_read_b32 v181, v103 offset:11264
	ds_read_b32 v186, v104 offset:11264
	s_waitcnt lgkmcnt(2)
	s_nop 4
	v_cvt_f32_f16_e32 v78, v51
	v_cvt_f32_f16_sdwa v79, v51 dst_sel:DWORD dst_unused:UNUSED_PAD src0_sel:WORD_1
	v_pk_add_f32 v[76:77], v[76:77], v[78:79]
	v_cvt_f32_f16_e32 v78, v50
	v_cvt_f32_f16_sdwa v79, v50 dst_sel:DWORD dst_unused:UNUSED_PAD src0_sel:WORD_1
	v_add_f32_e32 v51, 0x40051340, v76
	v_add_f32_e32 v187, 0x40051340, v77
	v_pk_add_f32 v[80:81], v[74:75], v[78:79]
	v_add_f32_e32 v50, 0x40051340, v80
	v_add_f32_e32 v74, 0x40051340, v81
	v_max3_f32 v50, v180, v50, v74
	v_max3_f32 v187, v50, v51, v187
	s_waitcnt lgkmcnt(0)
	v_cvt_f32_f16_sdwa v51, v186 dst_sel:DWORD dst_unused:UNUSED_PAD src0_sel:WORD_1
	v_cvt_f32_f16_e32 v50, v186
	v_pk_add_f32 v[74:75], v[184:185], v[50:51]
	v_cvt_f32_f16_sdwa v51, v181 dst_sel:DWORD dst_unused:UNUSED_PAD src0_sel:WORD_1
	v_cvt_f32_f16_e32 v50, v181
	v_add_f32_e32 v184, 0x40051340, v74
	v_add_f32_e32 v185, 0x40051340, v75
	v_pk_add_f32 v[78:79], v[182:183], v[50:51]
	v_add_f32_e32 v50, 0x40051340, v78
	v_add_f32_e32 v51, 0x40051340, v79
	v_max3_f32 v50, v187, v50, v51
	v_max3_f32 v50, v50, v184, v185
	ds_bpermute_b32 v51, v172, v50
	s_waitcnt lgkmcnt(0)
	v_max_f32_e32 v51, v51, v51
	v_max_f32_e32 v50, v50, v51
	ds_bpermute_b32 v51, v173, v50
	s_and_saveexec_b64 s[10:11], s[0:1]
	s_cbranch_execz .LBB9_136
; %bb.135:                              ;   in Loop: Header=BB9_132 Depth=2
	global_load_dwordx4 v[182:185], v[62:63], off
	s_waitcnt vmcnt(0)
	ds_write_b128 v39, v[182:185]
.LBB9_136:                              ;   in Loop: Header=BB9_132 Depth=2
	s_or_b64 exec, exec, s[10:11]
	s_waitcnt lgkmcnt(0)
	v_max_f32_e32 v51, v51, v51
	v_max_f32_e32 v50, v50, v50
	;; [unrolled: 1-line block ×3, first 2 shown]
	v_pk_add_f32 v[80:81], v[80:81], v[50:51] op_sel_hi:[1,0] neg_lo:[0,1] neg_hi:[0,1]
	v_mul_f32_e32 v51, 0x3fb8aa3b, v81
	v_fma_f32 v181, v81, s31, -v51
	v_rndne_f32_e32 v182, v51
	v_fmac_f32_e32 v181, 0x32a5705f, v81
	v_sub_f32_e32 v51, v51, v182
	v_add_f32_e32 v51, v51, v181
	v_exp_f32_e32 v51, v51
	v_cvt_i32_f32_e32 v181, v182
	v_cmp_ngt_f32_e32 vcc, s55, v81
	s_add_i32 s5, s5, -1
	s_cmp_lg_u32 s5, 0
	v_ldexp_f32 v51, v51, v181
	v_cndmask_b32_e32 v51, 0, v51, vcc
	v_cmp_nlt_f32_e32 vcc, s87, v81
	v_cndmask_b32_e32 v181, v168, v51, vcc
	v_mul_f32_e32 v51, 0x3fb8aa3b, v80
	v_fma_f32 v81, v80, s31, -v51
	v_rndne_f32_e32 v182, v51
	v_fmac_f32_e32 v81, 0x32a5705f, v80
	v_sub_f32_e32 v51, v51, v182
	v_add_f32_e32 v51, v51, v81
	v_exp_f32_e32 v51, v51
	v_cvt_i32_f32_e32 v81, v182
	v_cmp_ngt_f32_e32 vcc, s55, v80
	v_ldexp_f32 v51, v51, v81
	v_cndmask_b32_e32 v51, 0, v51, vcc
	v_cmp_nlt_f32_e32 vcc, s87, v80
	v_pk_add_f32 v[76:77], v[76:77], v[50:51] op_sel_hi:[1,0] neg_lo:[0,1] neg_hi:[0,1]
	v_cndmask_b32_e32 v182, v168, v51, vcc
	v_mul_f32_e32 v51, 0x3fb8aa3b, v77
	v_fma_f32 v80, v77, s31, -v51
	v_rndne_f32_e32 v81, v51
	v_fmac_f32_e32 v80, 0x32a5705f, v77
	v_sub_f32_e32 v51, v51, v81
	v_add_f32_e32 v51, v51, v80
	v_exp_f32_e32 v51, v51
	v_cvt_i32_f32_e32 v80, v81
	v_cmp_ngt_f32_e32 vcc, s55, v77
	v_ldexp_f32 v51, v51, v80
	v_cndmask_b32_e32 v51, 0, v51, vcc
	v_cmp_nlt_f32_e32 vcc, s87, v77
	v_cndmask_b32_e32 v183, v168, v51, vcc
	v_mul_f32_e32 v51, 0x3fb8aa3b, v76
	v_fma_f32 v77, v76, s31, -v51
	v_rndne_f32_e32 v80, v51
	v_fmac_f32_e32 v77, 0x32a5705f, v76
	v_sub_f32_e32 v51, v51, v80
	v_add_f32_e32 v51, v51, v77
	v_exp_f32_e32 v51, v51
	v_cvt_i32_f32_e32 v77, v80
	v_cmp_ngt_f32_e32 vcc, s55, v76
	v_ldexp_f32 v51, v51, v77
	v_cndmask_b32_e32 v51, 0, v51, vcc
	v_cmp_nlt_f32_e32 vcc, s87, v76
	v_pk_add_f32 v[76:77], v[78:79], v[50:51] op_sel_hi:[1,0] neg_lo:[0,1] neg_hi:[0,1]
	v_cndmask_b32_e32 v184, v168, v51, vcc
	v_mul_f32_e32 v51, 0x3fb8aa3b, v77
	v_fma_f32 v78, v77, s31, -v51
	v_rndne_f32_e32 v79, v51
	v_fmac_f32_e32 v78, 0x32a5705f, v77
	v_sub_f32_e32 v51, v51, v79
	v_add_f32_e32 v51, v51, v78
	v_exp_f32_e32 v51, v51
	v_cvt_i32_f32_e32 v78, v79
	v_cmp_ngt_f32_e32 vcc, s55, v77
	;; [unrolled: 27-line block ×3, first 2 shown]
	v_ldexp_f32 v51, v51, v78
	v_cndmask_b32_e32 v51, 0, v51, vcc
	v_cmp_nlt_f32_e32 vcc, s87, v75
	v_cndmask_b32_e32 v75, v168, v51, vcc
	v_mul_f32_e32 v51, 0x3fb8aa3b, v74
	v_fma_f32 v78, v74, s31, -v51
	v_rndne_f32_e32 v79, v51
	v_fmac_f32_e32 v78, 0x32a5705f, v74
	v_sub_f32_e32 v51, v51, v79
	v_add_f32_e32 v51, v51, v78
	v_exp_f32_e32 v51, v51
	v_cvt_i32_f32_e32 v78, v79
	v_cmp_ngt_f32_e32 vcc, s55, v74
	v_ldexp_f32 v51, v51, v78
	v_cndmask_b32_e32 v51, 0, v51, vcc
	v_cmp_nlt_f32_e32 vcc, s87, v74
	v_sub_f32_e32 v74, v180, v50
	v_mul_f32_e32 v78, 0x3fb8aa3b, v74
	v_fma_f32 v79, v74, s31, -v78
	v_rndne_f32_e32 v80, v78
	v_fmac_f32_e32 v79, 0x32a5705f, v74
	v_sub_f32_e32 v78, v78, v80
	v_add_f32_e32 v78, v78, v79
	v_exp_f32_e32 v78, v78
	v_cvt_i32_f32_e32 v79, v80
	v_cndmask_b32_e32 v185, v168, v51, vcc
	v_add_f32_e32 v51, v182, v181
	v_add_f32_e32 v51, v184, v51
	;; [unrolled: 1-line block ×4, first 2 shown]
	v_ldexp_f32 v78, v78, v79
	v_cmp_ngt_f32_e32 vcc, s55, v74
	v_add_f32_e32 v51, v77, v51
	v_cndmask_b32_e32 v78, 0, v78, vcc
	v_cmp_nlt_f32_e32 vcc, s87, v74
	v_add_f32_e32 v51, v185, v51
	v_cndmask_b32_e32 v78, v168, v78, vcc
	v_cmp_le_f32_e32 vcc, s8, v74
	v_add_f32_e32 v51, v75, v51
	v_cndmask_b32_e32 v74, 0, v78, vcc
	v_fmac_f32_e32 v51, v49, v74
	v_cvt_f16_f32_e32 v49, v74
	v_cvt_f16_f32_e32 v74, v77
	;; [unrolled: 1-line block ×4, first 2 shown]
	v_pk_mul_f16 v79, v49, v176 op_sel_hi:[0,1]
	v_add_co_u32_e32 v176, vcc, v64, v46
	v_pk_mul_f16 v80, v49, v177 op_sel_hi:[0,1]
	v_addc_co_u32_e32 v177, vcc, 0, v1, vcc
	v_pk_mul_f16 v170, v49, v170 op_sel_hi:[0,1]
	v_pk_mul_f16 v169, v49, v169 op_sel_hi:[0,1]
	;; [unrolled: 1-line block ×8, first 2 shown]
	global_load_dwordx4 v[176:179], v[176:177], off
	v_pack_b32_f16 v74, v76, v74
	v_cvt_f16_f32_e32 v76, v185
	v_cvt_f16_f32_e32 v77, v182
	;; [unrolled: 1-line block ×3, first 2 shown]
	v_pack_b32_f16 v75, v76, v75
	v_cvt_f16_f32_e32 v76, v181
	v_pack_b32_f16 v76, v77, v76
	v_cvt_f16_f32_e32 v77, v183
	v_pack_b32_f16 v77, v171, v77
	s_waitcnt vmcnt(0)
	ds_write_b128 v96, v[176:179]
	v_add_co_u32_e32 v176, vcc, v66, v46
	v_addc_co_u32_e32 v177, vcc, 0, v11, vcc
	global_load_dwordx4 v[176:179], v[176:177], off
	v_add_co_u32_e32 v58, vcc, s61, v58
	v_addc_co_u32_e32 v59, vcc, 0, v59, vcc
	v_add_co_u32_e32 v60, vcc, s61, v60
	v_addc_co_u32_e32 v61, vcc, 0, v61, vcc
	v_add_co_u32_e32 v62, vcc, s72, v62
	s_waitcnt vmcnt(0)
	ds_write_b128 v165, v[176:179]
	s_waitcnt lgkmcnt(0)
	s_barrier
	ds_read_u16 v174, v82 offset:176
	ds_read_u16 v171, v82 offset:352
	v_cvt_f32_f16_e32 v178, v169
	v_cvt_f32_f16_sdwa v179, v169 dst_sel:DWORD dst_unused:UNUSED_PAD src0_sel:WORD_1
	ds_read_u16 v169, v83
	ds_read_u16 v181, v83 offset:32
	v_cvt_f32_f16_e32 v176, v170
	v_cvt_f32_f16_sdwa v177, v170 dst_sel:DWORD dst_unused:UNUSED_PAD src0_sel:WORD_1
	s_waitcnt lgkmcnt(1)
	v_perm_b32 v171, v169, v171, s9
	ds_read_u16 v169, v73
	ds_read_u16 v182, v73 offset:32
	ds_read_u16 v183, v73 offset:5632
	;; [unrolled: 1-line block ×5, first 2 shown]
	s_waitcnt lgkmcnt(5)
	v_perm_b32 v170, v174, v169, s9
	s_nop 1
	v_mfma_f32_16x16x16f16 v[176:179], v[170:171], v[76:77], v[176:179]
	s_nop 7
	s_nop 2
	v_cvt_f16_f32_e32 v170, v177
	v_cvt_f16_f32_e32 v171, v178
	;; [unrolled: 1-line block ×4, first 2 shown]
	v_cvt_f32_f16_e32 v177, v170
	v_cvt_f32_f16_e32 v178, v171
	s_waitcnt lgkmcnt(0)
	v_perm_b32 v171, v186, v185, s9
	v_perm_b32 v170, v184, v183, s9
	v_cvt_f32_f16_e32 v176, v169
	v_cvt_f32_f16_e32 v179, v174
	s_nop 1
	v_mfma_f32_16x16x16f16 v[176:179], v[170:171], v[74:75], v[176:179]
	s_nop 7
	s_nop 2
	v_cvt_f16_f32_e32 v169, v176
	v_cvt_f16_f32_e32 v170, v177
	;; [unrolled: 1-line block ×4, first 2 shown]
	v_cvt_f32_f16_e32 v176, v180
	v_pack_b32_f16 v170, v169, v170
	v_cvt_f32_f16_sdwa v177, v180 dst_sel:DWORD dst_unused:UNUSED_PAD src0_sel:WORD_1
	v_pack_b32_f16 v169, v171, v174
	ds_read_u16 v171, v161 offset:176
	ds_read_u16 v174, v161 offset:352
	v_cvt_f32_f16_e32 v178, v65
	v_cvt_f32_f16_sdwa v179, v65 dst_sel:DWORD dst_unused:UNUSED_PAD src0_sel:WORD_1
	s_waitcnt lgkmcnt(1)
	v_perm_b32 v180, v171, v182, s9
	s_waitcnt lgkmcnt(0)
	v_perm_b32 v181, v181, v174, s9
	s_nop 1
	v_mfma_f32_16x16x16f16 v[176:179], v[180:181], v[76:77], v[176:179]
	ds_read_u16 v180, v84 offset:5632
	ds_read_u16 v182, v85 offset:176
	;; [unrolled: 1-line block ×4, first 2 shown]
	s_waitcnt lgkmcnt(2)
	v_perm_b32 v180, v182, v180, s9
	s_waitcnt lgkmcnt(0)
	v_perm_b32 v181, v183, v181, s9
	s_nop 2
	v_cvt_f16_f32_e32 v65, v176
	v_cvt_f16_f32_e32 v171, v177
	;; [unrolled: 1-line block ×4, first 2 shown]
	v_cvt_f32_f16_e32 v176, v65
	v_cvt_f32_f16_e32 v177, v171
	;; [unrolled: 1-line block ×4, first 2 shown]
	s_nop 1
	v_mfma_f32_16x16x16f16 v[176:179], v[180:181], v[74:75], v[176:179]
	s_nop 7
	s_nop 2
	v_cvt_f16_f32_e32 v65, v176
	v_cvt_f16_f32_e32 v174, v178
	;; [unrolled: 1-line block ×3, first 2 shown]
	ds_read_u16 v178, v73 offset:64
	ds_read_u16 v180, v162 offset:176
	;; [unrolled: 1-line block ×4, first 2 shown]
	v_cvt_f16_f32_e32 v171, v177
	v_cvt_f32_f16_sdwa v177, v81 dst_sel:DWORD dst_unused:UNUSED_PAD src0_sel:WORD_1
	s_waitcnt lgkmcnt(2)
	v_perm_b32 v178, v180, v178, s9
	s_waitcnt lgkmcnt(0)
	v_perm_b32 v179, v181, v179, s9
	v_pack_b32_f16 v65, v65, v171
	v_pack_b32_f16 v171, v174, v176
	v_cvt_f32_f16_e32 v174, v175
	v_cvt_f32_f16_sdwa v175, v175 dst_sel:DWORD dst_unused:UNUSED_PAD src0_sel:WORD_1
	v_cvt_f32_f16_e32 v176, v81
	s_nop 1
	v_mfma_f32_16x16x16f16 v[174:177], v[178:179], v[76:77], v[174:177]
	ds_read_u16 v178, v87 offset:5632
	ds_read_u16 v180, v88 offset:176
	;; [unrolled: 1-line block ×4, first 2 shown]
	s_waitcnt lgkmcnt(2)
	v_perm_b32 v178, v180, v178, s9
	s_waitcnt lgkmcnt(0)
	v_perm_b32 v179, v181, v179, s9
	s_nop 2
	v_cvt_f16_f32_e32 v81, v174
	v_cvt_f16_f32_e32 v175, v175
	v_cvt_f16_f32_e32 v176, v176
	v_cvt_f16_f32_e32 v177, v177
	v_cvt_f32_f16_e32 v174, v81
	v_cvt_f32_f16_e32 v175, v175
	;; [unrolled: 1-line block ×4, first 2 shown]
	s_nop 1
	v_mfma_f32_16x16x16f16 v[174:177], v[178:179], v[74:75], v[174:177]
	v_cvt_f32_f16_e32 v178, v79
	v_cvt_f32_f16_sdwa v179, v79 dst_sel:DWORD dst_unused:UNUSED_PAD src0_sel:WORD_1
	s_nop 7
	s_nop 0
	v_cvt_f16_f32_e32 v81, v174
	v_cvt_f16_f32_e32 v174, v175
	;; [unrolled: 1-line block ×4, first 2 shown]
	v_pack_b32_f16 v175, v81, v174
	ds_read_u16 v180, v73 offset:96
	ds_read_u16 v181, v163 offset:176
	ds_read_u16 v81, v163 offset:352
	ds_read_u16 v182, v83 offset:96
	v_pack_b32_f16 v174, v176, v177
	v_cvt_f32_f16_e32 v176, v80
	v_cvt_f32_f16_sdwa v177, v80 dst_sel:DWORD dst_unused:UNUSED_PAD src0_sel:WORD_1
	s_waitcnt lgkmcnt(2)
	v_perm_b32 v80, v181, v180, s9
	s_waitcnt lgkmcnt(0)
	v_perm_b32 v81, v182, v81, s9
	ds_read_u16 v180, v90 offset:5632
	ds_read_u16 v181, v91 offset:176
	;; [unrolled: 1-line block ×4, first 2 shown]
	v_mfma_f32_16x16x16f16 v[176:179], v[80:81], v[76:77], v[176:179]
	s_nop 7
	s_nop 2
	v_cvt_f16_f32_e32 v80, v177
	v_cvt_f16_f32_e32 v81, v178
	;; [unrolled: 1-line block ×4, first 2 shown]
	v_cvt_f32_f16_e32 v177, v80
	v_cvt_f32_f16_e32 v178, v81
	s_waitcnt lgkmcnt(0)
	v_perm_b32 v81, v183, v182, s9
	v_perm_b32 v80, v181, v180, s9
	v_cvt_f32_f16_e32 v176, v79
	v_cvt_f32_f16_e32 v179, v179
	;; [unrolled: 1-line block ×3, first 2 shown]
	v_cvt_f32_f16_sdwa v181, v49 dst_sel:DWORD dst_unused:UNUSED_PAD src0_sel:WORD_1
	v_mfma_f32_16x16x16f16 v[176:179], v[80:81], v[74:75], v[176:179]
	s_nop 7
	s_nop 2
	v_cvt_f16_f32_e32 v79, v176
	v_cvt_f16_f32_e32 v80, v177
	;; [unrolled: 1-line block ×4, first 2 shown]
	v_cvt_f32_f16_e32 v178, v78
	v_pack_b32_f16 v177, v79, v80
	v_cvt_f32_f16_sdwa v179, v78 dst_sel:DWORD dst_unused:UNUSED_PAD src0_sel:WORD_1
	v_pack_b32_f16 v176, v81, v176
	ds_read_u16 v80, v73 offset:128
	ds_read_u16 v81, v164 offset:176
	;; [unrolled: 1-line block ×4, first 2 shown]
	s_waitcnt lgkmcnt(2)
	v_perm_b32 v78, v81, v80, s9
	s_waitcnt lgkmcnt(0)
	v_perm_b32 v79, v182, v79, s9
	s_nop 1
	v_mfma_f32_16x16x16f16 v[76:79], v[78:79], v[76:77], v[178:181]
	ds_read_u16 v80, v93 offset:5632
	s_nop 5
	ds_read_u16 v178, v94 offset:176
	ds_read_u16 v81, v94 offset:352
	;; [unrolled: 1-line block ×3, first 2 shown]
	s_waitcnt lgkmcnt(0)
	s_barrier
	v_perm_b32 v80, v178, v80, s9
	v_perm_b32 v81, v179, v81, s9
	v_cvt_f16_f32_e32 v49, v76
	v_cvt_f16_f32_e32 v77, v77
	;; [unrolled: 1-line block ×4, first 2 shown]
	v_cvt_f32_f16_e32 v76, v49
	v_cvt_f32_f16_e32 v77, v77
	;; [unrolled: 1-line block ×4, first 2 shown]
	s_nop 1
	v_mfma_f32_16x16x16f16 v[74:77], v[80:81], v[74:75], v[76:79]
	s_nop 7
	s_nop 2
	v_cvt_f16_f32_e32 v49, v74
	v_cvt_f16_f32_e32 v74, v75
	;; [unrolled: 1-line block ×4, first 2 shown]
	v_pack_b32_f16 v179, v49, v74
	v_mov_b32_e32 v49, s73
	v_addc_co_u32_e32 v63, vcc, v63, v49, vcc
	v_add_co_u32_e32 v64, vcc, s72, v64
	v_addc_co_u32_e32 v1, vcc, v1, v49, vcc
	v_add_co_u32_e32 v66, vcc, s72, v66
	;; [unrolled: 2-line block ×3, first 2 shown]
	v_mov_b32_e32 v49, s75
	v_addc_co_u32_e32 v69, vcc, v69, v49, vcc
	v_add_co_u32_e32 v70, vcc, s74, v70
	v_addc_co_u32_e32 v13, vcc, v13, v49, vcc
	v_add_co_u32_e32 v72, vcc, s74, v72
	v_pack_b32_f16 v178, v75, v76
	v_addc_co_u32_e32 v19, vcc, v19, v49, vcc
	s_cbranch_scc0 .LBB9_138
; %bb.137:                              ;   in Loop: Header=BB9_132 Depth=2
	v_mov_b32_e32 v49, v51
	v_mov_b32_e32 v180, v50
	s_branch .LBB9_132
.LBB9_138:                              ;   in Loop: Header=BB9_14 Depth=1
	s_lshl_b32 s64, s4, 6
	s_lshl_b64 s[4:5], s[64:65], 1
	v_mov_b32_e32 v1, s5
	v_add_co_u32_e32 v11, vcc, s4, v48
	v_addc_co_u32_e32 v1, vcc, v43, v1, vcc
	v_lshlrev_b32_e32 v13, 1, v26
	v_add_co_u32_e32 v11, vcc, v11, v13
	v_addc_co_u32_e32 v1, vcc, 0, v1, vcc
	v_lshlrev_b64 v[48:49], 1, v[54:55]
	v_add_co_u32_e32 v48, vcc, v11, v48
	v_addc_co_u32_e32 v49, vcc, v1, v49, vcc
	v_lshlrev_b64 v[54:55], 1, v[56:57]
	v_add_co_u32_e32 v54, vcc, v11, v54
	v_addc_co_u32_e32 v55, vcc, v1, v55, vcc
	global_load_dword v1, v[48:49], off
	global_load_dword v11, v[54:55], off
	s_mul_i32 s5, s23, s64
	s_mul_hi_u32 s6, s22, s64
	s_mul_i32 s4, s22, s64
	s_add_i32 s5, s6, s5
	s_lshl_b64 s[6:7], s[4:5], 2
	s_add_u32 s5, s69, s6
	v_add_u32_e32 v13, v110, v158
	s_addc_u32 s4, s68, s7
	s_waitcnt vmcnt(1)
	ds_write_b32 v13, v1 offset:11264
	s_waitcnt vmcnt(0)
	ds_write_b32 v13, v11 offset:12416
	s_and_saveexec_b64 s[10:11], s[0:1]
	s_cbranch_execz .LBB9_140
; %bb.139:                              ;   in Loop: Header=BB9_14 Depth=1
	v_mov_b32_e32 v1, s4
	v_add_co_u32_e32 v11, vcc, s5, v20
	v_addc_co_u32_e32 v1, vcc, v1, v21, vcc
	v_lshlrev_b32_e32 v13, 2, v10
	v_add_co_u32_e32 v48, vcc, v11, v13
	v_addc_co_u32_e32 v49, vcc, 0, v1, vcc
	global_load_dwordx4 v[54:57], v[48:49], off offset:128
	s_waitcnt vmcnt(0)
	ds_write_b128 v97, v[54:57]
.LBB9_140:                              ;   in Loop: Header=BB9_14 Depth=1
	s_or_b64 exec, exec, s[10:11]
	v_add_co_u32_e32 v11, vcc, s5, v32
	v_mov_b32_e32 v1, s4
	v_addc_co_u32_e32 v13, vcc, v1, v33, vcc
	v_lshlrev_b32_e32 v1, 2, v12
	v_add_co_u32_e32 v48, vcc, v11, v1
	v_addc_co_u32_e32 v49, vcc, 0, v13, vcc
	global_load_dwordx4 v[54:57], v[48:49], off
	v_add_co_u32_e32 v11, vcc, s5, v34
	v_mov_b32_e32 v13, s4
	v_addc_co_u32_e32 v13, vcc, v13, v35, vcc
	v_add_co_u32_e32 v48, vcc, v11, v1
	v_addc_co_u32_e32 v49, vcc, 0, v13, vcc
	v_add_u32_e32 v11, v37, v102
	v_add_u32_e32 v13, 0x1000, v11
	s_mul_i32 s4, s64, s19
	s_mul_hi_u32 s5, s64, s18
	s_add_i32 s5, s5, s4
	s_mul_i32 s4, s64, s18
	s_lshl_b64 s[6:7], s[4:5], 2
	s_add_u32 s5, s66, s6
	s_addc_u32 s4, s67, s7
	s_waitcnt vmcnt(0)
	ds_write_b128 v96, v[54:57]
	global_load_dwordx4 v[54:57], v[48:49], off
	s_waitcnt vmcnt(0)
	ds_write_b128 v165, v[54:57]
	s_waitcnt lgkmcnt(0)
	s_barrier
	ds_read2_b64 v[54:57], v11 offset1:4
	s_waitcnt lgkmcnt(0)
	v_mfma_f32_16x16x16f16 v[58:61], v[54:55], v[6:7], 0
	ds_read_b64 v[48:49], v11 offset:128
	v_mfma_f32_16x16x16f16 v[54:57], v[56:57], v[8:9], v[58:61]
	s_nop 7
	s_nop 0
	ds_read2_b64 v[58:61], v11 offset0:8 offset1:12
	s_waitcnt lgkmcnt(0)
	v_mfma_f32_16x16x16f16 v[54:57], v[58:59], v[2:3], v[54:57]
	v_mfma_f32_16x16x16f16 v[54:57], v[60:61], v[4:5], v[54:57]
	ds_read2_b64 v[58:61], v13 offset0:192 offset1:196
	s_waitcnt lgkmcnt(0)
	v_mfma_f32_16x16x16f16 v[74:77], v[58:59], v[6:7], 0
	v_mfma_f32_16x16x16f16 v[6:9], v[60:61], v[8:9], v[74:77]
	;; [unrolled: 4-line block ×3, first 2 shown]
	s_nop 7
	s_nop 1
	ds_read_b64 v[6:7], v11 offset:5760
	s_waitcnt lgkmcnt(0)
	v_mfma_f32_16x16x16f16 v[58:61], v[6:7], v[52:53], v[2:5]
	s_nop 6
	v_and_b32_e32 v3, 64, v167
	v_add_u32_e32 v2, 0x2c00, v41
	v_add_u32_e32 v6, 64, v3
	v_xor_b32_e32 v3, 32, v167
	s_barrier
	v_mfma_f32_16x16x16f16 v[54:57], v[48:49], v[52:53], v[54:57]
	ds_read2_b32 v[4:5], v2 offset1:1
	ds_read_b32 v2, v103 offset:11264
	ds_read_b32 v11, v104 offset:11264
	v_cmp_lt_i32_e32 vcc, v3, v6
	v_xor_b32_e32 v7, 16, v167
	v_cndmask_b32_e32 v3, v167, v3, vcc
	v_cmp_lt_i32_e32 vcc, v7, v6
	v_cndmask_b32_e32 v6, v167, v7, vcc
	v_lshlrev_b32_e32 v13, 2, v6
	s_waitcnt lgkmcnt(2)
	v_cvt_f32_f16_e32 v6, v5
	v_cvt_f32_f16_sdwa v7, v5 dst_sel:DWORD dst_unused:UNUSED_PAD src0_sel:WORD_1
	v_lshlrev_b32_e32 v3, 2, v3
	v_pk_add_f32 v[8:9], v[56:57], v[6:7]
	v_cvt_f32_f16_e32 v6, v4
	v_cvt_f32_f16_sdwa v7, v4 dst_sel:DWORD dst_unused:UNUSED_PAD src0_sel:WORD_1
	v_add_f32_e32 v5, 0x40051340, v8
	v_add_f32_e32 v19, 0x40051340, v9
	v_pk_add_f32 v[48:49], v[54:55], v[6:7]
	v_add_f32_e32 v4, 0x40051340, v48
	v_add_f32_e32 v6, 0x40051340, v49
	v_max3_f32 v4, v50, v4, v6
	s_waitcnt lgkmcnt(1)
	v_cvt_f32_f16_sdwa v7, v2 dst_sel:DWORD dst_unused:UNUSED_PAD src0_sel:WORD_1
	v_cvt_f32_f16_e32 v6, v2
	v_max3_f32 v19, v4, v5, v19
	s_waitcnt lgkmcnt(0)
	v_cvt_f32_f16_sdwa v5, v11 dst_sel:DWORD dst_unused:UNUSED_PAD src0_sel:WORD_1
	v_cvt_f32_f16_e32 v4, v11
	v_pk_add_f32 v[6:7], v[58:59], v[6:7]
	v_add_f32_e32 v2, 0x40051340, v6
	v_add_f32_e32 v52, 0x40051340, v7
	v_pk_add_f32 v[4:5], v[60:61], v[4:5]
	v_add_f32_e32 v11, 0x40051340, v4
	v_add_f32_e32 v43, 0x40051340, v5
	v_max3_f32 v2, v19, v2, v52
	v_max3_f32 v2, v2, v11, v43
	ds_bpermute_b32 v11, v3, v2
	s_waitcnt lgkmcnt(0)
	v_max_f32_e32 v11, v11, v11
	v_max_f32_e32 v2, v2, v11
	ds_bpermute_b32 v11, v13, v2
	s_and_saveexec_b64 s[10:11], s[0:1]
	s_cbranch_execz .LBB9_142
; %bb.141:                              ;   in Loop: Header=BB9_14 Depth=1
	v_mov_b32_e32 v19, s4
	v_add_co_u32_e32 v43, vcc, s5, v16
	v_addc_co_u32_e32 v19, vcc, v19, v17, vcc
	v_lshlrev_b32_e32 v52, 2, v10
	v_add_co_u32_e32 v52, vcc, v43, v52
	v_addc_co_u32_e32 v53, vcc, 0, v19, vcc
	global_load_dwordx4 v[52:55], v[52:53], off offset:128
	s_waitcnt vmcnt(0)
	ds_write_b128 v39, v[52:55]
.LBB9_142:                              ;   in Loop: Header=BB9_14 Depth=1
	s_or_b64 exec, exec, s[10:11]
	s_waitcnt lgkmcnt(0)
	v_max_f32_e32 v11, v11, v11
	v_max_f32_e32 v2, v2, v2
	;; [unrolled: 1-line block ×3, first 2 shown]
	v_pk_add_f32 v[48:49], v[48:49], v[2:3] op_sel_hi:[1,0] neg_lo:[0,1] neg_hi:[0,1]
	v_mul_f32_e32 v11, 0x3fb8aa3b, v49
	v_fma_f32 v19, v49, s31, -v11
	v_rndne_f32_e32 v43, v11
	v_fmac_f32_e32 v19, 0x32a5705f, v49
	v_sub_f32_e32 v11, v11, v43
	v_add_f32_e32 v11, v11, v19
	v_exp_f32_e32 v11, v11
	v_cvt_i32_f32_e32 v19, v43
	v_cmp_ngt_f32_e32 vcc, s55, v49
	v_pk_add_f32 v[8:9], v[8:9], v[2:3] op_sel_hi:[1,0] neg_lo:[0,1] neg_hi:[0,1]
	v_pk_add_f32 v[6:7], v[6:7], v[2:3] op_sel_hi:[1,0] neg_lo:[0,1] neg_hi:[0,1]
	v_ldexp_f32 v11, v11, v19
	v_cndmask_b32_e32 v11, 0, v11, vcc
	v_cmp_nlt_f32_e32 vcc, s87, v49
	v_cndmask_b32_e32 v49, v168, v11, vcc
	v_mul_f32_e32 v11, 0x3fb8aa3b, v48
	v_fma_f32 v19, v48, s31, -v11
	v_rndne_f32_e32 v43, v11
	v_fmac_f32_e32 v19, 0x32a5705f, v48
	v_sub_f32_e32 v11, v11, v43
	v_add_f32_e32 v11, v11, v19
	v_exp_f32_e32 v11, v11
	v_cvt_i32_f32_e32 v19, v43
	v_cmp_ngt_f32_e32 vcc, s55, v48
	v_pk_add_f32 v[4:5], v[4:5], v[2:3] op_sel_hi:[1,0] neg_lo:[0,1] neg_hi:[0,1]
	s_cmp_eq_u64 s[76:77], 0
	v_ldexp_f32 v11, v11, v19
	v_cndmask_b32_e32 v11, 0, v11, vcc
	v_cmp_nlt_f32_e32 vcc, s87, v48
	v_cndmask_b32_e32 v48, v168, v11, vcc
	v_mul_f32_e32 v11, 0x3fb8aa3b, v9
	v_fma_f32 v19, v9, s31, -v11
	v_rndne_f32_e32 v43, v11
	v_fmac_f32_e32 v19, 0x32a5705f, v9
	v_sub_f32_e32 v11, v11, v43
	v_add_f32_e32 v11, v11, v19
	v_exp_f32_e32 v11, v11
	v_cvt_i32_f32_e32 v19, v43
	v_cmp_ngt_f32_e32 vcc, s55, v9
	v_ldexp_f32 v11, v11, v19
	v_cndmask_b32_e32 v11, 0, v11, vcc
	v_cmp_nlt_f32_e32 vcc, s87, v9
	v_mul_f32_e32 v9, 0x3fb8aa3b, v8
	v_cndmask_b32_e32 v54, v168, v11, vcc
	v_fma_f32 v11, v8, s31, -v9
	v_rndne_f32_e32 v19, v9
	v_fmac_f32_e32 v11, 0x32a5705f, v8
	v_sub_f32_e32 v9, v9, v19
	v_add_f32_e32 v9, v9, v11
	v_exp_f32_e32 v9, v9
	v_cvt_i32_f32_e32 v11, v19
	v_cmp_ngt_f32_e32 vcc, s55, v8
	v_ldexp_f32 v9, v9, v11
	v_cndmask_b32_e32 v9, 0, v9, vcc
	v_cmp_nlt_f32_e32 vcc, s87, v8
	v_mul_f32_e32 v8, 0x3fb8aa3b, v7
	v_cndmask_b32_e32 v55, v168, v9, vcc
	;; [unrolled: 13-line block ×4, first 2 shown]
	v_fma_f32 v7, v5, s31, -v6
	v_rndne_f32_e32 v8, v6
	v_fmac_f32_e32 v7, 0x32a5705f, v5
	v_sub_f32_e32 v6, v6, v8
	v_add_f32_e32 v6, v6, v7
	v_exp_f32_e32 v6, v6
	v_cvt_i32_f32_e32 v7, v8
	v_cmp_ngt_f32_e32 vcc, s55, v5
	v_ldexp_f32 v6, v6, v7
	v_cndmask_b32_e32 v6, 0, v6, vcc
	v_cmp_nlt_f32_e32 vcc, s87, v5
	v_cndmask_b32_e32 v5, v168, v6, vcc
	v_mul_f32_e32 v6, 0x3fb8aa3b, v4
	v_fma_f32 v7, v4, s31, -v6
	v_rndne_f32_e32 v8, v6
	v_fmac_f32_e32 v7, 0x32a5705f, v4
	v_sub_f32_e32 v6, v6, v8
	v_add_f32_e32 v6, v6, v7
	v_exp_f32_e32 v6, v6
	v_cvt_i32_f32_e32 v7, v8
	v_cmp_ngt_f32_e32 vcc, s55, v4
	v_ldexp_f32 v6, v6, v7
	v_cndmask_b32_e32 v6, 0, v6, vcc
	v_cmp_nlt_f32_e32 vcc, s87, v4
	v_add_f32_e32 v4, v48, v49
	v_add_f32_e32 v4, v55, v4
	;; [unrolled: 1-line block ×4, first 2 shown]
	v_cndmask_b32_e32 v58, v168, v6, vcc
	v_add_f32_e32 v4, v56, v4
	v_add_f32_e32 v4, v58, v4
	;; [unrolled: 1-line block ×3, first 2 shown]
	v_sub_f32_e32 v4, v50, v2
	v_mul_f32_e32 v6, 0x3fb8aa3b, v4
	v_fma_f32 v7, v4, s31, -v6
	v_rndne_f32_e32 v8, v6
	v_fmac_f32_e32 v7, 0x32a5705f, v4
	v_sub_f32_e32 v6, v6, v8
	v_add_f32_e32 v6, v6, v7
	v_exp_f32_e32 v6, v6
	v_cvt_i32_f32_e32 v7, v8
	v_cmp_ngt_f32_e32 vcc, s55, v4
	v_cvt_f16_f32_e32 v49, v49
	v_cvt_f16_f32_e32 v48, v48
	v_ldexp_f32 v6, v6, v7
	v_cndmask_b32_e32 v6, 0, v6, vcc
	v_cmp_nlt_f32_e32 vcc, s87, v4
	v_cndmask_b32_e32 v6, v168, v6, vcc
	v_cmp_le_f32_e32 vcc, s8, v4
	v_cndmask_b32_e32 v4, 0, v6, vcc
	v_fmac_f32_e32 v19, v51, v4
	v_cvt_f16_f32_e32 v4, v4
	v_pack_b32_f16 v48, v48, v49
	v_cvt_f16_f32_e32 v49, v54
	v_cvt_f16_f32_e32 v54, v55
	v_pk_mul_f16 v53, v4, v170 op_sel_hi:[0,1]
	v_pk_mul_f16 v6, v4, v169 op_sel_hi:[0,1]
	;; [unrolled: 1-line block ×10, first 2 shown]
	v_cvt_f16_f32_e32 v4, v56
	v_cvt_f16_f32_e32 v56, v57
	;; [unrolled: 1-line block ×3, first 2 shown]
	v_pack_b32_f16 v49, v54, v49
	v_add_co_u32_e32 v54, vcc, s5, v28
	v_pack_b32_f16 v4, v56, v4
	v_cvt_f16_f32_e32 v56, v58
	v_mov_b32_e32 v55, s4
	v_addc_co_u32_e32 v55, vcc, v55, v29, vcc
	v_add_co_u32_e32 v54, vcc, v54, v1
	v_addc_co_u32_e32 v55, vcc, 0, v55, vcc
	v_pack_b32_f16 v5, v56, v5
	global_load_dwordx4 v[54:57], v[54:55], off
	ds_bpermute_b32 v3, v3, v19
	s_waitcnt lgkmcnt(0)
	v_add_f32_e32 v3, v19, v3
	ds_bpermute_b32 v19, v13, v3
	s_waitcnt lgkmcnt(0)
	v_add_f32_e32 v3, v3, v19
	s_waitcnt vmcnt(0)
	ds_write_b128 v96, v[54:57]
	v_add_co_u32_e32 v54, vcc, s5, v30
	v_mov_b32_e32 v55, s4
	v_addc_co_u32_e32 v55, vcc, v55, v31, vcc
	v_add_co_u32_e32 v54, vcc, v54, v1
	v_addc_co_u32_e32 v55, vcc, 0, v55, vcc
	global_load_dwordx4 v[54:57], v[54:55], off
	s_cselect_b64 s[4:5], -1, 0
	s_xor_b64 s[6:7], s[2:3], -1
	s_or_b64 s[4:5], s[6:7], s[4:5]
	s_waitcnt vmcnt(0)
	ds_write_b128 v165, v[54:57]
	s_waitcnt lgkmcnt(0)
	s_barrier
	ds_read_u16 v1, v82 offset:176
	ds_read_u16 v58, v82 offset:352
	v_cvt_f32_f16_e32 v54, v53
	v_cvt_f32_f16_sdwa v55, v53 dst_sel:DWORD dst_unused:UNUSED_PAD src0_sel:WORD_1
	v_cvt_f32_f16_e32 v56, v6
	v_cvt_f32_f16_sdwa v57, v6 dst_sel:DWORD dst_unused:UNUSED_PAD src0_sel:WORD_1
	ds_read_u16 v6, v83
	ds_read_u16 v53, v83 offset:32
	s_waitcnt lgkmcnt(1)
	v_perm_b32 v59, v6, v58, s9
	ds_read_u16 v6, v73
	ds_read_u16 v60, v73 offset:32
	s_waitcnt lgkmcnt(1)
	v_perm_b32 v58, v1, v6, s9
	s_nop 1
	v_mfma_f32_16x16x16f16 v[54:57], v[58:59], v[48:49], v[54:57]
	ds_read_u16 v58, v73 offset:5632
	ds_read_u16 v61, v160 offset:176
	;; [unrolled: 1-line block ×4, first 2 shown]
	s_waitcnt lgkmcnt(2)
	v_perm_b32 v58, v61, v58, s9
	s_waitcnt lgkmcnt(0)
	v_perm_b32 v59, v62, v59, s9
	s_nop 2
	v_cvt_f16_f32_e32 v1, v54
	v_cvt_f16_f32_e32 v6, v55
	;; [unrolled: 1-line block ×4, first 2 shown]
	v_cvt_f32_f16_e32 v54, v1
	v_cvt_f32_f16_e32 v55, v6
	;; [unrolled: 1-line block ×4, first 2 shown]
	s_nop 1
	v_mfma_f32_16x16x16f16 v[54:57], v[58:59], v[4:5], v[54:57]
	ds_read_u16 v58, v161 offset:176
	ds_read_u16 v59, v161 offset:352
	s_waitcnt lgkmcnt(1)
	v_perm_b32 v58, v58, v60, s9
	s_waitcnt lgkmcnt(0)
	v_perm_b32 v59, v53, v59, s9
	s_nop 4
	v_cvt_f16_f32_e32 v1, v54
	v_cvt_f16_f32_e32 v6, v55
	v_cvt_f16_f32_e32 v54, v56
	v_cvt_f16_f32_e32 v55, v57
	v_cvt_f32_f16_e32 v56, v7
	v_pack_b32_f16 v6, v1, v6
	v_cvt_f32_f16_sdwa v57, v7 dst_sel:DWORD dst_unused:UNUSED_PAD src0_sel:WORD_1
	v_pack_b32_f16 v1, v54, v55
	v_cvt_f32_f16_e32 v54, v8
	v_cvt_f32_f16_sdwa v55, v8 dst_sel:DWORD dst_unused:UNUSED_PAD src0_sel:WORD_1
	s_nop 1
	v_mfma_f32_16x16x16f16 v[54:57], v[58:59], v[48:49], v[54:57]
	ds_read_u16 v58, v84 offset:5632
	ds_read_u16 v60, v85 offset:176
	;; [unrolled: 1-line block ×4, first 2 shown]
	s_waitcnt lgkmcnt(2)
	v_perm_b32 v58, v60, v58, s9
	s_waitcnt lgkmcnt(0)
	v_perm_b32 v59, v61, v59, s9
	s_nop 2
	v_cvt_f16_f32_e32 v7, v54
	v_cvt_f16_f32_e32 v8, v55
	;; [unrolled: 1-line block ×4, first 2 shown]
	v_cvt_f32_f16_e32 v54, v7
	v_cvt_f32_f16_e32 v55, v8
	;; [unrolled: 1-line block ×4, first 2 shown]
	s_nop 1
	v_mfma_f32_16x16x16f16 v[54:57], v[58:59], v[4:5], v[54:57]
	s_nop 7
	s_nop 2
	v_cvt_f16_f32_e32 v7, v54
	v_cvt_f16_f32_e32 v8, v55
	;; [unrolled: 1-line block ×4, first 2 shown]
	v_cvt_f32_f16_sdwa v55, v50 dst_sel:DWORD dst_unused:UNUSED_PAD src0_sel:WORD_1
	v_pack_b32_f16 v8, v7, v8
	v_cvt_f32_f16_e32 v56, v9
	v_pack_b32_f16 v7, v53, v54
	ds_read_u16 v53, v73 offset:64
	ds_read_u16 v58, v162 offset:176
	;; [unrolled: 1-line block ×4, first 2 shown]
	v_cvt_f32_f16_e32 v54, v50
	v_cvt_f32_f16_sdwa v57, v9 dst_sel:DWORD dst_unused:UNUSED_PAD src0_sel:WORD_1
	s_waitcnt lgkmcnt(2)
	v_perm_b32 v58, v58, v53, s9
	s_waitcnt lgkmcnt(0)
	v_perm_b32 v59, v60, v59, s9
	s_nop 1
	v_mfma_f32_16x16x16f16 v[54:57], v[58:59], v[48:49], v[54:57]
	ds_read_u16 v58, v87 offset:5632
	ds_read_u16 v60, v88 offset:176
	;; [unrolled: 1-line block ×4, first 2 shown]
	s_waitcnt lgkmcnt(2)
	v_perm_b32 v58, v60, v58, s9
	s_waitcnt lgkmcnt(0)
	v_perm_b32 v59, v61, v59, s9
	s_nop 2
	v_cvt_f16_f32_e32 v9, v54
	v_cvt_f16_f32_e32 v50, v55
	;; [unrolled: 1-line block ×4, first 2 shown]
	v_cvt_f32_f16_e32 v54, v9
	v_cvt_f32_f16_e32 v55, v50
	;; [unrolled: 1-line block ×4, first 2 shown]
	s_nop 1
	v_mfma_f32_16x16x16f16 v[54:57], v[58:59], v[4:5], v[54:57]
	s_nop 7
	s_nop 2
	v_cvt_f16_f32_e32 v9, v54
	v_cvt_f16_f32_e32 v50, v55
	;; [unrolled: 1-line block ×4, first 2 shown]
	v_cvt_f32_f16_sdwa v55, v52 dst_sel:DWORD dst_unused:UNUSED_PAD src0_sel:WORD_1
	v_pack_b32_f16 v50, v9, v50
	v_cvt_f32_f16_e32 v56, v11
	v_pack_b32_f16 v9, v53, v54
	ds_read_u16 v58, v73 offset:96
	ds_read_u16 v59, v163 offset:176
	;; [unrolled: 1-line block ×4, first 2 shown]
	v_cvt_f32_f16_e32 v54, v52
	v_cvt_f32_f16_sdwa v57, v11 dst_sel:DWORD dst_unused:UNUSED_PAD src0_sel:WORD_1
	s_waitcnt lgkmcnt(2)
	v_perm_b32 v52, v59, v58, s9
	s_waitcnt lgkmcnt(0)
	v_perm_b32 v53, v60, v53, s9
	s_nop 1
	v_mfma_f32_16x16x16f16 v[52:55], v[52:53], v[48:49], v[54:57]
	s_nop 6
	ds_read_u16 v56, v90 offset:5632
	ds_read_u16 v58, v91 offset:176
	;; [unrolled: 1-line block ×4, first 2 shown]
	s_waitcnt lgkmcnt(2)
	v_perm_b32 v56, v58, v56, s9
	s_waitcnt lgkmcnt(0)
	v_perm_b32 v57, v59, v57, s9
	v_cvt_f16_f32_e32 v11, v52
	v_cvt_f16_f32_e32 v53, v53
	;; [unrolled: 1-line block ×4, first 2 shown]
	v_cvt_f32_f16_e32 v52, v11
	v_cvt_f32_f16_e32 v53, v53
	;; [unrolled: 1-line block ×4, first 2 shown]
	s_nop 1
	v_mfma_f32_16x16x16f16 v[52:55], v[56:57], v[4:5], v[52:55]
	v_cvt_f32_f16_e32 v56, v43
	v_cvt_f32_f16_sdwa v57, v43 dst_sel:DWORD dst_unused:UNUSED_PAD src0_sel:WORD_1
	s_nop 7
	s_nop 0
	v_cvt_f16_f32_e32 v11, v52
	v_cvt_f16_f32_e32 v52, v53
	v_cvt_f16_f32_e32 v53, v54
	v_cvt_f16_f32_e32 v54, v55
	v_cvt_f32_f16_sdwa v55, v51 dst_sel:DWORD dst_unused:UNUSED_PAD src0_sel:WORD_1
	v_pack_b32_f16 v52, v11, v52
	v_pack_b32_f16 v11, v53, v54
	ds_read_u16 v53, v73 offset:128
	ds_read_u16 v58, v164 offset:176
	;; [unrolled: 1-line block ×4, first 2 shown]
	v_cvt_f32_f16_e32 v54, v51
	s_waitcnt lgkmcnt(2)
	v_perm_b32 v58, v58, v53, s9
	s_waitcnt lgkmcnt(0)
	v_perm_b32 v59, v60, v59, s9
	s_nop 1
	v_mfma_f32_16x16x16f16 v[54:57], v[58:59], v[48:49], v[54:57]
	ds_read_u16 v53, v93 offset:5632
	ds_read_u16 v58, v94 offset:176
	;; [unrolled: 1-line block ×4, first 2 shown]
	s_waitcnt lgkmcnt(0)
	s_barrier
	s_nop 4
	v_cvt_f16_f32_e32 v48, v55
	v_cvt_f16_f32_e32 v49, v56
	v_cvt_f16_f32_e32 v43, v54
	v_cvt_f16_f32_e32 v51, v57
	v_cvt_f32_f16_e32 v55, v48
	v_cvt_f32_f16_e32 v56, v49
	v_perm_b32 v49, v60, v59, s9
	v_perm_b32 v48, v58, v53, s9
	v_cvt_f32_f16_e32 v54, v43
	v_cvt_f32_f16_e32 v57, v51
	s_nop 1
	v_mfma_f32_16x16x16f16 v[54:57], v[48:49], v[4:5], v[54:57]
	s_nop 7
	s_nop 2
	v_cvt_f16_f32_e32 v4, v54
	v_cvt_f16_f32_e32 v5, v55
	;; [unrolled: 1-line block ×4, first 2 shown]
	v_pack_b32_f16 v4, v4, v5
	v_pack_b32_f16 v5, v43, v48
	s_and_saveexec_b64 s[6:7], s[4:5]
	s_xor_b64 s[10:11], exec, s[6:7]
	s_andn2_saveexec_b64 s[10:11], s[10:11]
	s_cbranch_execz .LBB9_144
; %bb.143:                              ;   in Loop: Header=BB9_14 Depth=1
	v_lshlrev_b32_e32 v19, 2, v18
	global_load_dword v19, v19, s[76:77]
	v_max_f32_e32 v43, v2, v2
	s_waitcnt vmcnt(0)
	v_max_f32_e32 v48, v19, v19
	v_max_f32_e32 v48, v43, v48
	v_sub_f32_e32 v2, v2, v48
	v_sub_f32_e32 v19, v19, v48
	v_mul_f32_e32 v43, 0x3fb8aa3b, v2
	v_mul_f32_e32 v49, 0x3fb8aa3b, v19
	v_fma_f32 v51, v2, s31, -v43
	v_rndne_f32_e32 v53, v43
	v_fma_f32 v54, v19, s31, -v49
	v_rndne_f32_e32 v55, v49
	v_fmac_f32_e32 v51, 0x32a5705f, v2
	v_sub_f32_e32 v43, v43, v53
	v_fmac_f32_e32 v54, 0x32a5705f, v19
	v_sub_f32_e32 v49, v49, v55
	v_add_f32_e32 v43, v43, v51
	v_cvt_i32_f32_e32 v53, v53
	v_add_f32_e32 v49, v49, v54
	v_exp_f32_e32 v43, v43
	v_cvt_i32_f32_e32 v55, v55
	v_exp_f32_e32 v49, v49
	v_cmp_ngt_f32_e32 vcc, s55, v2
	v_ldexp_f32 v43, v43, v53
	v_cndmask_b32_e32 v43, 0, v43, vcc
	v_ldexp_f32 v49, v49, v55
	v_cmp_ngt_f32_e32 vcc, s55, v19
	v_cndmask_b32_e32 v49, 0, v49, vcc
	v_cmp_nlt_f32_e32 vcc, s87, v2
	v_cndmask_b32_e32 v43, v168, v43, vcc
	v_cmp_le_f32_e32 vcc, s8, v2
	v_cndmask_b32_e32 v2, 0, v43, vcc
	v_cvt_f16_f32_e32 v43, v2
	v_cmp_nlt_f32_e32 vcc, s87, v19
	v_cndmask_b32_e32 v49, v168, v49, vcc
	v_fmac_f32_e32 v49, v3, v2
	v_pk_mul_f16 v6, v43, v6 op_sel_hi:[0,1]
	v_pk_mul_f16 v1, v43, v1 op_sel_hi:[0,1]
	;; [unrolled: 1-line block ×10, first 2 shown]
	v_pk_mov_b32 v[2:3], v[48:49], v[48:49] op_sel:[0,1]
.LBB9_144:                              ;   in Loop: Header=BB9_14 Depth=1
	s_or_b64 exec, exec, s[10:11]
	s_mov_b64 s[10:11], exec
	v_readlane_b32 s4, v188, 19
	v_readlane_b32 s5, v188, 20
	s_and_b64 s[4:5], s[10:11], s[4:5]
	s_mov_b64 exec, s[4:5]
	s_cbranch_execz .LBB9_146
; %bb.145:                              ;   in Loop: Header=BB9_14 Depth=1
	v_add_u32_e32 v19, 0, v105
	ds_write2_b32 v19, v2, v3 offset0:40 offset1:41
.LBB9_146:                              ;   in Loop: Header=BB9_14 Depth=1
	s_or_b64 exec, exec, s[10:11]
	s_waitcnt lgkmcnt(0)
	s_barrier
	s_mov_b64 s[4:5], exec
	v_readlane_b32 s6, v188, 17
	v_readlane_b32 s7, v188, 18
	s_and_b64 s[6:7], s[4:5], s[6:7]
	s_xor_b64 s[10:11], s[6:7], s[4:5]
	s_mov_b64 exec, s[6:7]
	s_cbranch_execz .LBB9_148
; %bb.147:                              ;   in Loop: Header=BB9_14 Depth=1
	s_barrier
	s_waitcnt lgkmcnt(0)
                                        ; implicit-def: $vgpr13
.LBB9_148:                              ;   in Loop: Header=BB9_14 Depth=1
	s_andn2_saveexec_b64 s[10:11], s[10:11]
	s_cbranch_execz .LBB9_152
; %bb.149:                              ;   in Loop: Header=BB9_14 Depth=1
	v_add_u32_e32 v19, 0, v106
	ds_read_b64 v[2:3], v19 offset:160
	s_waitcnt lgkmcnt(0)
	s_barrier
	ds_bpermute_b32 v43, v13, v2
	v_max_f32_e32 v48, v2, v2
	s_waitcnt lgkmcnt(0)
	v_max_f32_e32 v43, v43, v43
	v_max_f32_e32 v43, v48, v43
	v_sub_f32_e32 v2, v2, v43
	v_mul_f32_e32 v43, 0x3fb8aa3b, v2
	v_fma_f32 v48, v2, s31, -v43
	v_rndne_f32_e32 v49, v43
	v_fmac_f32_e32 v48, 0x32a5705f, v2
	v_sub_f32_e32 v43, v43, v49
	v_add_f32_e32 v43, v43, v48
	v_cvt_i32_f32_e32 v49, v49
	v_exp_f32_e32 v43, v43
	v_cmp_ngt_f32_e32 vcc, s55, v2
	v_ldexp_f32 v43, v43, v49
	v_cndmask_b32_e32 v43, 0, v43, vcc
	v_cmp_nlt_f32_e32 vcc, s87, v2
	v_cndmask_b32_e32 v2, v168, v43, vcc
	v_mul_f32_e32 v3, v3, v2
	ds_bpermute_b32 v13, v13, v3
	s_mov_b64 s[16:17], exec
	v_readlane_b32 s4, v188, 21
	v_readlane_b32 s5, v188, 22
	s_and_b64 s[4:5], s[16:17], s[4:5]
	s_mov_b64 exec, s[4:5]
	s_cbranch_execz .LBB9_151
; %bb.150:                              ;   in Loop: Header=BB9_14 Depth=1
	s_waitcnt lgkmcnt(0)
	v_add_f32_e32 v3, v3, v13
	ds_write_b64 v19, v[2:3] offset:160
.LBB9_151:                              ;   in Loop: Header=BB9_14 Depth=1
	s_or_b64 exec, exec, s[16:17]
.LBB9_152:                              ;   in Loop: Header=BB9_14 Depth=1
	s_or_b64 exec, exec, s[10:11]
	ds_write2_b32 v107, v6, v1 offset1:1
	ds_write2_b32 v107, v8, v7 offset0:8 offset1:9
	ds_write2_b32 v107, v50, v9 offset0:16 offset1:17
	;; [unrolled: 1-line block ×4, first 2 shown]
	s_waitcnt lgkmcnt(0)
	s_barrier
	s_and_saveexec_b64 s[16:17], s[2:3]
	s_cbranch_execz .LBB9_12
; %bb.153:                              ;   in Loop: Header=BB9_14 Depth=1
	v_add_u32_e32 v2, s82, v114
	v_or_b32_e32 v1, s88, v40
	v_cmp_gt_i32_e32 vcc, s20, v2
	v_cmp_gt_i32_e64 s[10:11], s33, v1
	s_and_b64 s[4:5], vcc, s[10:11]
	v_mov_b32_e32 v1, 0x47
	s_and_saveexec_b64 s[76:77], s[4:5]
	s_cbranch_execz .LBB9_155
; %bb.154:                              ;   in Loop: Header=BB9_14 Depth=1
	v_add_u32_e32 v1, 0, v115
	ds_read2_b32 v[4:5], v1 offset0:40 offset1:41
	ds_read2st64_b32 v[6:7], v116 offset1:11
	ds_read_b32 v8, v1 offset:2976
	v_mad_u64_u32 v[2:3], s[4:5], v2, s21, v[40:41]
	v_mad_u64_u32 v[2:3], s[4:5], v2, 40, v[24:25]
	s_waitcnt lgkmcnt(1)
	v_cvt_f32_f16_sdwa v49, v6 dst_sel:DWORD dst_unused:UNUSED_PAD src0_sel:WORD_1
	v_cvt_f32_f16_e32 v48, v6
	v_cvt_f32_f16_sdwa v51, v7 dst_sel:DWORD dst_unused:UNUSED_PAD src0_sel:WORD_1
	v_cvt_f32_f16_e32 v50, v7
	v_ashrrev_i32_e32 v3, 31, v2
	v_lshlrev_b64 v[2:3], 3, v[2:3]
	v_pk_fma_f32 v[48:49], v[4:5], v[48:49], 0 op_sel_hi:[0,1,0]
	v_add_co_u32_e32 v2, vcc, s89, v2
	v_mov_b32_e32 v1, s86
	s_waitcnt lgkmcnt(0)
	v_pk_fma_f32 v[6:7], v[8:9], v[50:51], v[48:49] op_sel_hi:[0,1,1]
	v_addc_co_u32_e32 v3, vcc, v1, v3, vcc
	v_div_scale_f32 v1, s[4:5], v5, v5, v7
	v_rcp_f32_e32 v4, v1
	v_fma_f32 v8, -v1, v4, 1.0
	v_fmac_f32_e32 v4, v8, v4
	v_div_scale_f32 v8, vcc, v7, v5, v7
	v_mul_f32_e32 v9, v8, v4
	v_fma_f32 v11, -v1, v9, v8
	v_fmac_f32_e32 v9, v11, v4
	v_fma_f32 v1, -v1, v9, v8
	v_div_fmas_f32 v1, v1, v4, v9
	v_div_fixup_f32 v7, v1, v5, v7
	v_div_scale_f32 v1, s[4:5], v5, v5, v6
	v_rcp_f32_e32 v4, v1
	v_fma_f32 v8, -v1, v4, 1.0
	v_fmac_f32_e32 v4, v8, v4
	v_div_scale_f32 v8, vcc, v6, v5, v6
	v_mul_f32_e32 v9, v8, v4
	v_fma_f32 v11, -v1, v9, v8
	v_fmac_f32_e32 v9, v11, v4
	v_fma_f32 v1, -v1, v9, v8
	v_div_fmas_f32 v1, v1, v4, v9
	v_div_fixup_f32 v6, v1, v5, v6
	v_mov_b32_e32 v1, 0
	global_store_dwordx2 v[2:3], v[6:7], off
.LBB9_155:                              ;   in Loop: Header=BB9_14 Depth=1
	s_or_b64 exec, exec, s[76:77]
	s_movk_i32 s4, 0x47
	v_cmp_gt_i32_e32 vcc, s4, v1
	s_mov_b64 s[78:79], -1
	s_and_saveexec_b64 s[76:77], vcc
; %bb.156:                              ;   in Loop: Header=BB9_14 Depth=1
	v_cmp_eq_u32_e32 vcc, 0, v1
	s_orn2_b64 s[78:79], vcc, exec
; %bb.157:                              ;   in Loop: Header=BB9_14 Depth=1
	s_or_b64 exec, exec, s[76:77]
	s_and_saveexec_b64 s[76:77], s[78:79]
	s_cbranch_execz .LBB9_190
; %bb.158:                              ;   in Loop: Header=BB9_14 Depth=1
	v_add_u32_e32 v2, s82, v117
	v_cmp_gt_i32_e32 vcc, s20, v2
	s_and_b64 s[4:5], vcc, s[10:11]
	v_mov_b32_e32 v1, 0x47
	s_and_saveexec_b64 s[78:79], s[4:5]
	s_cbranch_execz .LBB9_160
; %bb.159:                              ;   in Loop: Header=BB9_14 Depth=1
	v_add_u32_e32 v1, 0, v118
	ds_read2_b32 v[4:5], v1 offset0:40 offset1:41
	ds_read2st64_b32 v[6:7], v119 offset1:11
	ds_read_b32 v8, v1 offset:2976
	v_mad_u64_u32 v[2:3], s[4:5], v2, s21, v[40:41]
	v_mad_u64_u32 v[2:3], s[4:5], v2, 40, v[24:25]
	s_waitcnt lgkmcnt(1)
	v_cvt_f32_f16_sdwa v49, v6 dst_sel:DWORD dst_unused:UNUSED_PAD src0_sel:WORD_1
	v_cvt_f32_f16_e32 v48, v6
	v_cvt_f32_f16_sdwa v51, v7 dst_sel:DWORD dst_unused:UNUSED_PAD src0_sel:WORD_1
	v_cvt_f32_f16_e32 v50, v7
	v_ashrrev_i32_e32 v3, 31, v2
	v_lshlrev_b64 v[2:3], 3, v[2:3]
	v_pk_fma_f32 v[48:49], v[4:5], v[48:49], 0 op_sel_hi:[0,1,0]
	v_add_co_u32_e32 v2, vcc, s89, v2
	v_mov_b32_e32 v1, s86
	s_waitcnt lgkmcnt(0)
	v_pk_fma_f32 v[6:7], v[8:9], v[50:51], v[48:49] op_sel_hi:[0,1,1]
	v_addc_co_u32_e32 v3, vcc, v1, v3, vcc
	v_div_scale_f32 v1, s[4:5], v5, v5, v7
	v_rcp_f32_e32 v4, v1
	v_fma_f32 v8, -v1, v4, 1.0
	v_fmac_f32_e32 v4, v8, v4
	v_div_scale_f32 v8, vcc, v7, v5, v7
	v_mul_f32_e32 v9, v8, v4
	v_fma_f32 v11, -v1, v9, v8
	v_fmac_f32_e32 v9, v11, v4
	v_fma_f32 v1, -v1, v9, v8
	v_div_fmas_f32 v1, v1, v4, v9
	v_div_fixup_f32 v7, v1, v5, v7
	v_div_scale_f32 v1, s[4:5], v5, v5, v6
	v_rcp_f32_e32 v4, v1
	v_fma_f32 v8, -v1, v4, 1.0
	v_fmac_f32_e32 v4, v8, v4
	v_div_scale_f32 v8, vcc, v6, v5, v6
	v_mul_f32_e32 v9, v8, v4
	v_fma_f32 v11, -v1, v9, v8
	v_fmac_f32_e32 v9, v11, v4
	v_fma_f32 v1, -v1, v9, v8
	v_div_fmas_f32 v1, v1, v4, v9
	v_div_fixup_f32 v6, v1, v5, v6
	v_mov_b32_e32 v1, 0
	global_store_dwordx2 v[2:3], v[6:7], off
.LBB9_160:                              ;   in Loop: Header=BB9_14 Depth=1
	s_or_b64 exec, exec, s[78:79]
	s_movk_i32 s4, 0x47
	v_cmp_gt_i32_e32 vcc, s4, v1
	s_mov_b64 s[78:79], -1
	s_and_saveexec_b64 s[80:81], vcc
; %bb.161:                              ;   in Loop: Header=BB9_14 Depth=1
	v_cmp_eq_u32_e32 vcc, 0, v1
	s_orn2_b64 s[78:79], vcc, exec
; %bb.162:                              ;   in Loop: Header=BB9_14 Depth=1
	s_or_b64 exec, exec, s[80:81]
	s_and_b64 exec, exec, s[78:79]
	s_cbranch_execz .LBB9_190
; %bb.163:                              ;   in Loop: Header=BB9_14 Depth=1
	v_add_u32_e32 v2, s82, v120
	v_cmp_gt_i32_e32 vcc, s20, v2
	s_and_b64 s[4:5], vcc, s[10:11]
	v_mov_b32_e32 v1, 0x47
	s_and_saveexec_b64 s[78:79], s[4:5]
	s_cbranch_execz .LBB9_165
; %bb.164:                              ;   in Loop: Header=BB9_14 Depth=1
	v_add_u32_e32 v1, 0, v121
	ds_read2_b32 v[4:5], v1 offset0:40 offset1:41
	ds_read2st64_b32 v[6:7], v122 offset1:11
	ds_read_b32 v8, v1 offset:2976
	v_mad_u64_u32 v[2:3], s[4:5], v2, s21, v[40:41]
	v_mad_u64_u32 v[2:3], s[4:5], v2, 40, v[24:25]
	s_waitcnt lgkmcnt(1)
	v_cvt_f32_f16_sdwa v49, v6 dst_sel:DWORD dst_unused:UNUSED_PAD src0_sel:WORD_1
	v_cvt_f32_f16_e32 v48, v6
	v_cvt_f32_f16_sdwa v51, v7 dst_sel:DWORD dst_unused:UNUSED_PAD src0_sel:WORD_1
	v_cvt_f32_f16_e32 v50, v7
	v_ashrrev_i32_e32 v3, 31, v2
	v_lshlrev_b64 v[2:3], 3, v[2:3]
	v_pk_fma_f32 v[48:49], v[4:5], v[48:49], 0 op_sel_hi:[0,1,0]
	v_add_co_u32_e32 v2, vcc, s89, v2
	v_mov_b32_e32 v1, s86
	s_waitcnt lgkmcnt(0)
	v_pk_fma_f32 v[6:7], v[8:9], v[50:51], v[48:49] op_sel_hi:[0,1,1]
	v_addc_co_u32_e32 v3, vcc, v1, v3, vcc
	v_div_scale_f32 v1, s[4:5], v5, v5, v7
	v_rcp_f32_e32 v4, v1
	v_fma_f32 v8, -v1, v4, 1.0
	v_fmac_f32_e32 v4, v8, v4
	v_div_scale_f32 v8, vcc, v7, v5, v7
	v_mul_f32_e32 v9, v8, v4
	v_fma_f32 v11, -v1, v9, v8
	v_fmac_f32_e32 v9, v11, v4
	v_fma_f32 v1, -v1, v9, v8
	v_div_fmas_f32 v1, v1, v4, v9
	v_div_fixup_f32 v7, v1, v5, v7
	v_div_scale_f32 v1, s[4:5], v5, v5, v6
	v_rcp_f32_e32 v4, v1
	v_fma_f32 v8, -v1, v4, 1.0
	v_fmac_f32_e32 v4, v8, v4
	v_div_scale_f32 v8, vcc, v6, v5, v6
	v_mul_f32_e32 v9, v8, v4
	v_fma_f32 v11, -v1, v9, v8
	v_fmac_f32_e32 v9, v11, v4
	v_fma_f32 v1, -v1, v9, v8
	v_div_fmas_f32 v1, v1, v4, v9
	v_div_fixup_f32 v6, v1, v5, v6
	v_mov_b32_e32 v1, 0
	global_store_dwordx2 v[2:3], v[6:7], off
.LBB9_165:                              ;   in Loop: Header=BB9_14 Depth=1
	s_or_b64 exec, exec, s[78:79]
	s_movk_i32 s4, 0x47
	v_cmp_gt_i32_e32 vcc, s4, v1
	s_mov_b64 s[78:79], -1
	s_and_saveexec_b64 s[80:81], vcc
; %bb.166:                              ;   in Loop: Header=BB9_14 Depth=1
	v_cmp_eq_u32_e32 vcc, 0, v1
	s_orn2_b64 s[78:79], vcc, exec
; %bb.167:                              ;   in Loop: Header=BB9_14 Depth=1
	s_or_b64 exec, exec, s[80:81]
	s_and_b64 exec, exec, s[78:79]
	;; [unrolled: 64-line block ×6, first 2 shown]
	s_cbranch_execz .LBB9_190
; %bb.188:                              ;   in Loop: Header=BB9_14 Depth=1
	v_add_u32_e32 v1, s82, v135
	v_cmp_gt_i32_e32 vcc, s20, v1
	s_and_b64 s[4:5], vcc, s[10:11]
	s_and_b64 exec, exec, s[4:5]
	s_cbranch_execz .LBB9_190
; %bb.189:                              ;   in Loop: Header=BB9_14 Depth=1
	v_add_u32_e32 v8, 0, v136
	ds_read2st64_b32 v[4:5], v137 offset1:11
	ds_read2_b32 v[6:7], v8 offset0:40 offset1:41
	ds_read_b32 v8, v8 offset:2976
	v_mad_u64_u32 v[2:3], s[4:5], v1, s21, v[40:41]
	s_waitcnt lgkmcnt(2)
	v_cvt_f32_f16_sdwa v49, v4 dst_sel:DWORD dst_unused:UNUSED_PAD src0_sel:WORD_1
	v_cvt_f32_f16_e32 v48, v4
	v_cvt_f32_f16_sdwa v51, v5 dst_sel:DWORD dst_unused:UNUSED_PAD src0_sel:WORD_1
	v_cvt_f32_f16_e32 v50, v5
	v_mad_u64_u32 v[2:3], s[4:5], v2, 40, v[24:25]
	s_waitcnt lgkmcnt(1)
	v_pk_fma_f32 v[4:5], v[6:7], v[48:49], 0 op_sel_hi:[0,1,0]
	s_waitcnt lgkmcnt(0)
	v_pk_fma_f32 v[4:5], v[8:9], v[50:51], v[4:5] op_sel_hi:[0,1,1]
	v_div_scale_f32 v6, s[4:5], v7, v7, v5
	v_rcp_f32_e32 v8, v6
	v_ashrrev_i32_e32 v3, 31, v2
	v_lshlrev_b64 v[2:3], 3, v[2:3]
	v_mov_b32_e32 v1, s86
	v_add_co_u32_e32 v2, vcc, s89, v2
	v_addc_co_u32_e32 v3, vcc, v1, v3, vcc
	v_fma_f32 v1, -v6, v8, 1.0
	v_fmac_f32_e32 v8, v1, v8
	v_div_scale_f32 v1, vcc, v5, v7, v5
	v_mul_f32_e32 v9, v1, v8
	v_fma_f32 v11, -v6, v9, v1
	v_fmac_f32_e32 v9, v11, v8
	v_fma_f32 v1, -v6, v9, v1
	v_div_scale_f32 v6, s[4:5], v7, v7, v4
	v_rcp_f32_e32 v11, v6
	v_div_fmas_f32 v1, v1, v8, v9
	v_div_fixup_f32 v5, v1, v7, v5
	v_fma_f32 v1, -v6, v11, 1.0
	v_fmac_f32_e32 v11, v1, v11
	v_div_scale_f32 v1, vcc, v4, v7, v4
	v_mul_f32_e32 v8, v1, v11
	v_fma_f32 v9, -v6, v8, v1
	v_fmac_f32_e32 v8, v9, v11
	v_fma_f32 v1, -v6, v8, v1
	v_div_fmas_f32 v1, v1, v11, v8
	v_div_fixup_f32 v4, v1, v7, v4
	global_store_dwordx2 v[2:3], v[4:5], off
.LBB9_190:                              ;   in Loop: Header=BB9_14 Depth=1
	s_or_b64 exec, exec, s[76:77]
	v_add_u32_e32 v2, s82, v138
	v_cmp_gt_i32_e32 vcc, s20, v2
	s_and_b64 s[4:5], vcc, s[12:13]
	v_mov_b32_e32 v1, 0x47
	s_and_saveexec_b64 s[10:11], s[4:5]
	s_cbranch_execz .LBB9_192
; %bb.191:                              ;   in Loop: Header=BB9_14 Depth=1
	v_mad_u64_u32 v[2:3], s[4:5], v2, s21, v[36:37]
	v_mul_lo_u32 v7, v2, 40
	v_add_u32_e32 v2, 0x80, v140
	v_add_u32_e32 v1, 0, v139
	ds_read2st64_b32 v[2:3], v2 offset1:11
	ds_read2_b32 v[4:5], v1 offset0:40 offset1:41
	ds_read_b32 v6, v1 offset:2976
	v_ashrrev_i32_e32 v1, 31, v7
	v_or_b32_e32 v9, 0, v1
	s_waitcnt lgkmcnt(2)
	v_cvt_f32_f16_sdwa v49, v2 dst_sel:DWORD dst_unused:UNUSED_PAD src0_sel:WORD_1
	v_cvt_f32_f16_e32 v48, v2
	v_cvt_f32_f16_sdwa v51, v3 dst_sel:DWORD dst_unused:UNUSED_PAD src0_sel:WORD_1
	v_cvt_f32_f16_e32 v50, v3
	v_or_b32_e32 v8, v7, v22
	v_lshlrev_b64 v[2:3], 3, v[8:9]
	s_waitcnt lgkmcnt(1)
	v_pk_fma_f32 v[8:9], v[4:5], v[48:49], 0 op_sel_hi:[0,1,0]
	s_waitcnt lgkmcnt(0)
	v_pk_fma_f32 v[6:7], v[6:7], v[50:51], v[8:9] op_sel_hi:[0,1,1]
	v_div_scale_f32 v4, s[4:5], v5, v5, v7
	v_rcp_f32_e32 v8, v4
	v_mov_b32_e32 v1, s86
	v_add_co_u32_e32 v2, vcc, s89, v2
	v_addc_co_u32_e32 v3, vcc, v1, v3, vcc
	v_fma_f32 v1, -v4, v8, 1.0
	v_fmac_f32_e32 v8, v1, v8
	v_div_scale_f32 v1, vcc, v7, v5, v7
	v_mul_f32_e32 v9, v1, v8
	v_fma_f32 v11, -v4, v9, v1
	v_fmac_f32_e32 v9, v11, v8
	v_fma_f32 v1, -v4, v9, v1
	v_div_scale_f32 v4, s[4:5], v5, v5, v6
	v_rcp_f32_e32 v11, v4
	v_div_fmas_f32 v1, v1, v8, v9
	v_div_fixup_f32 v7, v1, v5, v7
	v_fma_f32 v1, -v4, v11, 1.0
	v_fmac_f32_e32 v11, v1, v11
	v_div_scale_f32 v1, vcc, v6, v5, v6
	v_mul_f32_e32 v8, v1, v11
	v_fma_f32 v9, -v4, v8, v1
	v_fmac_f32_e32 v8, v9, v11
	v_fma_f32 v1, -v4, v8, v1
	v_div_fmas_f32 v1, v1, v11, v8
	v_div_fixup_f32 v6, v1, v5, v6
	v_mov_b32_e32 v1, 0
	global_store_dwordx2 v[2:3], v[6:7], off offset:256
.LBB9_192:                              ;   in Loop: Header=BB9_14 Depth=1
	s_or_b64 exec, exec, s[10:11]
	s_movk_i32 s4, 0x47
	v_cmp_gt_i32_e32 vcc, s4, v1
	s_mov_b64 s[10:11], -1
	s_and_saveexec_b64 s[76:77], vcc
; %bb.193:                              ;   in Loop: Header=BB9_14 Depth=1
	v_cmp_eq_u32_e32 vcc, 0, v1
	s_orn2_b64 s[10:11], vcc, exec
; %bb.194:                              ;   in Loop: Header=BB9_14 Depth=1
	s_or_b64 exec, exec, s[76:77]
	s_and_b64 exec, exec, s[10:11]
	s_cbranch_execz .LBB9_12
; %bb.195:                              ;   in Loop: Header=BB9_14 Depth=1
	v_add_u32_e32 v1, s82, v141
	v_cmp_gt_i32_e32 vcc, s20, v1
	s_and_b64 s[4:5], vcc, s[12:13]
	s_and_b64 exec, exec, s[4:5]
	s_cbranch_execz .LBB9_12
; %bb.196:                              ;   in Loop: Header=BB9_14 Depth=1
	v_mad_u64_u32 v[2:3], s[4:5], v1, s21, v[36:37]
	v_add_u32_e32 v6, 0, v142
	v_mul_lo_u32 v1, v2, 40
	v_add_u32_e32 v2, 0x80, v143
	ds_read2st64_b32 v[2:3], v2 offset1:11
	ds_read2_b32 v[4:5], v6 offset0:40 offset1:41
	ds_read_b32 v6, v6 offset:2976
	v_ashrrev_i32_e32 v7, 31, v1
	v_or_b32_e32 v9, 0, v7
	s_waitcnt lgkmcnt(2)
	v_cvt_f32_f16_sdwa v49, v2 dst_sel:DWORD dst_unused:UNUSED_PAD src0_sel:WORD_1
	v_cvt_f32_f16_e32 v48, v2
	v_cvt_f32_f16_sdwa v51, v3 dst_sel:DWORD dst_unused:UNUSED_PAD src0_sel:WORD_1
	v_cvt_f32_f16_e32 v50, v3
	v_or_b32_e32 v8, v1, v22
	v_lshlrev_b64 v[2:3], 3, v[8:9]
	s_waitcnt lgkmcnt(1)
	v_pk_fma_f32 v[8:9], v[4:5], v[48:49], 0 op_sel_hi:[0,1,0]
	s_waitcnt lgkmcnt(0)
	v_pk_fma_f32 v[6:7], v[6:7], v[50:51], v[8:9] op_sel_hi:[0,1,1]
	v_div_scale_f32 v4, s[4:5], v5, v5, v7
	v_rcp_f32_e32 v8, v4
	v_mov_b32_e32 v1, s86
	v_add_co_u32_e32 v2, vcc, s89, v2
	v_addc_co_u32_e32 v3, vcc, v1, v3, vcc
	v_fma_f32 v1, -v4, v8, 1.0
	v_fmac_f32_e32 v8, v1, v8
	v_div_scale_f32 v1, vcc, v7, v5, v7
	v_mul_f32_e32 v9, v1, v8
	v_fma_f32 v11, -v4, v9, v1
	v_fmac_f32_e32 v9, v11, v8
	v_fma_f32 v1, -v4, v9, v1
	v_div_scale_f32 v4, s[4:5], v5, v5, v6
	v_rcp_f32_e32 v11, v4
	v_div_fmas_f32 v1, v1, v8, v9
	v_div_fixup_f32 v7, v1, v5, v7
	v_fma_f32 v1, -v4, v11, 1.0
	v_fmac_f32_e32 v11, v1, v11
	v_div_scale_f32 v1, vcc, v6, v5, v6
	v_mul_f32_e32 v8, v1, v11
	v_fma_f32 v9, -v4, v8, v1
	v_fmac_f32_e32 v8, v9, v11
	v_fma_f32 v1, -v4, v8, v1
	v_div_fmas_f32 v1, v1, v11, v8
	v_div_fixup_f32 v6, v1, v5, v6
	global_store_dwordx2 v[2:3], v[6:7], off offset:256
	s_branch .LBB9_12
.LBB9_197:
	v_readlane_b32 s55, v188, 14
	v_readlane_b32 s31, v188, 9
	;; [unrolled: 1-line block ×5, first 2 shown]
	s_andn2_b64 vcc, exec, s[10:11]
	s_cbranch_vccnz .LBB9_10
.LBB9_198:
	v_readlane_b32 s6, v188, 3
	s_abs_i32 s0, s6
	v_cvt_f32_u32_e32 v1, s0
	s_sub_i32 s3, 0, s0
	s_abs_i32 s2, s58
	s_xor_b32 s1, s58, s6
	v_rcp_iflag_f32_e32 v1, v1
	s_ashr_i32 s1, s1, 31
	v_readlane_b32 s8, v188, 2
	v_readlane_b32 s9, v188, 1
	v_mul_f32_e32 v1, 0x4f7ffffe, v1
	v_cvt_u32_f32_e32 v1, v1
	v_mov_b32_e32 v8, s56
	v_readfirstlane_b32 s4, v1
	s_mul_i32 s3, s3, s4
	s_mul_hi_u32 s3, s4, s3
	s_add_i32 s4, s4, s3
	s_mul_hi_u32 s3, s2, s4
	s_mul_i32 s4, s3, s0
	s_sub_i32 s2, s2, s4
	s_add_i32 s5, s3, 1
	s_sub_i32 s4, s2, s0
	s_cmp_ge_u32 s2, s0
	s_cselect_b32 s3, s5, s3
	s_cselect_b32 s2, s4, s2
	s_add_i32 s4, s3, 1
	s_cmp_ge_u32 s2, s0
	s_cselect_b32 s0, s4, s3
	s_abs_i32 s2, s8
	v_cvt_f32_u32_e32 v1, s2
	s_xor_b32 s0, s0, s1
	s_sub_i32 s5, s0, s1
	s_sub_i32 s3, 0, s2
	v_rcp_iflag_f32_e32 v1, v1
	s_mul_i32 s0, s5, s6
	s_sub_i32 s0, s58, s0
	s_abs_i32 s4, s0
	v_mul_f32_e32 v1, 0x4f7ffffe, v1
	v_cvt_u32_f32_e32 v1, v1
	s_xor_b32 s1, s0, s8
	s_ashr_i32 s1, s1, 31
	v_readfirstlane_b32 s6, v1
	s_mul_i32 s3, s3, s6
	s_mul_hi_u32 s3, s6, s3
	s_add_i32 s6, s6, s3
	s_mul_hi_u32 s3, s4, s6
	s_mul_i32 s6, s3, s2
	s_sub_i32 s4, s4, s6
	s_add_i32 s7, s3, 1
	s_sub_i32 s6, s4, s2
	s_cmp_ge_u32 s4, s2
	s_cselect_b32 s3, s7, s3
	s_cselect_b32 s4, s6, s4
	s_add_i32 s6, s3, 1
	s_cmp_ge_u32 s4, s2
	s_cselect_b32 s2, s6, s3
	s_abs_i32 s3, s9
	v_cvt_f32_u32_e32 v1, s3
	s_xor_b32 s2, s2, s1
	s_sub_i32 s4, 0, s3
	s_sub_i32 s6, s2, s1
	v_rcp_iflag_f32_e32 v1, v1
	s_mul_i32 s1, s6, s8
	s_sub_i32 s1, s0, s1
	s_abs_i32 s2, s1
	v_mul_f32_e32 v1, 0x4f7ffffe, v1
	v_cvt_u32_f32_e32 v1, v1
	s_xor_b32 s0, s1, s9
	s_ashr_i32 s0, s0, 31
	v_readfirstlane_b32 s7, v1
	s_mul_i32 s4, s4, s7
	s_mul_hi_u32 s4, s7, s4
	s_add_i32 s7, s7, s4
	s_mul_hi_u32 s4, s2, s7
	s_mul_i32 s7, s4, s3
	s_sub_i32 s2, s2, s7
	s_add_i32 s8, s4, 1
	s_sub_i32 s7, s2, s3
	s_cmp_ge_u32 s2, s3
	s_cselect_b32 s4, s8, s4
	s_cselect_b32 s2, s7, s2
	s_add_i32 s7, s4, 1
	s_cmp_ge_u32 s2, s3
	s_cselect_b32 s2, s7, s4
	s_xor_b32 s2, s2, s0
	s_sub_i32 s0, s2, s0
	s_mul_i32 s2, s0, s9
	s_sub_i32 s1, s1, s2
	s_ashr_i32 s2, s1, 31
	v_readlane_b32 s3, v188, 8
	s_abs_i32 s1, s1
	s_xor_b32 s2, s2, s3
	s_mul_hi_u32 s3, s1, s54
	s_mul_i32 s4, s3, s91
	s_sub_i32 s1, s1, s4
	s_add_i32 s4, s3, 1
	s_sub_i32 s7, s1, s91
	s_cmp_ge_u32 s1, s91
	s_cselect_b32 s3, s4, s3
	s_cselect_b32 s1, s7, s1
	s_add_i32 s4, s3, 1
	s_cmp_ge_u32 s1, s91
	s_cselect_b32 s1, s4, s3
	s_abs_i32 s7, s12
	v_cvt_f32_u32_e32 v1, s7
	s_xor_b32 s1, s1, s2
	s_sub_i32 s1, s1, s2
	s_cmp_eq_u64 s[46:47], 0
	v_rcp_iflag_f32_e32 v1, v1
	v_mul_f32_e32 v1, 0x4f7ffffe, v1
	v_cvt_u32_f32_e32 v1, v1
	v_readfirstlane_b32 s11, v1
	s_cbranch_scc1 .LBB9_200
; %bb.199:
	v_readlane_b32 s2, v188, 0
	s_mul_i32 s2, s5, s2
	s_add_i32 s2, s1, s2
	s_ashr_i32 s3, s2, 31
	s_lshl_b64 s[2:3], s[2:3], 2
	s_add_u32 s2, s46, s2
	s_addc_u32 s3, s47, s3
	v_mov_b32_e32 v1, 0
	global_load_dword v1, v1, s[2:3]
	s_waitcnt vmcnt(0)
	v_ashrrev_i32_e32 v2, 31, v1
	v_lshrrev_b32_e32 v2, 26, v2
	v_add_u32_e32 v1, v1, v2
	v_ashrrev_i32_e32 v1, 6, v1
	v_min_i32_e32 v8, s56, v1
.LBB9_200:
	v_readlane_b32 s8, v188, 4
	s_mul_i32 s2, s6, s33
	s_lshl_b32 s10, s0, 1
	v_readlane_b32 s9, v188, 5
	s_add_i32 s0, s10, s2
	s_mul_i32 s2, s5, s9
	s_ashr_i32 s3, s2, 31
	s_add_u32 s2, s36, s2
	s_mul_i32 s0, s0, s8
	v_and_b32_e32 v44, 0x3ff, v0
	s_addc_u32 s3, s37, s3
	s_ashr_i32 s4, s0, 31
	v_lshrrev_b32_e32 v49, 5, v44
	s_add_u32 s8, s2, s0
	v_bfe_u32 v0, v44, 5, 1
	v_add_u16_e32 v1, v49, v27
	s_addc_u32 s9, s3, s4
	s_lshl_b32 s4, s1, 4
	v_lshrrev_b16_e32 v1, 1, v1
	v_or_b32_e32 v2, s10, v0
	v_add_u32_e32 v1, s4, v1
	v_cmp_gt_i32_e64 s[0:1], s33, v2
	v_cmp_le_i32_e32 vcc, s20, v1
	s_xor_b64 s[0:1], s[0:1], -1
	v_and_b32_e32 v46, 31, v44
	v_add_u32_e32 v15, v49, v27
	s_or_b64 s[2:3], vcc, s[0:1]
	s_and_saveexec_b64 s[12:13], s[2:3]
	s_xor_b64 s[2:3], exec, s[12:13]
	s_cbranch_execz .LBB9_202
; %bb.201:
	v_mad_u32_u24 v1, v15, 44, v46
	v_lshl_add_u32 v1, v1, 2, 0
	v_mov_b32_e32 v2, 0
	ds_write_b32 v1, v2
                                        ; implicit-def: $vgpr1
.LBB9_202:
	s_andn2_saveexec_b64 s[2:3], s[2:3]
	s_cbranch_execz .LBB9_204
; %bb.203:
	v_mul_lo_u32 v1, v1, s59
	v_mul_lo_u32 v2, v0, s19
	v_add3_u32 v2, v2, v46, v1
	v_ashrrev_i32_e32 v3, 31, v2
	v_lshlrev_b64 v[2:3], 3, v[2:3]
	v_mov_b32_e32 v1, s9
	v_add_co_u32_e32 v2, vcc, s8, v2
	v_addc_co_u32_e32 v3, vcc, v1, v3, vcc
	global_load_dwordx2 v[2:3], v[2:3], off
	s_waitcnt vmcnt(0)
	v_cvt_f16_f32_e32 v1, v2
	v_cvt_f16_f32_e32 v2, v3
	v_mad_u32_u24 v3, v15, 44, v46
	v_pack_b32_f16 v1, v1, v2
	v_pk_mul_f16 v1, v25, v1
	v_lshl_add_u32 v2, v3, 2, 0
	ds_write_b32 v2, v1
.LBB9_204:
	s_or_b64 exec, exec, s[2:3]
	v_add_u32_e32 v22, 8, v15
	v_lshrrev_b32_e32 v1, 1, v22
	v_add_u32_e32 v1, s4, v1
	v_cmp_le_i32_e32 vcc, s20, v1
	s_or_b64 s[2:3], vcc, s[0:1]
	s_and_saveexec_b64 s[12:13], s[2:3]
	s_xor_b64 s[2:3], exec, s[12:13]
	s_cbranch_execz .LBB9_206
; %bb.205:
	v_mad_u32_u24 v1, v22, 44, v46
	v_lshl_add_u32 v1, v1, 2, 0
	v_mov_b32_e32 v2, 0
	ds_write_b32 v1, v2
                                        ; implicit-def: $vgpr1
.LBB9_206:
	s_andn2_saveexec_b64 s[2:3], s[2:3]
	s_cbranch_execz .LBB9_208
; %bb.207:
	v_mul_lo_u32 v1, v1, s59
	v_mul_lo_u32 v2, v0, s19
	v_add3_u32 v2, v2, v46, v1
	v_ashrrev_i32_e32 v3, 31, v2
	v_lshlrev_b64 v[2:3], 3, v[2:3]
	v_mov_b32_e32 v1, s9
	v_add_co_u32_e32 v2, vcc, s8, v2
	v_addc_co_u32_e32 v3, vcc, v1, v3, vcc
	global_load_dwordx2 v[2:3], v[2:3], off
	s_waitcnt vmcnt(0)
	v_cvt_f16_f32_e32 v1, v2
	v_cvt_f16_f32_e32 v2, v3
	v_mad_u32_u24 v3, v22, 44, v46
	v_pack_b32_f16 v1, v1, v2
	v_pk_mul_f16 v1, v25, v1
	v_lshl_add_u32 v2, v3, 2, 0
	ds_write_b32 v2, v1
.LBB9_208:
	s_or_b64 exec, exec, s[2:3]
	v_add_u32_e32 v1, 16, v15
	v_lshrrev_b32_e32 v2, 1, v1
	v_add_u32_e32 v2, s4, v2
	v_cmp_le_i32_e32 vcc, s20, v2
	s_sub_i32 s12, 0, s7
	s_or_b64 s[2:3], vcc, s[0:1]
	s_and_saveexec_b64 s[16:17], s[2:3]
	s_xor_b64 s[2:3], exec, s[16:17]
	s_cbranch_execz .LBB9_210
; %bb.209:
	v_mad_u32_u24 v1, v1, 44, v46
	v_lshl_add_u32 v1, v1, 2, 0
	v_mov_b32_e32 v2, 0
	ds_write_b32 v1, v2
                                        ; implicit-def: $vgpr2
                                        ; implicit-def: $vgpr1
.LBB9_210:
	s_or_saveexec_b64 s[2:3], s[2:3]
	s_mul_i32 s12, s12, s11
	s_xor_b64 exec, exec, s[2:3]
	s_cbranch_execz .LBB9_212
; %bb.211:
	v_mul_lo_u32 v2, v2, s59
	v_mul_lo_u32 v3, v0, s19
	v_add3_u32 v2, v3, v46, v2
	v_ashrrev_i32_e32 v3, 31, v2
	v_lshlrev_b64 v[2:3], 3, v[2:3]
	v_mov_b32_e32 v4, s9
	v_add_co_u32_e32 v2, vcc, s8, v2
	v_addc_co_u32_e32 v3, vcc, v4, v3, vcc
	global_load_dwordx2 v[2:3], v[2:3], off
	v_mad_u32_u24 v1, v1, 44, v46
	v_lshl_add_u32 v1, v1, 2, 0
	s_waitcnt vmcnt(0)
	v_cvt_f16_f32_e32 v2, v2
	v_cvt_f16_f32_e32 v3, v3
	v_pack_b32_f16 v2, v2, v3
	v_pk_mul_f16 v2, v25, v2
	ds_write_b32 v1, v2
.LBB9_212:
	s_or_b64 exec, exec, s[2:3]
	v_add_u32_e32 v1, 24, v15
	v_lshrrev_b32_e32 v2, 1, v1
	v_add_u32_e32 v2, s4, v2
	v_cmp_le_i32_e32 vcc, s20, v2
	s_mul_hi_u32 s3, s11, s12
	s_or_b64 s[0:1], vcc, s[0:1]
	s_and_saveexec_b64 s[12:13], s[0:1]
	s_xor_b64 s[0:1], exec, s[12:13]
	s_cbranch_execz .LBB9_214
; %bb.213:
	v_mad_u32_u24 v0, v1, 44, v46
	v_lshl_add_u32 v0, v0, 2, 0
	v_mov_b32_e32 v1, 0
	ds_write_b32 v0, v1
                                        ; implicit-def: $vgpr2
                                        ; implicit-def: $vgpr0
                                        ; implicit-def: $vgpr1
.LBB9_214:
	s_or_saveexec_b64 s[0:1], s[0:1]
	s_abs_i32 s2, s5
	s_add_i32 s11, s11, s3
	s_xor_b64 exec, exec, s[0:1]
	s_cbranch_execz .LBB9_216
; %bb.215:
	v_mul_lo_u32 v2, v2, s59
	v_mul_lo_u32 v0, v0, s19
	v_add3_u32 v2, v0, v46, v2
	v_ashrrev_i32_e32 v3, 31, v2
	v_lshlrev_b64 v[2:3], 3, v[2:3]
	v_mov_b32_e32 v0, s9
	v_add_co_u32_e32 v2, vcc, s8, v2
	v_addc_co_u32_e32 v3, vcc, v0, v3, vcc
	global_load_dwordx2 v[2:3], v[2:3], off
	v_mad_u32_u24 v1, v1, 44, v46
	v_lshl_add_u32 v1, v1, 2, 0
	s_waitcnt vmcnt(0)
	v_cvt_f16_f32_e32 v0, v2
	v_cvt_f16_f32_e32 v2, v3
	v_pack_b32_f16 v0, v0, v2
	v_pk_mul_f16 v0, v25, v0
	ds_write_b32 v1, v0
.LBB9_216:
	s_or_b64 exec, exec, s[0:1]
	v_lshrrev_b32_e32 v48, 3, v44
	v_add_u32_e32 v61, v67, v48
	v_lshrrev_b32_e32 v1, 1, v61
	v_and_b32_e32 v0, 1, v48
	v_add_u32_e32 v1, s4, v1
	v_or_b32_e32 v2, s10, v0
	v_cmp_le_i32_e32 vcc, s20, v1
	v_cmp_le_i32_e64 s[0:1], s33, v2
	s_mul_hi_u32 s3, s2, s11
	s_or_b64 s[0:1], vcc, s[0:1]
	s_and_saveexec_b64 s[10:11], s[0:1]
	s_xor_b64 s[0:1], exec, s[10:11]
	s_cbranch_execz .LBB9_218
; %bb.217:
	v_and_b32_e32 v0, 7, v44
	v_mad_u32_u24 v0, v61, 44, v0
	v_lshl_add_u32 v0, v0, 2, 0
	v_mov_b32_e32 v1, 0
	ds_write_b32 v0, v1 offset:128
                                        ; implicit-def: $vgpr1
                                        ; implicit-def: $vgpr0
                                        ; implicit-def: $vgpr25
.LBB9_218:
	s_or_saveexec_b64 s[0:1], s[0:1]
	s_ashr_i32 s14, s5, 31
	s_xor_b64 exec, exec, s[0:1]
	s_cbranch_execz .LBB9_220
; %bb.219:
	v_mul_lo_u32 v3, v1, s59
	v_and_b32_e32 v2, 7, v44
	v_mad_u64_u32 v[0:1], s[10:11], s19, v0, v[2:3]
	v_add3_u32 v0, v0, v3, 32
	v_ashrrev_i32_e32 v1, 31, v0
	v_lshlrev_b64 v[0:1], 3, v[0:1]
	v_mov_b32_e32 v3, s9
	v_add_co_u32_e32 v0, vcc, s8, v0
	v_addc_co_u32_e32 v1, vcc, v3, v1, vcc
	global_load_dwordx2 v[0:1], v[0:1], off
	v_mad_u32_u24 v2, v61, 44, v2
	s_waitcnt vmcnt(0)
	v_cvt_f16_f32_e32 v0, v0
	v_cvt_f16_f32_e32 v1, v1
	v_pack_b32_f16 v0, v0, v1
	v_pk_mul_f16 v0, v25, v0
	v_lshl_add_u32 v1, v2, 2, 0
	ds_write_b32 v1, v0 offset:128
.LBB9_220:
	s_or_b64 exec, exec, s[0:1]
	s_mul_i32 s0, s5, s25
	s_mul_hi_u32 s1, s5, s24
	s_add_i32 s0, s1, s0
	s_mul_i32 s1, s14, s24
	v_readlane_b32 s8, v188, 6
	s_add_i32 s0, s0, s1
	s_mul_i32 s1, s5, s24
	v_readlane_b32 s9, v188, 7
	s_add_u32 s1, s38, s1
	s_mul_i32 s8, s6, s9
	s_addc_u32 s0, s39, s0
	s_ashr_i32 s9, s8, 31
	s_add_u32 s10, s1, s8
	s_mul_i32 s3, s3, s7
	s_addc_u32 s11, s0, s9
	s_sub_i32 s0, s2, s3
	s_sub_i32 s1, s0, s7
	s_cmp_ge_u32 s0, s7
	s_cselect_b32 s0, s1, s0
	s_sub_i32 s1, s0, s7
	s_cmp_ge_u32 s0, s7
	s_cselect_b32 s0, s1, s0
	s_xor_b32 s0, s0, s14
	s_sub_i32 s0, s0, s14
	s_ashr_i32 s1, s0, 31
	s_mul_i32 s2, s0, s53
	s_mul_hi_u32 s3, s0, s52
	s_add_i32 s2, s3, s2
	s_mul_i32 s1, s1, s52
	s_add_i32 s2, s2, s1
	s_mul_i32 s0, s0, s52
	s_add_u32 s12, s42, s0
	s_mul_i32 s0, s5, s35
	s_mul_hi_u32 s1, s5, s34
	s_addc_u32 s13, s43, s2
	s_add_i32 s0, s1, s0
	s_mul_i32 s14, s14, s34
	s_add_i32 s0, s0, s14
	s_mul_i32 s5, s5, s34
	s_add_u32 s1, s40, s5
	s_mul_i32 s6, s6, s27
	s_addc_u32 s0, s41, s0
	s_ashr_i32 s2, s6, 31
	s_add_u32 s6, s1, s6
	s_addc_u32 s7, s0, s2
	v_and_b32_e32 v9, 0x1ff0, v67
	s_movk_i32 s0, 0xb0
	v_and_b32_e32 v50, 15, v44
	v_and_b32_e32 v51, 0x7e, v48
	v_mad_u32_u24 v0, v9, s0, 0
	v_mul_u32_u24_e32 v65, 0xb0, v50
	v_lshlrev_b32_e32 v64, 2, v51
	v_add3_u32 v10, v0, v65, v64
	s_waitcnt lgkmcnt(0)
	s_barrier
	ds_read2_b64 v[4:7], v10 offset1:4
	ds_read2_b64 v[0:3], v10 offset0:8 offset1:12
	ds_read_b64 v[10:11], v10 offset:128
	v_add_u32_e32 v74, -1, v8
	v_cmp_lt_i32_e32 vcc, s15, v74
	v_lshlrev_b32_e32 v8, 1, v44
	s_mov_b32 s5, 0
	v_and_b32_e32 v13, 62, v8
	s_waitcnt lgkmcnt(0)
	s_barrier
	s_cbranch_vccnz .LBB9_223
; %bb.221:
	v_add_u32_e32 v8, s4, v15
	v_mul_hi_u32 v12, s28, v8
	v_add_u32_e32 v12, v8, v12
	v_lshrrev_b32_e32 v12, s29, v12
	v_mul_lo_u32 v12, v12, s20
	v_sub_u32_e32 v8, v8, v12
	v_mad_i64_i32 v[18:19], s[0:1], v8, s30, 0
	v_add_u32_e32 v8, s4, v22
	v_mul_hi_u32 v12, s28, v8
	v_add_u32_e32 v12, v8, v12
	v_lshrrev_b32_e32 v12, s29, v12
	v_mul_lo_u32 v12, v12, s20
	v_sub_u32_e32 v8, v8, v12
	s_movk_i32 s2, 0x90
	v_mov_b32_e32 v12, 0x480
	v_mad_i64_i32 v[20:21], s[0:1], v8, s30, 0
	v_lshrrev_b32_e32 v8, 1, v44
	v_mul_u32_u24_e32 v72, 0x90, v15
	v_mad_u32_u24 v73, v15, s2, v12
	s_ashr_i32 s3, s22, 31
	v_lshl_add_u32 v63, v45, 5, v8
	s_mov_b64 s[0:1], 0
	s_mov_b32 s9, 0xfeffffff
	s_mov_b32 s8, 0
	s_branch .LBB9_224
.LBB9_222:
                                        ; implicit-def: $sgpr62_sgpr63
	s_load_dwordx2 s[28:29], s[4:5], 0x5c
	s_branch .LBB9_7
.LBB9_223:
	s_mov_b64 s[0:1], -1
                                        ; implicit-def: $sgpr8
                                        ; implicit-def: $sgpr5
                                        ; implicit-def: $sgpr9
                                        ; implicit-def: $vgpr72
                                        ; implicit-def: $vgpr18_vgpr19
                                        ; implicit-def: $vgpr73
                                        ; implicit-def: $vgpr20_vgpr21
                                        ; implicit-def: $vgpr63
                                        ; implicit-def: $sgpr2_sgpr3
.LBB9_224:
	v_mul_lo_u32 v16, s22, v61
	v_mul_lo_u32 v8, s18, v61
	s_andn2_b64 vcc, exec, s[0:1]
	v_mov_b32_e32 v53, s8
	v_mov_b32_e32 v36, s5
	v_mov_b32_e32 v12, s9
	v_lshlrev_b32_e32 v75, 1, v13
	v_ashrrev_i32_e32 v17, 31, v16
	v_add_u32_e32 v57, 32, v61
	v_lshl_add_u32 v14, s22, 5, v16
	v_lshrrev_b32_e32 v55, 2, v44
	v_and_or_b32 v66, v44, 14, v9
	v_and_b32_e32 v52, 8, v67
	v_ashrrev_i32_e32 v9, 31, v8
	v_lshlrev_b32_e32 v13, 1, v50
	v_mov_b32_e32 v54, s8
	v_mov_b32_e32 v56, s8
	v_mov_b32_e32 v62, s8
	v_mov_b32_e32 v59, s8
	v_mov_b32_e32 v60, s8
	v_mov_b32_e32 v68, s8
	v_mov_b32_e32 v69, s8
	v_mov_b32_e32 v58, s8
	v_mov_b32_e32 v70, s8
	s_cbranch_vccnz .LBB9_232
; %bb.225:
	v_mov_b32_e32 v12, s13
	v_add_co_u32_e32 v76, vcc, s12, v75
	v_addc_co_u32_e32 v77, vcc, 0, v12, vcc
	v_add_u32_e32 v12, s4, v15
	v_mul_hi_u32 v18, s28, v12
	v_add_u32_e32 v18, v12, v18
	v_lshrrev_b32_e32 v18, s29, v18
	v_mul_lo_u32 v18, v18, s20
	v_sub_u32_e32 v12, v12, v18
	v_mad_i64_i32 v[18:19], s[0:1], v12, s30, 0
	v_add_u32_e32 v12, s4, v22
	v_mul_hi_u32 v20, s28, v12
	v_add_u32_e32 v20, v12, v20
	v_lshrrev_b32_e32 v20, s29, v20
	v_mul_lo_u32 v20, v20, s20
	s_movk_i32 s2, 0x90
	v_sub_u32_e32 v12, v12, v20
	v_mov_b32_e32 v20, 0x480
	v_mad_u32_u24 v73, v15, s2, v20
	v_mad_i64_i32 v[20:21], s[0:1], v12, s30, 0
	v_lshrrev_b32_e32 v12, 1, v44
	v_lshlrev_b32_e32 v27, 2, v44
	v_lshl_add_u32 v63, v45, 5, v12
	s_movk_i32 s4, 0xb0
	v_and_b32_e32 v22, 4, v27
	v_mul_u32_u24_e32 v72, 0x90, v15
	v_mad_u32_u24 v12, v63, s4, 0
	v_lshlrev_b32_e32 v15, 2, v22
	s_movk_i32 s5, 0x80
	v_add3_u32 v78, v12, v15, s5
	v_and_b32_e32 v12, 16, v47
	v_and_b32_e32 v29, 0xfc, v55
	v_mul_u32_u24_e32 v33, 0xb0, v12
	v_add_u32_e32 v30, v29, v12
	v_lshrrev_b32_e32 v31, 1, v66
	v_add_u16_e32 v12, v29, v12
	v_mad_u32_u24 v31, v31, s2, 0
	v_lshrrev_b16_e32 v12, 1, v12
	v_lshl_add_u32 v36, v12, 2, v31
	v_lshl_add_u32 v12, v30, 1, v31
	v_add_u32_e32 v79, 64, v12
	v_add_u32_e32 v80, 0x44, v12
	v_mbcnt_hi_u32_b32 v12, -1, v71
	v_and_b32_e32 v30, 64, v12
	v_add_u32_e32 v30, 64, v30
	v_xor_b32_e32 v31, 32, v12
	v_cmp_lt_i32_e32 vcc, v31, v30
	v_cndmask_b32_e32 v31, v12, v31, vcc
	v_lshlrev_b32_e32 v81, 2, v31
	v_xor_b32_e32 v31, 16, v12
	v_cmp_lt_i32_e32 vcc, v31, v30
	v_cndmask_b32_e32 v12, v12, v31, vcc
	v_mul_u32_u24_e32 v34, 0x58, v29
	s_movk_i32 s2, 0x160
	v_lshlrev_b32_e32 v82, 2, v12
	v_or_b32_e32 v12, 3, v55
	v_mul_u32_u24_e32 v37, 0xb0, v29
	v_or_b32_e32 v38, v34, v50
	v_mul_u32_u24_e32 v39, 0x160, v52
	v_mad_u32_u24 v40, v52, s2, 0
	v_mul_u32_u24_e32 v12, 0xb0, v12
	v_lshlrev_b32_e32 v38, 1, v38
	v_add3_u32 v84, v40, v37, v13
	v_add3_u32 v37, 0, 32, v39
	v_add_u32_e32 v83, v40, v38
	v_add3_u32 v85, v40, v12, v13
	v_add_u32_e32 v88, v37, v38
	v_mad_u32_u24 v40, v29, s4, v37
	v_add3_u32 v90, v37, v12, v13
	v_add3_u32 v37, 0, 64, v39
	s_add_i32 s8, 0, 0x60
	v_add_u32_e32 v92, v37, v38
	v_mad_u32_u24 v39, v29, s4, v37
	v_add3_u32 v94, v37, v12, v13
	v_mov_b32_e32 v37, s8
	s_movk_i32 s5, 0x1600
	v_mad_u32_u24 v37, v52, s2, v37
	s_add_i32 s8, 0, 0x80
	v_add3_u32 v93, v39, v13, s5
	v_add_u32_e32 v96, v37, v38
	v_mad_u32_u24 v39, v29, s4, v37
	v_add3_u32 v98, v37, v12, v13
	v_mov_b32_e32 v37, s8
	v_mad_u32_u24 v37, v52, s2, v37
	v_add3_u32 v102, v37, v12, v13
	v_and_b32_e32 v12, 28, v27
	v_mul_lo_u32 v24, s22, v63
	v_mul_u32_u24_e32 v28, 0xb0, v61
	v_mul_lo_u32 v30, s18, v63
	v_mul_lo_u32 v34, s18, v57
	v_lshlrev_b32_e32 v27, 2, v12
	v_add_u32_e32 v26, 0, v75
	v_ashrrev_i32_e32 v25, 31, v24
	v_ashrrev_i32_e32 v15, 31, v14
	v_add3_u32 v32, 0, v65, v64
	v_ashrrev_i32_e32 v31, 31, v30
	v_ashrrev_i32_e32 v35, 31, v34
	v_mad_u32_u24 v29, v29, s4, v37
	v_add3_u32 v103, 0, v28, v27
	v_mov_b32_e32 v109, 0
	s_ashr_i32 s3, s22, 31
	v_cmp_gt_u32_e64 s[0:1], 64, v63
	v_add_u32_e32 v86, 0x1600, v84
	v_add_u32_e32 v87, 32, v84
	v_add3_u32 v89, v40, v13, s5
	v_add_u32_e32 v91, 64, v84
	v_add_u32_e32 v95, 0x60, v84
	v_add3_u32 v97, v39, v13, s5
	;; [unrolled: 3-line block ×3, first 2 shown]
	v_add_u32_e32 v104, 0x1600, v103
	s_lshl_b32 s4, s15, 6
	v_mov_b32_e32 v110, 0xfeffffff
	v_add_u32_e32 v105, v26, v72
	v_lshlrev_b64 v[24:25], 2, v[24:25]
	v_lshlrev_b64 v[26:27], 2, v[16:17]
	v_lshlrev_b32_e32 v106, 2, v12
	v_lshlrev_b64 v[28:29], 2, v[14:15]
	v_add_u32_e32 v15, v32, v33
	v_add_u32_e32 v107, 0x2c00, v36
	v_lshlrev_b64 v[30:31], 2, v[30:31]
	s_mov_b32 s2, 0x3fb8aa3b
	s_mov_b32 s14, 0xc2ce8ed0
	;; [unrolled: 1-line block ×4, first 2 shown]
	v_lshlrev_b64 v[32:33], 2, v[8:9]
	v_lshlrev_b64 v[34:35], 2, v[34:35]
	s_mov_b32 s19, 0x5040100
	v_mov_b32_e32 v108, 0x7f800000
	v_mov_b32_e32 v70, 0
	;; [unrolled: 1-line block ×11, first 2 shown]
.LBB9_226:                              ; =>This Inner Loop Header: Depth=1
	s_ashr_i32 s5, s4, 31
	s_lshl_b64 s[8:9], s[4:5], 1
	v_mov_b32_e32 v12, s9
	v_add_co_u32_e32 v40, vcc, s8, v76
	v_addc_co_u32_e32 v12, vcc, v77, v12, vcc
	v_lshlrev_b64 v[36:37], 1, v[18:19]
	v_add_co_u32_e32 v36, vcc, v40, v36
	v_addc_co_u32_e32 v37, vcc, v12, v37, vcc
	v_lshlrev_b64 v[38:39], 1, v[20:21]
	v_add_co_u32_e32 v38, vcc, v40, v38
	v_addc_co_u32_e32 v39, vcc, v12, v39, vcc
	global_load_dword v12, v[36:37], off
	global_load_dword v40, v[38:39], off
	s_mul_hi_i32 s9, s4, s22
	s_mul_i32 s8, s4, s22
	s_lshl_b64 s[8:9], s[8:9], 2
	s_add_u32 s5, s10, s8
	s_addc_u32 s20, s11, s9
	s_waitcnt vmcnt(1)
	ds_write_b32 v105, v12 offset:11264
	s_waitcnt vmcnt(0)
	ds_write_b32 v105, v40 offset:12416
	s_and_saveexec_b64 s[8:9], s[0:1]
	s_cbranch_execz .LBB9_228
; %bb.227:                              ;   in Loop: Header=BB9_226 Depth=1
	v_mov_b32_e32 v12, s20
	v_add_co_u32_e32 v36, vcc, s5, v24
	v_addc_co_u32_e32 v12, vcc, v12, v25, vcc
	v_lshlrev_b32_e32 v37, 2, v22
	v_add_co_u32_e32 v36, vcc, v36, v37
	v_addc_co_u32_e32 v37, vcc, 0, v12, vcc
	global_load_dwordx4 v[36:39], v[36:37], off offset:128
	s_waitcnt vmcnt(0)
	ds_write_b128 v78, v[36:39]
.LBB9_228:                              ;   in Loop: Header=BB9_226 Depth=1
	s_or_b64 exec, exec, s[8:9]
	v_mov_b32_e32 v12, s20
	v_add_co_u32_e32 v36, vcc, s5, v26
	v_addc_co_u32_e32 v12, vcc, v12, v27, vcc
	v_add_co_u32_e32 v112, vcc, v36, v106
	v_addc_co_u32_e32 v113, vcc, 0, v12, vcc
	v_mov_b32_e32 v12, s20
	v_add_co_u32_e32 v36, vcc, s5, v28
	v_addc_co_u32_e32 v12, vcc, v12, v29, vcc
	v_add_co_u32_e32 v114, vcc, v36, v106
	v_addc_co_u32_e32 v115, vcc, 0, v12, vcc
	global_load_dwordx4 v[36:39], v[112:113], off
	global_load_dwordx4 v[40:43], v[114:115], off
	v_add_u32_e32 v12, 0x1000, v15
	s_mul_hi_i32 s9, s4, s18
	s_mul_i32 s8, s4, s18
	s_lshl_b64 s[8:9], s[8:9], 2
	s_add_u32 s5, s6, s8
	s_addc_u32 s20, s7, s9
	s_waitcnt vmcnt(1)
	ds_write_b128 v103, v[36:39]
	s_waitcnt vmcnt(0)
	ds_write_b128 v104, v[40:43]
	s_waitcnt lgkmcnt(0)
	s_barrier
	ds_read2_b64 v[36:39], v15 offset1:4
	ds_read2_b64 v[112:115], v12 offset0:192 offset1:196
	s_waitcnt lgkmcnt(1)
	v_mfma_f32_16x16x16f16 v[40:43], v[36:37], v[4:5], 0
	s_waitcnt lgkmcnt(0)
	v_mfma_f32_16x16x16f16 v[116:119], v[112:113], v[4:5], 0
	v_mfma_f32_16x16x16f16 v[36:39], v[38:39], v[6:7], v[40:43]
	;; [unrolled: 1-line block ×3, first 2 shown]
	ds_read2_b64 v[112:115], v15 offset0:8 offset1:12
	s_nop 7
	ds_read2_b64 v[116:119], v12 offset0:200 offset1:204
	s_waitcnt lgkmcnt(1)
	v_mfma_f32_16x16x16f16 v[36:39], v[112:113], v[0:1], v[36:39]
	s_waitcnt lgkmcnt(0)
	v_mfma_f32_16x16x16f16 v[40:43], v[116:117], v[0:1], v[40:43]
	v_mfma_f32_16x16x16f16 v[36:39], v[114:115], v[2:3], v[36:39]
	ds_read_b64 v[112:113], v15 offset:128
	ds_read_b64 v[114:115], v15 offset:5760
	s_waitcnt lgkmcnt(0)
	s_barrier
	ds_read2_b32 v[116:117], v107 offset1:1
	ds_read_b32 v12, v79 offset:11264
	ds_read_b32 v111, v80 offset:11264
	s_waitcnt lgkmcnt(2)
	v_cvt_f32_f16_e32 v120, v116
	v_mfma_f32_16x16x16f16 v[40:43], v[118:119], v[2:3], v[40:43]
	v_cvt_f32_f16_sdwa v121, v116 dst_sel:DWORD dst_unused:UNUSED_PAD src0_sel:WORD_1
	v_cvt_f32_f16_e32 v118, v117
	v_cvt_f32_f16_sdwa v119, v117 dst_sel:DWORD dst_unused:UNUSED_PAD src0_sel:WORD_1
	s_waitcnt lgkmcnt(1)
	v_cvt_f32_f16_sdwa v123, v12 dst_sel:DWORD dst_unused:UNUSED_PAD src0_sel:WORD_1
	v_cvt_f32_f16_e32 v122, v12
	s_waitcnt lgkmcnt(0)
	v_cvt_f32_f16_sdwa v117, v111 dst_sel:DWORD dst_unused:UNUSED_PAD src0_sel:WORD_1
	v_cvt_f32_f16_e32 v116, v111
	v_mfma_f32_16x16x16f16 v[36:39], v[112:113], v[10:11], v[36:39]
	v_mfma_f32_16x16x16f16 v[112:115], v[114:115], v[10:11], v[40:43]
	s_nop 7
	s_nop 1
	v_pk_add_f32 v[42:43], v[36:37], v[120:121]
	v_pk_add_f32 v[40:41], v[38:39], v[118:119]
	;; [unrolled: 1-line block ×3, first 2 shown]
	v_add_f32_e32 v112, 0x40051340, v42
	v_add_f32_e32 v113, 0x40051340, v43
	;; [unrolled: 1-line block ×4, first 2 shown]
	v_max3_f32 v112, v110, v112, v113
	v_pk_add_f32 v[36:37], v[114:115], v[116:117]
	v_add_f32_e32 v116, 0x40051340, v38
	v_add_f32_e32 v117, 0x40051340, v39
	v_max3_f32 v12, v112, v12, v111
	v_add_f32_e32 v114, 0x40051340, v36
	v_add_f32_e32 v115, 0x40051340, v37
	v_max3_f32 v12, v12, v116, v117
	v_max3_f32 v12, v12, v114, v115
	ds_bpermute_b32 v111, v81, v12
	s_waitcnt lgkmcnt(0)
	v_max_f32_e32 v111, v111, v111
	v_max_f32_e32 v12, v12, v111
	ds_bpermute_b32 v111, v82, v12
	s_and_saveexec_b64 s[8:9], s[0:1]
	s_cbranch_execz .LBB9_230
; %bb.229:                              ;   in Loop: Header=BB9_226 Depth=1
	v_mov_b32_e32 v112, s20
	v_add_co_u32_e32 v113, vcc, s5, v30
	v_addc_co_u32_e32 v114, vcc, v112, v31, vcc
	v_lshlrev_b32_e32 v112, 2, v22
	v_add_co_u32_e32 v112, vcc, v113, v112
	v_addc_co_u32_e32 v113, vcc, 0, v114, vcc
	global_load_dwordx4 v[112:115], v[112:113], off offset:128
	s_waitcnt vmcnt(0)
	ds_write_b128 v78, v[112:115]
.LBB9_230:                              ;   in Loop: Header=BB9_226 Depth=1
	s_or_b64 exec, exec, s[8:9]
	s_waitcnt lgkmcnt(0)
	v_max_f32_e32 v111, v111, v111
	v_max_f32_e32 v12, v12, v12
	;; [unrolled: 1-line block ×3, first 2 shown]
	v_pk_add_f32 v[42:43], v[42:43], v[12:13] op_sel_hi:[1,0] neg_lo:[0,1] neg_hi:[0,1]
	v_mul_f32_e32 v111, 0x3fb8aa3b, v43
	v_fma_f32 v112, v43, s2, -v111
	v_rndne_f32_e32 v113, v111
	v_fmac_f32_e32 v112, 0x32a5705f, v43
	v_sub_f32_e32 v111, v111, v113
	v_add_f32_e32 v111, v111, v112
	v_exp_f32_e32 v111, v111
	v_cvt_i32_f32_e32 v112, v113
	v_cmp_ngt_f32_e32 vcc, s14, v43
	v_pk_add_f32 v[40:41], v[40:41], v[12:13] op_sel_hi:[1,0] neg_lo:[0,1] neg_hi:[0,1]
	v_pk_add_f32 v[36:37], v[36:37], v[12:13] op_sel_hi:[1,0] neg_lo:[0,1] neg_hi:[0,1]
	v_ldexp_f32 v111, v111, v112
	v_mul_f32_e32 v112, 0x3fb8aa3b, v42
	v_fma_f32 v113, v42, s2, -v112
	v_rndne_f32_e32 v114, v112
	v_fmac_f32_e32 v113, 0x32a5705f, v42
	v_sub_f32_e32 v112, v112, v114
	v_add_f32_e32 v112, v112, v113
	v_exp_f32_e32 v112, v112
	v_cvt_i32_f32_e32 v113, v114
	v_cndmask_b32_e32 v111, 0, v111, vcc
	v_cmp_nlt_f32_e32 vcc, s16, v43
	v_cndmask_b32_e32 v111, v108, v111, vcc
	v_ldexp_f32 v43, v112, v113
	v_mul_f32_e32 v112, 0x3fb8aa3b, v41
	v_fma_f32 v113, v41, s2, -v112
	v_rndne_f32_e32 v114, v112
	v_fmac_f32_e32 v113, 0x32a5705f, v41
	v_sub_f32_e32 v112, v112, v114
	v_add_f32_e32 v112, v112, v113
	v_exp_f32_e32 v112, v112
	v_cvt_i32_f32_e32 v113, v114
	v_cmp_ngt_f32_e32 vcc, s14, v42
	v_cndmask_b32_e32 v43, 0, v43, vcc
	v_cmp_nlt_f32_e32 vcc, s16, v42
	v_cndmask_b32_e32 v120, v108, v43, vcc
	v_mul_f32_e32 v43, 0x3fb8aa3b, v40
	v_ldexp_f32 v42, v112, v113
	v_fma_f32 v112, v40, s2, -v43
	v_rndne_f32_e32 v113, v43
	v_fmac_f32_e32 v112, 0x32a5705f, v40
	v_sub_f32_e32 v43, v43, v113
	v_add_f32_e32 v43, v43, v112
	v_exp_f32_e32 v43, v43
	v_cvt_i32_f32_e32 v112, v113
	v_cmp_ngt_f32_e32 vcc, s14, v41
	v_cndmask_b32_e32 v42, 0, v42, vcc
	v_cmp_nlt_f32_e32 vcc, s16, v41
	v_cndmask_b32_e32 v121, v108, v42, vcc
	v_ldexp_f32 v41, v43, v112
	v_pk_add_f32 v[42:43], v[38:39], v[12:13] op_sel_hi:[1,0] neg_lo:[0,1] neg_hi:[0,1]
	v_mul_f32_e32 v38, 0x3fb8aa3b, v43
	v_fma_f32 v39, v43, s2, -v38
	v_rndne_f32_e32 v112, v38
	v_fmac_f32_e32 v39, 0x32a5705f, v43
	v_sub_f32_e32 v38, v38, v112
	v_add_f32_e32 v38, v38, v39
	v_exp_f32_e32 v38, v38
	v_cvt_i32_f32_e32 v39, v112
	v_cmp_ngt_f32_e32 vcc, s14, v40
	v_cndmask_b32_e32 v41, 0, v41, vcc
	v_cmp_nlt_f32_e32 vcc, s16, v40
	v_ldexp_f32 v123, v38, v39
	v_mul_f32_e32 v38, 0x3fb8aa3b, v42
	v_rndne_f32_e32 v125, v38
	v_cndmask_b32_e32 v122, v108, v41, vcc
	v_fma_f32 v124, v42, s2, -v38
	v_sub_f32_e32 v126, v38, v125
	v_mov_b32_e32 v38, s20
	v_add_co_u32_e32 v39, vcc, s5, v32
	v_addc_co_u32_e32 v38, vcc, v38, v33, vcc
	v_add_co_u32_e32 v116, vcc, v39, v106
	v_addc_co_u32_e32 v117, vcc, 0, v38, vcc
	v_mov_b32_e32 v38, s20
	v_add_co_u32_e32 v39, vcc, s5, v34
	v_addc_co_u32_e32 v38, vcc, v38, v35, vcc
	v_add_co_u32_e32 v118, vcc, v39, v106
	v_addc_co_u32_e32 v119, vcc, 0, v38, vcc
	global_load_dwordx4 v[38:41], v[116:117], off
	global_load_dwordx4 v[112:115], v[118:119], off
	v_fmac_f32_e32 v124, 0x32a5705f, v42
	v_add_f32_e32 v116, v126, v124
	v_exp_f32_e32 v116, v116
	v_cvt_i32_f32_e32 v117, v125
	v_cmp_ngt_f32_e32 vcc, s14, v43
	v_cndmask_b32_e32 v118, 0, v123, vcc
	v_cmp_nlt_f32_e32 vcc, s16, v43
	v_ldexp_f32 v116, v116, v117
	v_mul_f32_e32 v117, 0x3fb8aa3b, v37
	v_cndmask_b32_e32 v43, v108, v118, vcc
	v_fma_f32 v118, v37, s2, -v117
	v_rndne_f32_e32 v119, v117
	v_fmac_f32_e32 v118, 0x32a5705f, v37
	v_sub_f32_e32 v117, v117, v119
	v_add_f32_e32 v117, v117, v118
	v_exp_f32_e32 v117, v117
	v_cvt_i32_f32_e32 v118, v119
	v_cmp_ngt_f32_e32 vcc, s14, v42
	v_cndmask_b32_e32 v116, 0, v116, vcc
	v_cmp_nlt_f32_e32 vcc, s16, v42
	v_cndmask_b32_e32 v42, v108, v116, vcc
	v_ldexp_f32 v116, v117, v118
	v_mul_f32_e32 v117, 0x3fb8aa3b, v36
	v_fma_f32 v118, v36, s2, -v117
	v_rndne_f32_e32 v119, v117
	v_fmac_f32_e32 v118, 0x32a5705f, v36
	v_sub_f32_e32 v117, v117, v119
	v_add_f32_e32 v117, v117, v118
	v_exp_f32_e32 v117, v117
	v_cvt_i32_f32_e32 v118, v119
	v_cmp_ngt_f32_e32 vcc, s14, v37
	v_cndmask_b32_e32 v116, 0, v116, vcc
	v_cmp_nlt_f32_e32 vcc, s16, v37
	v_sub_f32_e32 v110, v110, v12
	v_cndmask_b32_e32 v37, v108, v116, vcc
	v_ldexp_f32 v116, v117, v118
	v_mul_f32_e32 v117, 0x3fb8aa3b, v110
	v_fma_f32 v118, v110, s2, -v117
	v_rndne_f32_e32 v119, v117
	v_fmac_f32_e32 v118, 0x32a5705f, v110
	v_sub_f32_e32 v117, v117, v119
	v_add_f32_e32 v117, v117, v118
	v_exp_f32_e32 v117, v117
	v_cvt_i32_f32_e32 v118, v119
	v_cmp_ngt_f32_e32 vcc, s14, v36
	v_cndmask_b32_e32 v116, 0, v116, vcc
	v_cmp_nlt_f32_e32 vcc, s16, v36
	v_add_f32_e32 v36, v120, v111
	v_add_f32_e32 v36, v122, v36
	v_cndmask_b32_e32 v116, v108, v116, vcc
	v_add_f32_e32 v36, v121, v36
	v_ldexp_f32 v117, v117, v118
	v_cmp_ngt_f32_e32 vcc, s14, v110
	v_add_f32_e32 v36, v42, v36
	v_cndmask_b32_e32 v117, 0, v117, vcc
	v_cmp_nlt_f32_e32 vcc, s16, v110
	v_add_f32_e32 v36, v43, v36
	v_cndmask_b32_e32 v117, v108, v117, vcc
	v_cmp_le_f32_e32 vcc, s17, v110
	v_cndmask_b32_e32 v110, 0, v117, vcc
	v_add_f32_e32 v36, v116, v36
	v_cvt_f16_f32_e32 v118, v110
	v_add_f32_e32 v36, v37, v36
	v_fmac_f32_e32 v36, v109, v110
	v_cvt_f16_f32_e32 v110, v42
	s_waitcnt vmcnt(1)
	ds_write_b128 v103, v[38:41]
	s_waitcnt vmcnt(0)
	ds_write_b128 v104, v[112:115]
	s_waitcnt lgkmcnt(0)
	s_barrier
	ds_read_u16 v41, v84 offset:176
	ds_read_u16 v42, v84 offset:352
	v_pk_mul_f16 v69, v118, v69 op_sel_hi:[0,1]
	v_cvt_f16_f32_e32 v109, v43
	v_cvt_f16_f32_e32 v117, v120
	;; [unrolled: 1-line block ×4, first 2 shown]
	v_cvt_f32_f16_e32 v38, v69
	v_cvt_f32_f16_sdwa v39, v69 dst_sel:DWORD dst_unused:UNUSED_PAD src0_sel:WORD_1
	ds_read_u16 v69, v86 offset:352
	ds_read_u16 v43, v85
	ds_read_u16 v113, v85 offset:32
	ds_read_u16 v121, v85 offset:64
	;; [unrolled: 1-line block ×6, first 2 shown]
	s_waitcnt lgkmcnt(6)
	v_perm_b32 v43, v43, v42, s19
	ds_read_u16 v42, v83
	ds_read_u16 v125, v83 offset:32
	ds_read_u16 v126, v83 offset:64
	;; [unrolled: 1-line block ×5, first 2 shown]
	v_pk_mul_f16 v68, v118, v68 op_sel_hi:[0,1]
	v_cvt_f16_f32_e32 v111, v111
	s_waitcnt lgkmcnt(5)
	v_perm_b32 v42, v41, v42, s19
	v_cvt_f32_f16_e32 v40, v68
	v_cvt_f32_f16_sdwa v41, v68 dst_sel:DWORD dst_unused:UNUSED_PAD src0_sel:WORD_1
	v_pack_b32_f16 v114, v117, v111
	v_pack_b32_f16 v115, v120, v119
	v_cvt_f16_f32_e32 v37, v37
	v_cvt_f16_f32_e32 v68, v116
	v_mfma_f32_16x16x16f16 v[38:41], v[42:43], v[114:115], v[38:41]
	v_perm_b32 v43, v123, v69, s19
	s_waitcnt lgkmcnt(1)
	v_perm_b32 v42, v112, v128, s19
	v_pk_mul_f16 v70, v118, v70 op_sel_hi:[0,1]
	v_pack_b32_f16 v116, v110, v109
	v_pack_b32_f16 v117, v68, v37
	v_cvt_f32_f16_e32 v110, v70
	v_cvt_f32_f16_sdwa v111, v70 dst_sel:DWORD dst_unused:UNUSED_PAD src0_sel:WORD_1
	s_nop 2
	v_cvt_f16_f32_e32 v38, v38
	v_cvt_f16_f32_e32 v39, v39
	;; [unrolled: 1-line block ×4, first 2 shown]
	v_cvt_f32_f16_e32 v38, v38
	v_cvt_f32_f16_e32 v39, v39
	;; [unrolled: 1-line block ×4, first 2 shown]
	v_pk_mul_f16 v58, v118, v58 op_sel_hi:[0,1]
	v_cvt_f32_f16_e32 v112, v58
	v_mfma_f32_16x16x16f16 v[38:41], v[42:43], v[116:117], v[38:41]
	ds_read_u16 v37, v87 offset:176
	ds_read_u16 v42, v87 offset:352
	;; [unrolled: 1-line block ×8, first 2 shown]
	s_waitcnt lgkmcnt(6)
	v_perm_b32 v43, v113, v42, s19
	v_perm_b32 v42, v37, v125, s19
	v_cvt_f32_f16_sdwa v113, v58 dst_sel:DWORD dst_unused:UNUSED_PAD src0_sel:WORD_1
	v_pk_mul_f16 v37, v118, v54 op_sel_hi:[0,1]
	v_pk_mul_f16 v60, v118, v60 op_sel_hi:[0,1]
	;; [unrolled: 1-line block ×3, first 2 shown]
	v_mfma_f32_16x16x16f16 v[110:113], v[42:43], v[114:115], v[110:113]
	v_cvt_f16_f32_e32 v54, v38
	v_pk_mul_f16 v62, v118, v62 op_sel_hi:[0,1]
	v_pk_mul_f16 v56, v118, v56 op_sel_hi:[0,1]
	v_pk_mul_f16 v53, v118, v53 op_sel_hi:[0,1]
	s_add_i32 s15, s15, 1
	v_cmp_lt_i32_e32 vcc, s15, v74
	s_and_b64 vcc, exec, vcc
	s_nop 3
	v_cvt_f16_f32_e32 v42, v111
	v_cvt_f16_f32_e32 v43, v112
	;; [unrolled: 1-line block ×4, first 2 shown]
	v_cvt_f32_f16_e32 v111, v42
	v_cvt_f32_f16_e32 v112, v43
	s_waitcnt lgkmcnt(2)
	v_perm_b32 v43, v109, v70, s19
	v_perm_b32 v42, v69, v68, s19
	v_cvt_f32_f16_e32 v110, v38
	v_cvt_f32_f16_e32 v113, v58
	v_cvt_f16_f32_e32 v58, v39
	v_cvt_f16_f32_e32 v68, v40
	;; [unrolled: 1-line block ×3, first 2 shown]
	v_mfma_f32_16x16x16f16 v[38:41], v[42:43], v[116:117], v[110:113]
	s_waitcnt lgkmcnt(0)
	v_perm_b32 v43, v121, v120, s19
	v_perm_b32 v42, v119, v126, s19
	v_pack_b32_f16 v69, v54, v58
	v_pack_b32_f16 v68, v68, v70
	s_add_i32 s4, s4, 64
	s_nop 0
	v_cvt_f32_f16_e32 v110, v60
	v_cvt_f32_f16_sdwa v111, v60 dst_sel:DWORD dst_unused:UNUSED_PAD src0_sel:WORD_1
	v_cvt_f32_f16_e32 v112, v59
	v_cvt_f32_f16_sdwa v113, v59 dst_sel:DWORD dst_unused:UNUSED_PAD src0_sel:WORD_1
	v_cvt_f16_f32_e32 v54, v38
	v_cvt_f16_f32_e32 v119, v41
	v_mfma_f32_16x16x16f16 v[110:113], v[42:43], v[114:115], v[110:113]
	s_nop 7
	s_nop 2
	v_cvt_f16_f32_e32 v38, v110
	v_cvt_f16_f32_e32 v42, v111
	;; [unrolled: 1-line block ×4, first 2 shown]
	v_cvt_f32_f16_e32 v110, v38
	v_cvt_f32_f16_e32 v111, v42
	;; [unrolled: 1-line block ×3, first 2 shown]
	ds_read_u16 v38, v92 offset:5632
	ds_read_u16 v42, v93 offset:176
	;; [unrolled: 1-line block ×8, first 2 shown]
	s_waitcnt lgkmcnt(4)
	v_perm_b32 v43, v59, v43, s19
	v_perm_b32 v42, v42, v38, s19
	v_cvt_f32_f16_e32 v113, v58
	v_cvt_f16_f32_e32 v58, v39
	v_cvt_f16_f32_e32 v59, v40
	v_mfma_f32_16x16x16f16 v[38:41], v[42:43], v[116:117], v[110:113]
	s_waitcnt lgkmcnt(2)
	v_perm_b32 v43, v122, v70, s19
	v_perm_b32 v42, v60, v127, s19
	v_pack_b32_f16 v70, v54, v58
	v_pack_b32_f16 v58, v59, v119
	s_nop 1
	v_cvt_f32_f16_e32 v110, v62
	v_cvt_f32_f16_sdwa v111, v62 dst_sel:DWORD dst_unused:UNUSED_PAD src0_sel:WORD_1
	v_cvt_f32_f16_e32 v112, v56
	v_cvt_f32_f16_sdwa v113, v56 dst_sel:DWORD dst_unused:UNUSED_PAD src0_sel:WORD_1
	v_cvt_f16_f32_e32 v54, v38
	s_nop 0
	v_mfma_f32_16x16x16f16 v[110:113], v[42:43], v[114:115], v[110:113]
	s_nop 7
	s_nop 2
	v_cvt_f16_f32_e32 v38, v110
	v_cvt_f16_f32_e32 v42, v111
	;; [unrolled: 1-line block ×4, first 2 shown]
	v_cvt_f32_f16_e32 v110, v38
	v_cvt_f32_f16_e32 v111, v42
	ds_read_u16 v38, v97 offset:352
	ds_read_u16 v42, v98 offset:5632
	;; [unrolled: 1-line block ×8, first 2 shown]
	v_cvt_f32_f16_e32 v112, v43
	s_waitcnt lgkmcnt(6)
	v_perm_b32 v43, v42, v38, s19
	v_perm_b32 v42, v118, v109, s19
	v_cvt_f32_f16_e32 v113, v56
	v_cvt_f16_f32_e32 v56, v39
	v_cvt_f16_f32_e32 v109, v40
	;; [unrolled: 1-line block ×3, first 2 shown]
	v_mfma_f32_16x16x16f16 v[38:41], v[42:43], v[116:117], v[110:113]
	s_waitcnt lgkmcnt(4)
	v_perm_b32 v43, v124, v60, s19
	v_perm_b32 v42, v59, v129, s19
	v_pack_b32_f16 v60, v54, v56
	v_pack_b32_f16 v59, v109, v118
	s_waitcnt lgkmcnt(0)
	s_nop 0
	v_cvt_f32_f16_e32 v110, v37
	v_cvt_f32_f16_sdwa v111, v37 dst_sel:DWORD dst_unused:UNUSED_PAD src0_sel:WORD_1
	v_cvt_f32_f16_e32 v112, v53
	v_cvt_f32_f16_sdwa v113, v53 dst_sel:DWORD dst_unused:UNUSED_PAD src0_sel:WORD_1
	v_cvt_f16_f32_e32 v37, v38
	v_cvt_f16_f32_e32 v54, v40
	v_mfma_f32_16x16x16f16 v[110:113], v[42:43], v[114:115], v[110:113]
	v_cvt_f16_f32_e32 v56, v41
	s_barrier
	v_pack_b32_f16 v56, v54, v56
	s_nop 7
	v_cvt_f16_f32_e32 v42, v111
	v_cvt_f16_f32_e32 v43, v112
	;; [unrolled: 1-line block ×4, first 2 shown]
	v_cvt_f32_f16_e32 v111, v42
	v_cvt_f32_f16_e32 v112, v43
	v_perm_b32 v43, v121, v120, s19
	v_perm_b32 v42, v119, v62, s19
	v_cvt_f32_f16_e32 v110, v38
	v_cvt_f32_f16_e32 v113, v53
	v_cvt_f16_f32_e32 v53, v39
	v_pack_b32_f16 v62, v37, v53
	v_mfma_f32_16x16x16f16 v[38:41], v[42:43], v[116:117], v[110:113]
	s_nop 7
	s_nop 2
	v_cvt_f16_f32_e32 v38, v38
	v_cvt_f16_f32_e32 v39, v39
	;; [unrolled: 1-line block ×4, first 2 shown]
	v_pack_b32_f16 v54, v38, v39
	v_pack_b32_f16 v53, v40, v41
	s_cbranch_vccz .LBB9_232
; %bb.231:                              ;   in Loop: Header=BB9_226 Depth=1
	v_mov_b32_e32 v109, v36
	v_mov_b32_e32 v110, v12
	s_branch .LBB9_226
.LBB9_232:
	s_lshl_b32 s4, s15, 6
	s_ashr_i32 s5, s4, 31
	s_lshl_b64 s[0:1], s[4:5], 1
	s_add_u32 s0, s12, s0
	s_addc_u32 s1, s13, s1
	v_mov_b32_e32 v15, s1
	v_add_co_u32_e32 v22, vcc, s0, v75
	v_addc_co_u32_e32 v15, vcc, 0, v15, vcc
	v_lshlrev_b64 v[18:19], 1, v[18:19]
	v_add_co_u32_e32 v18, vcc, v22, v18
	v_addc_co_u32_e32 v19, vcc, v15, v19, vcc
	v_lshlrev_b64 v[20:21], 1, v[20:21]
	v_add_co_u32_e32 v20, vcc, v22, v20
	v_addc_co_u32_e32 v21, vcc, v15, v21, vcc
	global_load_dword v15, v[18:19], off
	global_load_dword v22, v[20:21], off
	s_mul_hi_u32 s1, s22, s4
	s_mul_i32 s2, s3, s4
	s_mul_i32 s3, s22, s5
	s_add_i32 s1, s1, s3
	s_mul_i32 s0, s22, s4
	s_add_i32 s1, s1, s2
	s_lshl_b64 s[0:1], s[0:1], 2
	v_add_u32_e32 v18, 0, v75
	s_add_u32 s5, s10, s0
	v_add_u32_e32 v19, v18, v72
	v_add_u32_e32 v18, v18, v73
	s_addc_u32 s8, s11, s1
	v_cmp_gt_u32_e32 vcc, 64, v63
                                        ; implicit-def: $vgpr20
	s_waitcnt vmcnt(1)
	ds_write_b32 v19, v15 offset:11264
	s_waitcnt vmcnt(0)
	ds_write_b32 v18, v22 offset:11264
                                        ; implicit-def: $vgpr15
                                        ; implicit-def: $vgpr18
	s_and_saveexec_b64 s[0:1], vcc
	s_xor_b64 s[2:3], exec, s[0:1]
	s_cbranch_execz .LBB9_234
; %bb.233:
	v_mul_lo_u32 v18, v63, s22
	v_ashrrev_i32_e32 v19, 31, v18
	v_lshlrev_b64 v[18:19], 2, v[18:19]
	v_mov_b32_e32 v15, s8
	v_add_co_u32_e64 v18, s[0:1], s5, v18
	v_addc_co_u32_e64 v19, s[0:1], v15, v19, s[0:1]
	v_lshlrev_b32_e32 v15, 2, v44
	v_and_b32_e32 v21, 4, v15
	v_lshlrev_b32_e32 v22, 2, v21
	v_add_co_u32_e64 v18, s[0:1], v18, v22
	v_addc_co_u32_e64 v19, s[0:1], 0, v19, s[0:1]
	global_load_dwordx4 v[24:27], v[18:19], off offset:128
	v_mul_i32_i24_e32 v20, 0xb0, v63
	v_or_b32_e32 v18, 32, v21
	v_add3_u32 v21, 0, v20, v22
	v_mov_b32_e32 v19, 0
	s_waitcnt vmcnt(0)
	ds_write_b128 v21, v[24:27] offset:128
.LBB9_234:
	s_andn2_saveexec_b64 s[0:1], s[2:3]
; %bb.235:
	v_lshlrev_b32_e32 v15, 2, v44
	v_mul_i32_i24_e32 v20, 0xb0, v63
	v_and_or_b32 v18, v15, 4, 32
	v_mov_b32_e32 v19, 0
; %bb.236:
	s_or_b64 exec, exec, s[0:1]
	v_and_b32_e32 v15, 28, v15
	v_lshlrev_b64 v[16:17], 2, v[16:17]
	v_lshlrev_b32_e32 v24, 2, v15
	v_mov_b32_e32 v15, s8
	v_add_co_u32_e64 v16, s[0:1], s5, v16
	v_addc_co_u32_e64 v15, s[0:1], v15, v17, s[0:1]
	v_add_co_u32_e64 v16, s[0:1], v16, v24
	v_addc_co_u32_e64 v17, s[0:1], 0, v15, s[0:1]
	v_ashrrev_i32_e32 v15, 31, v14
	v_lshlrev_b64 v[14:15], 2, v[14:15]
	v_mov_b32_e32 v21, s8
	v_add_co_u32_e64 v14, s[0:1], s5, v14
	v_addc_co_u32_e64 v15, s[0:1], v21, v15, s[0:1]
	v_add_co_u32_e64 v14, s[0:1], v14, v24
	v_addc_co_u32_e64 v15, s[0:1], 0, v15, s[0:1]
	global_load_dwordx4 v[26:29], v[16:17], off
	global_load_dwordx4 v[30:33], v[14:15], off
	v_and_b32_e32 v15, 16, v47
	v_mul_u32_u24_e32 v14, 0xb0, v61
	v_add_u32_e32 v16, 0, v65
	v_mul_u32_u24_e32 v21, 0xb0, v15
	v_add3_u32 v17, 0, v14, v24
	v_add3_u32 v16, v16, v64, v21
	v_add_u32_e32 v14, 0x1000, v16
	v_and_b32_e32 v22, 0xfc, v55
	s_movk_i32 s0, 0x90
	v_mbcnt_hi_u32_b32 v21, -1, v71
	s_movk_i32 s1, 0x2c00
	v_add_u32_e32 v25, v22, v15
	v_xor_b32_e32 v34, 32, v21
	v_xor_b32_e32 v37, 16, v21
	s_waitcnt vmcnt(1)
	ds_write_b128 v17, v[26:29]
	s_waitcnt vmcnt(0)
	ds_write_b128 v17, v[30:33] offset:5632
	s_waitcnt lgkmcnt(0)
	s_barrier
	ds_read2_b64 v[26:29], v16 offset1:4
	ds_read2_b64 v[38:41], v14 offset0:192 offset1:196
	s_waitcnt lgkmcnt(1)
	v_mfma_f32_16x16x16f16 v[30:33], v[26:27], v[4:5], 0
	s_waitcnt lgkmcnt(0)
	v_mfma_f32_16x16x16f16 v[72:75], v[38:39], v[4:5], 0
	v_mfma_f32_16x16x16f16 v[26:29], v[28:29], v[6:7], v[30:33]
	v_mfma_f32_16x16x16f16 v[4:7], v[40:41], v[6:7], v[72:75]
	s_nop 6
	ds_read2_b64 v[30:33], v16 offset0:8 offset1:12
	ds_read2_b64 v[38:41], v14 offset0:200 offset1:204
	v_lshrrev_b32_e32 v14, 1, v66
	v_mad_u32_u24 v14, v14, s0, 0
	s_waitcnt lgkmcnt(1)
	v_mfma_f32_16x16x16f16 v[26:29], v[30:31], v[0:1], v[26:29]
	s_waitcnt lgkmcnt(0)
	v_mfma_f32_16x16x16f16 v[4:7], v[38:39], v[0:1], v[4:7]
	v_add_u16_e32 v0, v22, v15
	v_lshrrev_b16_e32 v0, 1, v0
	v_and_b32_e32 v1, 64, v21
	v_lshlrev_b32_e32 v0, 2, v0
	v_add_u32_e32 v42, 64, v1
	v_lshl_add_u32 v15, v25, 1, v14
	v_add_u32_e32 v25, 0x2c00, v15
	v_mfma_f32_16x16x16f16 v[26:29], v[32:33], v[2:3], v[26:29]
	v_add3_u32 v32, v14, v0, s1
	ds_read_b64 v[14:15], v16 offset:128
	ds_read_b64 v[30:31], v16 offset:5760
	s_waitcnt lgkmcnt(0)
	s_barrier
	v_cmp_lt_i32_e64 s[0:1], v34, v42
	v_mfma_f32_16x16x16f16 v[0:3], v[40:41], v[2:3], v[4:7]
	s_nop 6
	ds_read2_b32 v[4:5], v32 offset1:1
	v_cndmask_b32_e64 v6, v21, v34, s[0:1]
	v_mfma_f32_16x16x16f16 v[26:29], v[14:15], v[10:11], v[26:29]
	v_lshlrev_b32_e32 v16, 2, v6
	ds_read2_b32 v[6:7], v25 offset0:16 offset1:17
	s_waitcnt lgkmcnt(1)
	v_cvt_f32_f16_e32 v14, v4
	v_cvt_f32_f16_sdwa v15, v4 dst_sel:DWORD dst_unused:UNUSED_PAD src0_sel:WORD_1
	v_cvt_f32_f16_e32 v34, v5
	v_cvt_f32_f16_sdwa v35, v5 dst_sel:DWORD dst_unused:UNUSED_PAD src0_sel:WORD_1
	s_waitcnt lgkmcnt(0)
	v_cvt_f32_f16_e32 v40, v6
	v_mfma_f32_16x16x16f16 v[30:33], v[30:31], v[10:11], v[0:3]
	v_cvt_f32_f16_sdwa v41, v6 dst_sel:DWORD dst_unused:UNUSED_PAD src0_sel:WORD_1
	v_cvt_f32_f16_e32 v38, v7
	v_cvt_f32_f16_sdwa v39, v7 dst_sel:DWORD dst_unused:UNUSED_PAD src0_sel:WORD_1
	v_pk_add_f32 v[6:7], v[26:27], v[14:15]
	v_pk_add_f32 v[4:5], v[28:29], v[34:35]
	v_add_f32_e32 v14, 0x40051340, v6
	v_add_f32_e32 v15, 0x40051340, v7
	s_nop 3
	v_pk_add_f32 v[2:3], v[30:31], v[40:41]
	v_add_f32_e32 v10, 0x40051340, v4
	v_add_f32_e32 v11, 0x40051340, v5
	v_max3_f32 v14, v12, v14, v15
	v_pk_add_f32 v[0:1], v[32:33], v[38:39]
	v_add_f32_e32 v27, 0x40051340, v2
	v_add_f32_e32 v28, 0x40051340, v3
	v_max3_f32 v10, v14, v10, v11
	v_add_f32_e32 v25, 0x40051340, v0
	v_add_f32_e32 v26, 0x40051340, v1
	v_max3_f32 v10, v10, v27, v28
	v_max3_f32 v10, v10, v25, v26
	ds_bpermute_b32 v11, v16, v10
	v_cmp_lt_i32_e64 s[0:1], v37, v42
	v_cndmask_b32_e64 v14, v21, v37, s[0:1]
	v_lshlrev_b32_e32 v21, 2, v14
	s_mul_hi_i32 s1, s4, s18
	s_waitcnt lgkmcnt(0)
	v_max_f32_e32 v11, v11, v11
	v_max_f32_e32 v10, v10, v11
	ds_bpermute_b32 v11, v21, v10
	s_mul_i32 s0, s4, s18
	s_lshl_b64 s[0:1], s[0:1], 2
	s_add_u32 s3, s6, s0
	v_add_u32_e32 v25, 0x1600, v17
	s_addc_u32 s4, s7, s1
	s_and_saveexec_b64 s[0:1], vcc
	s_cbranch_execz .LBB9_238
; %bb.237:
	v_mul_lo_u32 v14, v63, s18
	v_ashrrev_i32_e32 v15, 31, v14
	v_lshlrev_b64 v[14:15], 2, v[14:15]
	v_mov_b32_e32 v26, s4
	v_add_co_u32_e32 v27, vcc, s3, v14
	v_addc_co_u32_e32 v26, vcc, v26, v15, vcc
	v_lshlrev_b64 v[14:15], 2, v[18:19]
	v_add_co_u32_e32 v14, vcc, v27, v14
	v_addc_co_u32_e32 v15, vcc, v26, v15, vcc
	global_load_dwordx4 v[26:29], v[14:15], off
	v_lshlrev_b32_e32 v14, 2, v18
	v_add3_u32 v14, 0, v20, v14
	s_waitcnt vmcnt(0)
	ds_write_b128 v14, v[26:29]
.LBB9_238:
	s_or_b64 exec, exec, s[0:1]
	s_waitcnt lgkmcnt(0)
	v_max_f32_e32 v11, v11, v11
	v_max_f32_e32 v10, v10, v10
	;; [unrolled: 1-line block ×3, first 2 shown]
	v_pk_add_f32 v[6:7], v[6:7], v[20:21] op_sel_hi:[1,0] neg_lo:[0,1] neg_hi:[0,1]
	s_mov_b32 s2, 0x3fb8aa3b
	v_mul_f32_e32 v10, 0x3fb8aa3b, v7
	v_fma_f32 v11, v7, s2, -v10
	v_rndne_f32_e32 v14, v10
	v_fmac_f32_e32 v11, 0x32a5705f, v7
	v_sub_f32_e32 v10, v10, v14
	v_add_f32_e32 v10, v10, v11
	v_exp_f32_e32 v10, v10
	v_cvt_i32_f32_e32 v11, v14
	s_mov_b32 s0, 0xc2ce8ed0
	v_cmp_ngt_f32_e32 vcc, s0, v7
	s_mov_b32 s1, 0x42b17218
	v_ldexp_f32 v10, v10, v11
	v_mul_f32_e32 v11, 0x3fb8aa3b, v6
	v_fma_f32 v14, v6, s2, -v11
	v_rndne_f32_e32 v15, v11
	v_fmac_f32_e32 v14, 0x32a5705f, v6
	v_sub_f32_e32 v11, v11, v15
	v_add_f32_e32 v11, v11, v14
	v_exp_f32_e32 v11, v11
	v_cvt_i32_f32_e32 v14, v15
	v_pk_add_f32 v[4:5], v[4:5], v[20:21] op_sel_hi:[1,0] neg_lo:[0,1] neg_hi:[0,1]
	v_cndmask_b32_e32 v10, 0, v10, vcc
	v_cmp_nlt_f32_e32 vcc, s1, v7
	v_ldexp_f32 v7, v11, v14
	v_mul_f32_e32 v11, 0x3fb8aa3b, v5
	v_fma_f32 v14, v5, s2, -v11
	v_rndne_f32_e32 v15, v11
	v_fmac_f32_e32 v14, 0x32a5705f, v5
	v_sub_f32_e32 v11, v11, v15
	v_add_f32_e32 v11, v11, v14
	v_mov_b32_e32 v30, 0x7f800000
	v_exp_f32_e32 v14, v11
	v_cvt_i32_f32_e32 v15, v15
	v_cndmask_b32_e32 v10, v30, v10, vcc
	v_cmp_ngt_f32_e32 vcc, s0, v6
	v_cndmask_b32_e32 v7, 0, v7, vcc
	v_cmp_nlt_f32_e32 vcc, s1, v6
	v_cndmask_b32_e32 v11, v30, v7, vcc
	v_mul_f32_e32 v7, 0x3fb8aa3b, v4
	v_ldexp_f32 v6, v14, v15
	v_fma_f32 v14, v4, s2, -v7
	v_rndne_f32_e32 v15, v7
	v_fmac_f32_e32 v14, 0x32a5705f, v4
	v_sub_f32_e32 v7, v7, v15
	v_add_f32_e32 v7, v7, v14
	v_exp_f32_e32 v7, v7
	v_cvt_i32_f32_e32 v15, v15
	v_cmp_ngt_f32_e32 vcc, s0, v5
	v_cndmask_b32_e32 v6, 0, v6, vcc
	v_cmp_nlt_f32_e32 vcc, s1, v5
	v_pk_add_f32 v[18:19], v[2:3], v[20:21] op_sel_hi:[1,0] neg_lo:[0,1] neg_hi:[0,1]
	v_cndmask_b32_e32 v14, v30, v6, vcc
	v_ldexp_f32 v5, v7, v15
	v_cmp_ngt_f32_e32 vcc, s0, v4
	v_mul_f32_e32 v2, 0x3fb8aa3b, v19
	v_cndmask_b32_e32 v5, 0, v5, vcc
	v_cmp_nlt_f32_e32 vcc, s1, v4
	v_fma_f32 v3, v19, s2, -v2
	v_rndne_f32_e32 v4, v2
	v_cndmask_b32_e32 v15, v30, v5, vcc
	v_fmac_f32_e32 v3, 0x32a5705f, v19
	v_sub_f32_e32 v2, v2, v4
	v_cvt_i32_f32_e32 v32, v4
	v_lshlrev_b64 v[4:5], 2, v[8:9]
	v_add_f32_e32 v2, v2, v3
	v_mov_b32_e32 v6, s4
	v_add_co_u32_e32 v4, vcc, s3, v4
	v_exp_f32_e32 v31, v2
	v_mul_lo_u32 v2, s18, v57
	v_addc_co_u32_e32 v5, vcc, v6, v5, vcc
	v_ashrrev_i32_e32 v3, 31, v2
	v_add_co_u32_e32 v26, vcc, v4, v24
	v_addc_co_u32_e32 v27, vcc, 0, v5, vcc
	v_lshlrev_b64 v[2:3], 2, v[2:3]
	v_mov_b32_e32 v4, s4
	v_add_co_u32_e32 v2, vcc, s3, v2
	v_addc_co_u32_e32 v3, vcc, v4, v3, vcc
	v_add_co_u32_e32 v28, vcc, v2, v24
	v_addc_co_u32_e32 v29, vcc, 0, v3, vcc
	global_load_dwordx4 v[2:5], v[26:27], off
	global_load_dwordx4 v[6:9], v[28:29], off
	v_mul_f32_e32 v26, 0x3fb8aa3b, v18
	v_fma_f32 v27, v18, s2, -v26
	v_rndne_f32_e32 v28, v26
	v_fmac_f32_e32 v27, 0x32a5705f, v18
	v_sub_f32_e32 v26, v26, v28
	v_add_f32_e32 v26, v26, v27
	v_exp_f32_e32 v26, v26
	v_cvt_i32_f32_e32 v27, v28
	v_ldexp_f32 v24, v31, v32
	v_cmp_ngt_f32_e32 vcc, s0, v19
	v_cndmask_b32_e32 v24, 0, v24, vcc
	v_cmp_nlt_f32_e32 vcc, s1, v19
	v_pk_add_f32 v[0:1], v[0:1], v[20:21] op_sel_hi:[1,0] neg_lo:[0,1] neg_hi:[0,1]
	v_cndmask_b32_e32 v32, v30, v24, vcc
	v_mul_f32_e32 v24, 0x3fb8aa3b, v1
	v_ldexp_f32 v19, v26, v27
	v_fma_f32 v26, v1, s2, -v24
	v_rndne_f32_e32 v27, v24
	v_fmac_f32_e32 v26, 0x32a5705f, v1
	v_sub_f32_e32 v24, v24, v27
	v_add_f32_e32 v24, v24, v26
	v_exp_f32_e32 v24, v24
	v_cvt_i32_f32_e32 v26, v27
	v_cmp_ngt_f32_e32 vcc, s0, v18
	v_cndmask_b32_e32 v19, 0, v19, vcc
	v_cmp_nlt_f32_e32 vcc, s1, v18
	v_cndmask_b32_e32 v33, v30, v19, vcc
	v_mul_f32_e32 v19, 0x3fb8aa3b, v0
	v_ldexp_f32 v18, v24, v26
	v_fma_f32 v24, v0, s2, -v19
	v_rndne_f32_e32 v26, v19
	v_fmac_f32_e32 v24, 0x32a5705f, v0
	v_sub_f32_e32 v19, v19, v26
	v_sub_f32_e32 v12, v12, v20
	v_add_f32_e32 v19, v19, v24
	v_cvt_i32_f32_e32 v24, v26
	v_mul_f32_e32 v26, 0x3fb8aa3b, v12
	v_fma_f32 v27, v12, s2, -v26
	v_rndne_f32_e32 v28, v26
	v_fmac_f32_e32 v27, 0x32a5705f, v12
	v_sub_f32_e32 v26, v26, v28
	v_add_f32_e32 v26, v26, v27
	v_exp_f32_e32 v26, v26
	v_cvt_i32_f32_e32 v27, v28
	v_cmp_ngt_f32_e32 vcc, s0, v1
	v_cndmask_b32_e32 v18, 0, v18, vcc
	v_exp_f32_e32 v19, v19
	v_cmp_nlt_f32_e32 vcc, s1, v1
	v_cndmask_b32_e32 v34, v30, v18, vcc
	v_ldexp_f32 v18, v26, v27
	v_cmp_ngt_f32_e32 vcc, s0, v12
	v_cndmask_b32_e32 v18, 0, v18, vcc
	v_cmp_nlt_f32_e32 vcc, s1, v12
	s_mov_b32 s2, 0xc1a00000
	v_cndmask_b32_e32 v18, v30, v18, vcc
	v_cmp_le_f32_e32 vcc, s2, v12
	v_ldexp_f32 v1, v19, v24
	v_cndmask_b32_e32 v35, 0, v18, vcc
	v_cmp_ngt_f32_e32 vcc, s0, v0
	v_cvt_f16_f32_e32 v37, v35
	v_cndmask_b32_e32 v1, 0, v1, vcc
	v_cmp_nlt_f32_e32 vcc, s1, v0
	v_or_b32_e32 v0, 3, v55
	s_movk_i32 s1, 0x160
	v_mul_u32_u24_e32 v39, 0xb0, v0
	v_mul_u32_u24_e32 v0, 0x58, v22
	;; [unrolled: 1-line block ×3, first 2 shown]
	s_waitcnt vmcnt(1)
	ds_write_b128 v17, v[2:5]
	s_waitcnt vmcnt(0)
	ds_write_b128 v25, v[6:9]
	v_mad_u32_u24 v2, v52, s1, 0
	v_or_b32_e32 v0, v0, v50
	v_add3_u32 v25, v2, v22, v13
	v_add3_u32 v4, v2, v39, v13
	s_waitcnt lgkmcnt(0)
	s_barrier
	v_lshlrev_b32_e32 v17, 1, v0
	s_mov_b32 s0, 0x5040100
	ds_read_u16 v6, v25 offset:5808
	ds_read_u16 v7, v4 offset:32
	;; [unrolled: 1-line block ×6, first 2 shown]
	ds_read_u16 v4, v4
	ds_read_u16 v9, v25 offset:5984
	ds_read_u16 v5, v25 offset:352
	;; [unrolled: 1-line block ×7, first 2 shown]
	v_cndmask_b32_e32 v38, v30, v1, vcc
	v_pk_mul_f16 v1, v37, v69 op_sel_hi:[0,1]
	v_pk_mul_f16 v12, v37, v68 op_sel_hi:[0,1]
	;; [unrolled: 1-line block ×3, first 2 shown]
	v_add_u32_e32 v3, v2, v17
	s_waitcnt lgkmcnt(5)
	v_perm_b32 v5, v4, v5, s0
	ds_read_u16 v4, v25 offset:176
	ds_read_u16 v63, v25 offset:208
	ds_read_u16 v64, v3
	ds_read_u16 v65, v3 offset:32
	ds_read_u16 v66, v3 offset:64
	;; [unrolled: 1-line block ×5, first 2 shown]
	v_cvt_f16_f32_e32 v18, v10
	v_cvt_f16_f32_e32 v19, v11
	;; [unrolled: 1-line block ×4, first 2 shown]
	s_waitcnt lgkmcnt(5)
	v_perm_b32 v4, v4, v64, s0
	v_cvt_f32_f16_e32 v0, v1
	v_cvt_f32_f16_sdwa v1, v1 dst_sel:DWORD dst_unused:UNUSED_PAD src0_sel:WORD_1
	v_cvt_f32_f16_e32 v2, v12
	v_cvt_f32_f16_sdwa v3, v12 dst_sel:DWORD dst_unused:UNUSED_PAD src0_sel:WORD_1
	v_pack_b32_f16 v18, v19, v18
	v_pack_b32_f16 v19, v30, v28
	v_cvt_f16_f32_e32 v26, v32
	v_cvt_f16_f32_e32 v27, v33
	v_mfma_f32_16x16x16f16 v[0:3], v[4:5], v[18:19], v[0:3]
	v_cvt_f16_f32_e32 v29, v34
	v_cvt_f16_f32_e32 v12, v38
	v_perm_b32 v5, v8, v9, s0
	s_waitcnt lgkmcnt(1)
	v_perm_b32 v4, v6, v69, s0
	v_pk_mul_f16 v30, v37, v58 op_sel_hi:[0,1]
	v_pack_b32_f16 v28, v27, v26
	v_pack_b32_f16 v29, v12, v29
	s_nop 2
	v_cvt_f16_f32_e32 v0, v0
	v_cvt_f16_f32_e32 v1, v1
	;; [unrolled: 1-line block ×4, first 2 shown]
	v_cvt_f32_f16_e32 v0, v0
	v_cvt_f32_f16_e32 v1, v1
	;; [unrolled: 1-line block ×4, first 2 shown]
	v_perm_b32 v9, v7, v42, s0
	v_perm_b32 v8, v63, v65, s0
	v_mfma_f32_16x16x16f16 v[0:3], v[4:5], v[28:29], v[0:3]
	v_cvt_f32_f16_e32 v4, v24
	v_cvt_f32_f16_sdwa v5, v24 dst_sel:DWORD dst_unused:UNUSED_PAD src0_sel:WORD_1
	v_cvt_f32_f16_e32 v6, v30
	v_cvt_f32_f16_sdwa v7, v30 dst_sel:DWORD dst_unused:UNUSED_PAD src0_sel:WORD_1
	v_mul_u32_u24_e32 v12, 0x160, v52
	s_add_i32 s2, 0, 0x60
	v_mfma_f32_16x16x16f16 v[4:7], v[8:9], v[18:19], v[4:7]
	v_add3_u32 v8, 0, 32, v12
	v_add3_u32 v12, 0, 64, v12
	v_add_u32_e32 v9, v8, v17
	v_add3_u32 v24, v8, v22, v13
	v_add3_u32 v8, v8, v39, v13
	v_add_u32_e32 v26, v12, v17
	v_add3_u32 v27, v12, v22, v13
	s_nop 3
	v_cvt_f16_f32_e32 v4, v4
	v_cvt_f16_f32_e32 v5, v5
	v_cvt_f16_f32_e32 v6, v6
	v_cvt_f16_f32_e32 v7, v7
	v_add3_u32 v12, v12, v39, v13
	ds_read_u16 v30, v9 offset:5632
	ds_read_u16 v42, v24 offset:5808
	;; [unrolled: 1-line block ×8, first 2 shown]
	s_waitcnt lgkmcnt(4)
	v_perm_b32 v9, v8, v9, s0
	v_perm_b32 v8, v42, v30, s0
	v_cvt_f32_f16_e32 v4, v4
	v_cvt_f32_f16_e32 v5, v5
	;; [unrolled: 1-line block ×4, first 2 shown]
	ds_read_u16 v27, v25 offset:240
	ds_read_u16 v30, v25 offset:272
	v_pk_mul_f16 v25, v37, v60 op_sel_hi:[0,1]
	v_pk_mul_f16 v42, v37, v59 op_sel_hi:[0,1]
	v_mfma_f32_16x16x16f16 v[4:7], v[8:9], v[28:29], v[4:7]
	v_perm_b32 v9, v31, v43, s0
	s_waitcnt lgkmcnt(1)
	v_perm_b32 v8, v27, v66, s0
	v_cvt_f32_f16_e32 v24, v25
	v_cvt_f32_f16_sdwa v25, v25 dst_sel:DWORD dst_unused:UNUSED_PAD src0_sel:WORD_1
	v_cvt_f32_f16_e32 v26, v42
	v_cvt_f32_f16_sdwa v27, v42 dst_sel:DWORD dst_unused:UNUSED_PAD src0_sel:WORD_1
	v_pk_mul_f16 v31, v37, v62 op_sel_hi:[0,1]
	v_pk_mul_f16 v42, v37, v56 op_sel_hi:[0,1]
	v_mfma_f32_16x16x16f16 v[24:27], v[8:9], v[18:19], v[24:27]
	s_waitcnt lgkmcnt(0)
	v_perm_b32 v30, v30, v68, s0
	s_nop 7
	s_nop 0
	v_cvt_f16_f32_e32 v8, v24
	v_cvt_f16_f32_e32 v9, v25
	;; [unrolled: 1-line block ×4, first 2 shown]
	v_cvt_f32_f16_e32 v24, v8
	v_cvt_f32_f16_e32 v25, v9
	v_perm_b32 v9, v12, v64, s0
	v_perm_b32 v8, v63, v58, s0
	v_cvt_f32_f16_e32 v26, v26
	v_cvt_f32_f16_e32 v27, v27
	v_add_f32_e32 v12, v11, v10
	v_add_f32_e32 v12, v15, v12
	v_mfma_f32_16x16x16f16 v[8:11], v[8:9], v[28:29], v[24:27]
	v_add_f32_e32 v12, v14, v12
	v_add_f32_e32 v14, v33, v12
	s_nop 4
	v_cvt_f32_f16_e32 v24, v31
	v_cvt_f32_f16_sdwa v25, v31 dst_sel:DWORD dst_unused:UNUSED_PAD src0_sel:WORD_1
	v_perm_b32 v31, v40, v55, s0
	v_cvt_f32_f16_e32 v26, v42
	v_cvt_f32_f16_sdwa v27, v42 dst_sel:DWORD dst_unused:UNUSED_PAD src0_sel:WORD_1
	s_nop 1
	v_mfma_f32_16x16x16f16 v[24:27], v[30:31], v[18:19], v[24:27]
	s_nop 7
	s_nop 2
	v_cvt_f16_f32_e32 v12, v24
	v_cvt_f16_f32_e32 v15, v25
	v_mov_b32_e32 v24, s2
	v_mad_u32_u24 v24, v52, s1, v24
	s_add_i32 s2, 0, 0x80
	v_add_u32_e32 v30, v24, v17
	v_add3_u32 v31, v24, v22, v13
	v_add3_u32 v33, v24, v39, v13
	v_cvt_f32_f16_e32 v24, v12
	v_mov_b32_e32 v12, s2
	v_cvt_f16_f32_e32 v26, v26
	v_cvt_f16_f32_e32 v27, v27
	v_mad_u32_u24 v12, v52, s1, v12
	v_cvt_f32_f16_e32 v25, v15
	v_add_u32_e32 v15, v12, v17
	v_add3_u32 v17, v12, v22, v13
	v_add3_u32 v12, v12, v39, v13
	ds_read_u16 v22, v30 offset:5632
	ds_read_u16 v30, v31 offset:5808
	;; [unrolled: 1-line block ×8, first 2 shown]
	s_waitcnt lgkmcnt(4)
	v_perm_b32 v13, v31, v13, s0
	v_perm_b32 v12, v30, v22, s0
	v_cvt_f32_f16_e32 v26, v26
	v_cvt_f32_f16_e32 v27, v27
	v_pk_mul_f16 v30, v37, v54 op_sel_hi:[0,1]
	v_add_f32_e32 v22, v32, v14
	v_pk_mul_f16 v32, v37, v53 op_sel_hi:[0,1]
	v_mfma_f32_16x16x16f16 v[12:15], v[12:13], v[28:29], v[24:27]
	v_perm_b32 v31, v41, v57, s0
	v_add_f32_e32 v22, v38, v22
	v_add_f32_e32 v22, v34, v22
	v_fmac_f32_e32 v22, v36, v35
	s_waitcnt lgkmcnt(0)
	s_nop 1
	v_cvt_f32_f16_e32 v24, v30
	v_cvt_f32_f16_sdwa v25, v30 dst_sel:DWORD dst_unused:UNUSED_PAD src0_sel:WORD_1
	v_perm_b32 v30, v61, v70, s0
	v_cvt_f32_f16_e32 v26, v32
	v_cvt_f32_f16_sdwa v27, v32 dst_sel:DWORD dst_unused:UNUSED_PAD src0_sel:WORD_1
	s_barrier
	s_nop 0
	v_mfma_f32_16x16x16f16 v[24:27], v[30:31], v[18:19], v[24:27]
	ds_bpermute_b32 v30, v16, v22
	s_waitcnt lgkmcnt(0)
	v_add_f32_e32 v22, v22, v30
	s_nop 7
	v_cvt_f16_f32_e32 v18, v24
	v_cvt_f16_f32_e32 v19, v25
	v_cvt_f16_f32_e32 v26, v26
	v_cvt_f16_f32_e32 v27, v27
	v_cvt_f32_f16_e32 v24, v18
	v_cvt_f32_f16_e32 v25, v19
	v_perm_b32 v19, v40, v17, s0
	v_perm_b32 v18, v39, v33, s0
	v_cvt_f32_f16_e32 v26, v26
	v_cvt_f32_f16_e32 v27, v27
	v_cmp_gt_u32_e64 s[0:1], 16, v44
	s_nop 0
	v_mfma_f32_16x16x16f16 v[16:19], v[18:19], v[28:29], v[24:27]
	s_nop 6
	ds_bpermute_b32 v24, v21, v22
	s_and_saveexec_b64 s[2:3], s[0:1]
	s_cbranch_execz .LBB9_240
; %bb.239:
	s_waitcnt lgkmcnt(0)
	v_add_f32_e32 v22, v22, v24
	v_or_b32_e32 v24, v47, v44
	s_movk_i32 s4, 0xb0
	v_mad_u32_u24 v24, v24, s4, 0
	ds_write2_b32 v24, v20, v22 offset0:40 offset1:41
.LBB9_240:
	s_or_b64 exec, exec, s[2:3]
	v_cmp_eq_u32_e32 vcc, 0, v23
	v_cmp_eq_u32_e64 s[2:3], 1, v23
	s_waitcnt lgkmcnt(0)
	s_barrier
	s_and_saveexec_b64 s[4:5], s[2:3]
	s_xor_b64 s[2:3], exec, s[4:5]
	s_cbranch_execz .LBB9_242
; %bb.241:
	s_barrier
	s_waitcnt lgkmcnt(0)
                                        ; implicit-def: $vgpr67
                                        ; implicit-def: $vgpr21
.LBB9_242:
	s_andn2_saveexec_b64 s[4:5], s[2:3]
	s_cbranch_execz .LBB9_248
; %bb.243:
	v_or_b32_e32 v24, v47, v46
	s_movk_i32 s2, 0xb0
	v_mad_u32_u24 v20, v24, s2, 0
	ds_read_b64 v[26:27], v20 offset:160
	s_mov_b32 s2, 0x3fb8aa3b
	s_mov_b32 s6, 0x42b17218
	s_waitcnt lgkmcnt(0)
	s_barrier
	ds_bpermute_b32 v20, v21, v26
	v_max_f32_e32 v22, v26, v26
	s_waitcnt lgkmcnt(0)
	v_max_f32_e32 v20, v20, v20
	v_max_f32_e32 v20, v22, v20
	v_sub_f32_e32 v22, v26, v20
	v_mul_f32_e32 v23, 0x3fb8aa3b, v22
	v_fma_f32 v25, v22, s2, -v23
	v_rndne_f32_e32 v26, v23
	v_fmac_f32_e32 v25, 0x32a5705f, v22
	v_sub_f32_e32 v23, v23, v26
	v_add_f32_e32 v23, v23, v25
	v_cvt_i32_f32_e32 v26, v26
	v_exp_f32_e32 v23, v23
	s_mov_b32 s2, 0xc2ce8ed0
	v_cmp_ngt_f32_e64 s[2:3], s2, v22
	v_mov_b32_e32 v25, 0x7f800000
	v_ldexp_f32 v23, v23, v26
	v_cndmask_b32_e64 v23, 0, v23, s[2:3]
	v_cmp_nlt_f32_e64 s[2:3], s6, v22
	v_cndmask_b32_e64 v22, v25, v23, s[2:3]
	v_mul_f32_e32 v23, v27, v22
	ds_bpermute_b32 v23, v21, v23
	v_cmp_gt_u32_e64 s[2:3], 32, v44
	s_waitcnt lgkmcnt(0)
	v_fmac_f32_e32 v23, v27, v22
	s_and_saveexec_b64 s[8:9], s[2:3]
	s_cbranch_execz .LBB9_245
; %bb.244:
	v_mul_u32_u24_e32 v21, 0xb0, v24
	v_add_u32_e32 v21, 0, v21
	ds_write_b64 v21, v[22:23] offset:160
.LBB9_245:
	s_or_b64 exec, exec, s[8:9]
	s_and_saveexec_b64 s[2:3], s[0:1]
	s_cbranch_execz .LBB9_247
; %bb.246:
	s_add_i32 s0, s31, s55
	s_lshl_b32 s0, s0, 5
	s_mov_b32 s1, 0
	s_lshl_b64 s[0:1], s[0:1], 3
	s_add_u32 s0, s50, s0
	v_or_b32_e32 v21, v67, v44
	s_addc_u32 s1, s51, s1
	v_lshlrev_b32_e32 v22, 3, v21
	v_mov_b32_e32 v21, v23
	global_store_dwordx2 v22, v[20:21], s[0:1]
.LBB9_247:
	s_or_b64 exec, exec, s[2:3]
.LBB9_248:
	s_or_b64 exec, exec, s[4:5]
	v_cvt_f16_f32_e32 v0, v0
	v_cvt_f16_f32_e32 v2, v2
	;; [unrolled: 1-line block ×5, first 2 shown]
	s_mov_b32 s3, 0
	v_pack_b32_f16 v2, v2, v3
	v_pack_b32_f16 v0, v0, v1
	v_cvt_f16_f32_e32 v1, v4
	v_cvt_f16_f32_e32 v3, v5
	v_cvt_f16_f32_e32 v4, v6
	v_cvt_f16_f32_e32 v5, v7
	v_cvt_f16_f32_e32 v6, v8
	v_cvt_f16_f32_e32 v7, v10
	v_cvt_f16_f32_e32 v8, v11
	v_pack_b32_f16 v4, v4, v5
	v_pack_b32_f16 v1, v1, v3
	v_pack_b32_f16 v5, v6, v9
	v_pack_b32_f16 v3, v7, v8
	v_cvt_f16_f32_e32 v7, v13
	v_cvt_f16_f32_e32 v8, v14
	;; [unrolled: 1-line block ×8, first 2 shown]
	v_pack_b32_f16 v8, v8, v9
	v_pack_b32_f16 v9, v10, v13
	v_or_b32_e32 v10, v47, v50
	v_mad_u32_u24 v10, v10, 44, v51
	v_lshl_add_u32 v10, v10, 2, 0
	v_pack_b32_f16 v6, v6, v7
	v_pack_b32_f16 v7, v11, v12
	ds_write2_b32 v10, v0, v2 offset1:1
	ds_write2_b32 v10, v1, v4 offset0:8 offset1:9
	ds_write2_b32 v10, v5, v3 offset0:16 offset1:17
	ds_write2_b32 v10, v6, v8 offset0:24 offset1:25
	ds_write2_b32 v10, v9, v7 offset0:32 offset1:33
	s_waitcnt lgkmcnt(0)
	s_barrier
	s_and_saveexec_b64 s[0:1], vcc
	s_cbranch_execz .LBB9_250
; %bb.249:
	s_mul_i32 s2, s55, 0x500
	v_add_u32_e32 v12, v49, v45
	s_lshl_b64 s[4:5], s[2:3], 3
	v_lshlrev_b32_e32 v13, 1, v12
	v_and_b32_e32 v14, 15, v12
	s_movk_i32 s2, 0xfe0
	s_add_u32 s6, s50, s4
	v_and_or_b32 v0, v13, s2, v14
	s_movk_i32 s4, 0xb0
	v_mad_u32_u24 v2, v0, s4, 0
	v_lshlrev_b32_e32 v15, 2, v46
	v_add_u32_e32 v0, v2, v15
	ds_read2st64_b32 v[0:1], v0 offset1:11
	v_add_u32_e32 v2, 0xa0, v2
	ds_read2st64_b32 v[2:3], v2 offset1:11
	s_addc_u32 s5, s51, s5
	s_lshl_b32 s2, s31, 6
	s_waitcnt lgkmcnt(1)
	v_cvt_f32_f16_e32 v4, v0
	v_cvt_f32_f16_sdwa v5, v0 dst_sel:DWORD dst_unused:UNUSED_PAD src0_sel:WORD_1
	s_lshl_b64 s[2:3], s[2:3], 3
	s_add_u32 s2, s6, s2
	s_addc_u32 s3, s5, s3
	s_waitcnt lgkmcnt(0)
	v_pk_fma_f32 v[4:5], v[2:3], v[4:5], 0 op_sel_hi:[0,1,0]
	v_add_u32_e32 v2, 4, v12
	v_lshlrev_b32_e32 v6, 1, v2
	v_and_b32_e32 v2, 15, v2
	s_movk_i32 s5, 0x1fe0
	v_and_or_b32 v2, v6, s5, v2
	v_mad_u32_u24 v8, v2, s4, 0
	v_add_u32_e32 v2, v8, v15
	ds_read2st64_b32 v[6:7], v2 offset1:11
	v_cvt_f32_f16_e32 v0, v1
	v_cvt_f32_f16_sdwa v1, v1 dst_sel:DWORD dst_unused:UNUSED_PAD src0_sel:WORD_1
	v_mov_b32_e32 v2, v3
	v_add_u32_e32 v3, 0xa0, v8
	ds_read2st64_b32 v[8:9], v3 offset1:11
	s_waitcnt lgkmcnt(1)
	v_cvt_f32_f16_e32 v10, v6
	v_cvt_f32_f16_sdwa v11, v6 dst_sel:DWORD dst_unused:UNUSED_PAD src0_sel:WORD_1
	v_pk_fma_f32 v[0:1], v[2:3], v[0:1], v[4:5] op_sel_hi:[0,1,1]
	v_add_u32_e32 v3, 8, v12
	v_mul_u32_u24_e32 v16, 40, v12
	v_lshlrev_b32_e32 v4, 1, v3
	v_and_b32_e32 v3, 15, v3
	v_add_lshl_u32 v16, v16, v46, 3
	v_and_or_b32 v3, v4, s5, v3
	global_store_dwordx2 v16, v[0:1], s[2:3]
	s_waitcnt lgkmcnt(0)
	v_pk_fma_f32 v[0:1], v[8:9], v[10:11], 0 op_sel_hi:[0,1,0]
	v_mad_u32_u24 v8, v3, s4, 0
	v_add_u32_e32 v3, v8, v15
	ds_read2st64_b32 v[4:5], v3 offset1:11
	v_cvt_f32_f16_e32 v2, v7
	v_cvt_f32_f16_sdwa v3, v7 dst_sel:DWORD dst_unused:UNUSED_PAD src0_sel:WORD_1
	v_add_u32_e32 v7, 0xa0, v8
	v_mov_b32_e32 v6, v9
	ds_read2st64_b32 v[8:9], v7 offset1:11
	s_waitcnt lgkmcnt(1)
	v_cvt_f32_f16_e32 v10, v4
	v_cvt_f32_f16_sdwa v11, v4 dst_sel:DWORD dst_unused:UNUSED_PAD src0_sel:WORD_1
	v_pk_fma_f32 v[0:1], v[6:7], v[2:3], v[0:1] op_sel_hi:[0,1,1]
	v_add_u32_e32 v3, 12, v12
	v_lshlrev_b32_e32 v4, 1, v3
	v_and_b32_e32 v3, 15, v3
	v_and_or_b32 v3, v4, s5, v3
	global_store_dwordx2 v16, v[0:1], s[2:3] offset:1280
	s_waitcnt lgkmcnt(0)
	v_pk_fma_f32 v[0:1], v[8:9], v[10:11], 0 op_sel_hi:[0,1,0]
	v_mad_u32_u24 v8, v3, s4, 0
	v_add_u32_e32 v3, v8, v15
	ds_read2st64_b32 v[6:7], v3 offset1:11
	v_cvt_f32_f16_e32 v2, v5
	v_cvt_f32_f16_sdwa v3, v5 dst_sel:DWORD dst_unused:UNUSED_PAD src0_sel:WORD_1
	v_add_u32_e32 v5, 0xa0, v8
	v_mov_b32_e32 v4, v9
	ds_read2st64_b32 v[8:9], v5 offset1:11
	s_waitcnt lgkmcnt(1)
	v_cvt_f32_f16_e32 v10, v6
	v_cvt_f32_f16_sdwa v11, v6 dst_sel:DWORD dst_unused:UNUSED_PAD src0_sel:WORD_1
	v_pk_fma_f32 v[0:1], v[4:5], v[2:3], v[0:1] op_sel_hi:[0,1,1]
	v_add_u32_e32 v3, 32, v13
	v_add_u32_e32 v17, 0xa00, v16
	v_and_or_b32 v3, v3, s5, v14
	global_store_dwordx2 v17, v[0:1], s[2:3]
	s_waitcnt lgkmcnt(0)
	v_pk_fma_f32 v[0:1], v[8:9], v[10:11], 0 op_sel_hi:[0,1,0]
	v_mad_u32_u24 v8, v3, s4, 0
	v_add_u32_e32 v3, v8, v15
	ds_read2st64_b32 v[4:5], v3 offset1:11
	v_cvt_f32_f16_e32 v2, v7
	v_cvt_f32_f16_sdwa v3, v7 dst_sel:DWORD dst_unused:UNUSED_PAD src0_sel:WORD_1
	v_add_u32_e32 v7, 0xa0, v8
	v_mov_b32_e32 v6, v9
	ds_read2st64_b32 v[8:9], v7 offset1:11
	s_waitcnt lgkmcnt(1)
	v_cvt_f32_f16_e32 v10, v4
	v_cvt_f32_f16_sdwa v11, v4 dst_sel:DWORD dst_unused:UNUSED_PAD src0_sel:WORD_1
	v_pk_fma_f32 v[0:1], v[6:7], v[2:3], v[0:1] op_sel_hi:[0,1,1]
	v_add_u32_e32 v3, 20, v12
	v_lshlrev_b32_e32 v4, 1, v3
	v_and_b32_e32 v3, 15, v3
	v_add_u32_e32 v17, 0xf00, v16
	v_and_or_b32 v3, v4, s5, v3
	global_store_dwordx2 v17, v[0:1], s[2:3]
	s_waitcnt lgkmcnt(0)
	v_pk_fma_f32 v[0:1], v[8:9], v[10:11], 0 op_sel_hi:[0,1,0]
	v_mad_u32_u24 v8, v3, s4, 0
	v_add_u32_e32 v3, v8, v15
	ds_read2st64_b32 v[6:7], v3 offset1:11
	v_cvt_f32_f16_e32 v2, v5
	v_cvt_f32_f16_sdwa v3, v5 dst_sel:DWORD dst_unused:UNUSED_PAD src0_sel:WORD_1
	v_add_u32_e32 v5, 0xa0, v8
	v_mov_b32_e32 v4, v9
	ds_read2st64_b32 v[8:9], v5 offset1:11
	s_waitcnt lgkmcnt(1)
	v_cvt_f32_f16_e32 v10, v6
	v_cvt_f32_f16_sdwa v11, v6 dst_sel:DWORD dst_unused:UNUSED_PAD src0_sel:WORD_1
	v_pk_fma_f32 v[0:1], v[4:5], v[2:3], v[0:1] op_sel_hi:[0,1,1]
	v_add_u32_e32 v3, 24, v12
	v_lshlrev_b32_e32 v4, 1, v3
	v_and_b32_e32 v3, 15, v3
	v_add_u32_e32 v13, 0x1400, v16
	v_and_or_b32 v3, v4, s5, v3
	global_store_dwordx2 v13, v[0:1], s[2:3]
	s_waitcnt lgkmcnt(0)
	v_pk_fma_f32 v[0:1], v[8:9], v[10:11], 0 op_sel_hi:[0,1,0]
	v_mad_u32_u24 v8, v3, s4, 0
	v_add_u32_e32 v3, v8, v15
	ds_read2st64_b32 v[4:5], v3 offset1:11
	v_cvt_f32_f16_e32 v2, v7
	v_cvt_f32_f16_sdwa v3, v7 dst_sel:DWORD dst_unused:UNUSED_PAD src0_sel:WORD_1
	v_mov_b32_e32 v6, v9
	v_add_u32_e32 v7, 0xa0, v8
	ds_read2st64_b32 v[8:9], v7 offset1:11
	v_pk_fma_f32 v[0:1], v[6:7], v[2:3], v[0:1] op_sel_hi:[0,1,1]
	s_waitcnt lgkmcnt(1)
	v_cvt_f32_f16_e32 v2, v5
	v_cvt_f32_f16_sdwa v3, v5 dst_sel:DWORD dst_unused:UNUSED_PAD src0_sel:WORD_1
	v_add_u32_e32 v5, 28, v12
	v_lshlrev_b32_e32 v6, 1, v5
	v_and_b32_e32 v5, 15, v5
	v_cvt_f32_f16_e32 v10, v4
	v_cvt_f32_f16_sdwa v11, v4 dst_sel:DWORD dst_unused:UNUSED_PAD src0_sel:WORD_1
	v_and_or_b32 v5, v6, s5, v5
	v_mad_u32_u24 v5, v5, s4, 0
	v_add_u32_e32 v6, v5, v15
	v_add_u32_e32 v13, 0x1900, v16
	ds_read2st64_b32 v[6:7], v6 offset1:11
	global_store_dwordx2 v13, v[0:1], s[2:3]
	s_waitcnt lgkmcnt(1)
	v_pk_fma_f32 v[0:1], v[8:9], v[10:11], 0 op_sel_hi:[0,1,0]
	v_mov_b32_e32 v4, v9
	v_add_u32_e32 v13, 0x1e00, v16
	v_pk_fma_f32 v[0:1], v[4:5], v[2:3], v[0:1] op_sel_hi:[0,1,1]
	global_store_dwordx2 v13, v[0:1], s[2:3]
	v_add_u32_e32 v0, 0xa0, v5
	ds_read2st64_b32 v[0:1], v0 offset1:11
	s_waitcnt lgkmcnt(1)
	v_cvt_f32_f16_e32 v2, v6
	v_cvt_f32_f16_sdwa v3, v6 dst_sel:DWORD dst_unused:UNUSED_PAD src0_sel:WORD_1
	v_cvt_f32_f16_e32 v4, v7
	v_cvt_f32_f16_sdwa v5, v7 dst_sel:DWORD dst_unused:UNUSED_PAD src0_sel:WORD_1
	v_add_u32_e32 v6, 0x2300, v16
	s_waitcnt lgkmcnt(0)
	v_pk_fma_f32 v[2:3], v[0:1], v[2:3], 0 op_sel_hi:[0,1,0]
	v_mov_b32_e32 v0, v1
	v_pk_fma_f32 v[0:1], v[0:1], v[4:5], v[2:3] op_sel_hi:[0,1,1]
	global_store_dwordx2 v6, v[0:1], s[2:3]
	v_lshl_add_u32 v0, v45, 2, v48
	v_lshlrev_b32_e32 v10, 1, v0
	v_and_b32_e32 v11, 15, v0
	s_movk_i32 s5, 0x3fe0
	v_and_b32_e32 v4, 7, v44
	v_and_or_b32 v1, v10, s5, v11
	v_mad_u32_u24 v2, v1, s4, 0
	v_lshlrev_b32_e32 v12, 2, v4
	v_mul_u32_u24_e32 v5, 40, v0
	v_add_u32_e32 v0, 0xa0, v2
	v_add_u32_e32 v2, v2, v12
	;; [unrolled: 1-line block ×3, first 2 shown]
	ds_read2st64_b32 v[2:3], v2 offset1:11
	ds_read2st64_b32 v[0:1], v0 offset1:11
	v_or_b32_e32 v4, v5, v4
	v_mov_b32_e32 v5, 0
	v_lshlrev_b64 v[6:7], 3, v[4:5]
	s_waitcnt lgkmcnt(1)
	v_cvt_f32_f16_e32 v8, v2
	v_cvt_f32_f16_sdwa v9, v2 dst_sel:DWORD dst_unused:UNUSED_PAD src0_sel:WORD_1
	v_cvt_f32_f16_e32 v2, v3
	v_cvt_f32_f16_sdwa v3, v3 dst_sel:DWORD dst_unused:UNUSED_PAD src0_sel:WORD_1
	v_mov_b32_e32 v13, s3
	v_add_co_u32_e32 v6, vcc, s2, v6
	s_waitcnt lgkmcnt(0)
	v_pk_fma_f32 v[8:9], v[0:1], v[8:9], 0 op_sel_hi:[0,1,0]
	v_mov_b32_e32 v0, v1
	v_addc_co_u32_e32 v7, vcc, v13, v7, vcc
	v_pk_fma_f32 v[0:1], v[0:1], v[2:3], v[8:9] op_sel_hi:[0,1,1]
	global_store_dwordx2 v[6:7], v[0:1], off offset:256
	v_add_u32_e32 v0, 32, v10
	s_movk_i32 s5, 0x7fe0
	v_and_or_b32 v0, v0, s5, v11
	v_mad_u32_u24 v0, v0, s4, 0
	v_add_u32_e32 v2, 0xa0, v0
	v_add_u32_e32 v0, v0, v12
	;; [unrolled: 1-line block ×3, first 2 shown]
	ds_read2st64_b32 v[0:1], v0 offset1:11
	ds_read2st64_b32 v[2:3], v2 offset1:11
	v_add_u32_e32 v4, 0x280, v4
	v_lshlrev_b64 v[4:5], 3, v[4:5]
	v_mov_b32_e32 v8, s3
	s_waitcnt lgkmcnt(1)
	v_cvt_f32_f16_e32 v6, v0
	v_cvt_f32_f16_sdwa v7, v0 dst_sel:DWORD dst_unused:UNUSED_PAD src0_sel:WORD_1
	v_cvt_f32_f16_e32 v0, v1
	v_cvt_f32_f16_sdwa v1, v1 dst_sel:DWORD dst_unused:UNUSED_PAD src0_sel:WORD_1
	v_add_co_u32_e32 v4, vcc, s2, v4
	s_waitcnt lgkmcnt(0)
	v_pk_fma_f32 v[6:7], v[2:3], v[6:7], 0 op_sel_hi:[0,1,0]
	v_mov_b32_e32 v2, v3
	v_addc_co_u32_e32 v5, vcc, v8, v5, vcc
	v_pk_fma_f32 v[0:1], v[2:3], v[0:1], v[6:7] op_sel_hi:[0,1,1]
	global_store_dwordx2 v[4:5], v[0:1], off offset:256
.LBB9_250:
	s_or_b64 exec, exec, s[0:1]
	s_barrier
	s_endpgm
	.section	.rodata,"a",@progbits
	.p2align	6, 0x0
	.amdhsa_kernel _ZL18flash_attn_ext_f16ILi80ELi80ELi16ELi2ELb0ELb0EEvPKcS1_S1_S1_S1_PKiPfP15HIP_vector_typeIfLj2EEffffjfiS5_IjLj3EEiiiiiiiiiiiliiliiiiil
		.amdhsa_group_segment_fixed_size 0
		.amdhsa_private_segment_fixed_size 0
		.amdhsa_kernarg_size 464
		.amdhsa_user_sgpr_count 6
		.amdhsa_user_sgpr_private_segment_buffer 1
		.amdhsa_user_sgpr_dispatch_ptr 0
		.amdhsa_user_sgpr_queue_ptr 0
		.amdhsa_user_sgpr_kernarg_segment_ptr 1
		.amdhsa_user_sgpr_dispatch_id 0
		.amdhsa_user_sgpr_flat_scratch_init 0
		.amdhsa_user_sgpr_kernarg_preload_length 0
		.amdhsa_user_sgpr_kernarg_preload_offset 0
		.amdhsa_user_sgpr_private_segment_size 0
		.amdhsa_uses_dynamic_stack 0
		.amdhsa_system_sgpr_private_segment_wavefront_offset 0
		.amdhsa_system_sgpr_workgroup_id_x 1
		.amdhsa_system_sgpr_workgroup_id_y 0
		.amdhsa_system_sgpr_workgroup_id_z 0
		.amdhsa_system_sgpr_workgroup_info 0
		.amdhsa_system_vgpr_workitem_id 1
		.amdhsa_next_free_vgpr 189
		.amdhsa_next_free_sgpr 96
		.amdhsa_accum_offset 192
		.amdhsa_reserve_vcc 1
		.amdhsa_reserve_flat_scratch 0
		.amdhsa_float_round_mode_32 0
		.amdhsa_float_round_mode_16_64 0
		.amdhsa_float_denorm_mode_32 3
		.amdhsa_float_denorm_mode_16_64 3
		.amdhsa_dx10_clamp 1
		.amdhsa_ieee_mode 1
		.amdhsa_fp16_overflow 0
		.amdhsa_tg_split 0
		.amdhsa_exception_fp_ieee_invalid_op 0
		.amdhsa_exception_fp_denorm_src 0
		.amdhsa_exception_fp_ieee_div_zero 0
		.amdhsa_exception_fp_ieee_overflow 0
		.amdhsa_exception_fp_ieee_underflow 0
		.amdhsa_exception_fp_ieee_inexact 0
		.amdhsa_exception_int_div_zero 0
	.end_amdhsa_kernel
	.section	.text._ZL18flash_attn_ext_f16ILi80ELi80ELi16ELi2ELb0ELb0EEvPKcS1_S1_S1_S1_PKiPfP15HIP_vector_typeIfLj2EEffffjfiS5_IjLj3EEiiiiiiiiiiiliiliiiiil,"axG",@progbits,_ZL18flash_attn_ext_f16ILi80ELi80ELi16ELi2ELb0ELb0EEvPKcS1_S1_S1_S1_PKiPfP15HIP_vector_typeIfLj2EEffffjfiS5_IjLj3EEiiiiiiiiiiiliiliiiiil,comdat
.Lfunc_end9:
	.size	_ZL18flash_attn_ext_f16ILi80ELi80ELi16ELi2ELb0ELb0EEvPKcS1_S1_S1_S1_PKiPfP15HIP_vector_typeIfLj2EEffffjfiS5_IjLj3EEiiiiiiiiiiiliiliiiiil, .Lfunc_end9-_ZL18flash_attn_ext_f16ILi80ELi80ELi16ELi2ELb0ELb0EEvPKcS1_S1_S1_S1_PKiPfP15HIP_vector_typeIfLj2EEffffjfiS5_IjLj3EEiiiiiiiiiiiliiliiiiil
                                        ; -- End function
	.section	.AMDGPU.csdata,"",@progbits
; Kernel info:
; codeLenInByte = 36576
; NumSgprs: 100
; NumVgprs: 189
; NumAgprs: 0
; TotalNumVgprs: 189
; ScratchSize: 0
; MemoryBound: 0
; FloatMode: 240
; IeeeMode: 1
; LDSByteSize: 0 bytes/workgroup (compile time only)
; SGPRBlocks: 12
; VGPRBlocks: 23
; NumSGPRsForWavesPerEU: 100
; NumVGPRsForWavesPerEU: 189
; AccumOffset: 192
; Occupancy: 2
; WaveLimiterHint : 1
; COMPUTE_PGM_RSRC2:SCRATCH_EN: 0
; COMPUTE_PGM_RSRC2:USER_SGPR: 6
; COMPUTE_PGM_RSRC2:TRAP_HANDLER: 0
; COMPUTE_PGM_RSRC2:TGID_X_EN: 1
; COMPUTE_PGM_RSRC2:TGID_Y_EN: 0
; COMPUTE_PGM_RSRC2:TGID_Z_EN: 0
; COMPUTE_PGM_RSRC2:TIDIG_COMP_CNT: 1
; COMPUTE_PGM_RSRC3_GFX90A:ACCUM_OFFSET: 47
; COMPUTE_PGM_RSRC3_GFX90A:TG_SPLIT: 0
	.section	.text._ZL18flash_attn_ext_f16ILi80ELi80ELi16ELi2ELb1ELb0EEvPKcS1_S1_S1_S1_PKiPfP15HIP_vector_typeIfLj2EEffffjfiS5_IjLj3EEiiiiiiiiiiiliiliiiiil,"axG",@progbits,_ZL18flash_attn_ext_f16ILi80ELi80ELi16ELi2ELb1ELb0EEvPKcS1_S1_S1_S1_PKiPfP15HIP_vector_typeIfLj2EEffffjfiS5_IjLj3EEiiiiiiiiiiiliiliiiiil,comdat
	.globl	_ZL18flash_attn_ext_f16ILi80ELi80ELi16ELi2ELb1ELb0EEvPKcS1_S1_S1_S1_PKiPfP15HIP_vector_typeIfLj2EEffffjfiS5_IjLj3EEiiiiiiiiiiiliiliiiiil ; -- Begin function _ZL18flash_attn_ext_f16ILi80ELi80ELi16ELi2ELb1ELb0EEvPKcS1_S1_S1_S1_PKiPfP15HIP_vector_typeIfLj2EEffffjfiS5_IjLj3EEiiiiiiiiiiiliiliiiiil
	.p2align	8
	.type	_ZL18flash_attn_ext_f16ILi80ELi80ELi16ELi2ELb1ELb0EEvPKcS1_S1_S1_S1_PKiPfP15HIP_vector_typeIfLj2EEffffjfiS5_IjLj3EEiiiiiiiiiiiliiliiiiil,@function
_ZL18flash_attn_ext_f16ILi80ELi80ELi16ELi2ELb1ELb0EEvPKcS1_S1_S1_S1_PKiPfP15HIP_vector_typeIfLj2EEffffjfiS5_IjLj3EEiiiiiiiiiiiliiliiiiil: ; @_ZL18flash_attn_ext_f16ILi80ELi80ELi16ELi2ELb1ELb0EEvPKcS1_S1_S1_S1_PKiPfP15HIP_vector_typeIfLj2EEffffjfiS5_IjLj3EEiiiiiiiiiiiliiliiiiil
; %bb.0:
	s_add_u32 flat_scratch_lo, s6, s9
	s_addc_u32 flat_scratch_hi, s7, 0
	s_add_u32 s0, s0, s9
	s_addc_u32 s1, s1, 0
	s_add_u32 s8, s4, 0xd0
	s_addc_u32 s9, s5, 0
	s_mov_b32 s32, 0
	s_getpc_b64 s[4:5]
	s_add_u32 s4, s4, _ZL14no_device_codePKciS0_iS0_@rel32@lo+4
	s_addc_u32 s5, s5, _ZL14no_device_codePKciS0_iS0_@rel32@hi+12
	s_swappc_b64 s[30:31], s[4:5]
	.section	.rodata,"a",@progbits
	.p2align	6, 0x0
	.amdhsa_kernel _ZL18flash_attn_ext_f16ILi80ELi80ELi16ELi2ELb1ELb0EEvPKcS1_S1_S1_S1_PKiPfP15HIP_vector_typeIfLj2EEffffjfiS5_IjLj3EEiiiiiiiiiiiliiliiiiil
		.amdhsa_group_segment_fixed_size 0
		.amdhsa_private_segment_fixed_size 16
		.amdhsa_kernarg_size 464
		.amdhsa_user_sgpr_count 8
		.amdhsa_user_sgpr_private_segment_buffer 1
		.amdhsa_user_sgpr_dispatch_ptr 0
		.amdhsa_user_sgpr_queue_ptr 0
		.amdhsa_user_sgpr_kernarg_segment_ptr 1
		.amdhsa_user_sgpr_dispatch_id 0
		.amdhsa_user_sgpr_flat_scratch_init 1
		.amdhsa_user_sgpr_kernarg_preload_length 0
		.amdhsa_user_sgpr_kernarg_preload_offset 0
		.amdhsa_user_sgpr_private_segment_size 0
		.amdhsa_uses_dynamic_stack 0
		.amdhsa_system_sgpr_private_segment_wavefront_offset 1
		.amdhsa_system_sgpr_workgroup_id_x 1
		.amdhsa_system_sgpr_workgroup_id_y 0
		.amdhsa_system_sgpr_workgroup_id_z 0
		.amdhsa_system_sgpr_workgroup_info 0
		.amdhsa_system_vgpr_workitem_id 0
		.amdhsa_next_free_vgpr 39
		.amdhsa_next_free_sgpr 34
		.amdhsa_accum_offset 40
		.amdhsa_reserve_vcc 1
		.amdhsa_reserve_flat_scratch 1
		.amdhsa_float_round_mode_32 0
		.amdhsa_float_round_mode_16_64 0
		.amdhsa_float_denorm_mode_32 3
		.amdhsa_float_denorm_mode_16_64 3
		.amdhsa_dx10_clamp 1
		.amdhsa_ieee_mode 1
		.amdhsa_fp16_overflow 0
		.amdhsa_tg_split 0
		.amdhsa_exception_fp_ieee_invalid_op 0
		.amdhsa_exception_fp_denorm_src 0
		.amdhsa_exception_fp_ieee_div_zero 0
		.amdhsa_exception_fp_ieee_overflow 0
		.amdhsa_exception_fp_ieee_underflow 0
		.amdhsa_exception_fp_ieee_inexact 0
		.amdhsa_exception_int_div_zero 0
	.end_amdhsa_kernel
	.section	.text._ZL18flash_attn_ext_f16ILi80ELi80ELi16ELi2ELb1ELb0EEvPKcS1_S1_S1_S1_PKiPfP15HIP_vector_typeIfLj2EEffffjfiS5_IjLj3EEiiiiiiiiiiiliiliiiiil,"axG",@progbits,_ZL18flash_attn_ext_f16ILi80ELi80ELi16ELi2ELb1ELb0EEvPKcS1_S1_S1_S1_PKiPfP15HIP_vector_typeIfLj2EEffffjfiS5_IjLj3EEiiiiiiiiiiiliiliiiiil,comdat
.Lfunc_end10:
	.size	_ZL18flash_attn_ext_f16ILi80ELi80ELi16ELi2ELb1ELb0EEvPKcS1_S1_S1_S1_PKiPfP15HIP_vector_typeIfLj2EEffffjfiS5_IjLj3EEiiiiiiiiiiiliiliiiiil, .Lfunc_end10-_ZL18flash_attn_ext_f16ILi80ELi80ELi16ELi2ELb1ELb0EEvPKcS1_S1_S1_S1_PKiPfP15HIP_vector_typeIfLj2EEffffjfiS5_IjLj3EEiiiiiiiiiiiliiliiiiil
                                        ; -- End function
	.section	.AMDGPU.csdata,"",@progbits
; Kernel info:
; codeLenInByte = 56
; NumSgprs: 40
; NumVgprs: 39
; NumAgprs: 0
; TotalNumVgprs: 39
; ScratchSize: 16
; MemoryBound: 0
; FloatMode: 240
; IeeeMode: 1
; LDSByteSize: 0 bytes/workgroup (compile time only)
; SGPRBlocks: 4
; VGPRBlocks: 4
; NumSGPRsForWavesPerEU: 40
; NumVGPRsForWavesPerEU: 39
; AccumOffset: 40
; Occupancy: 8
; WaveLimiterHint : 1
; COMPUTE_PGM_RSRC2:SCRATCH_EN: 1
; COMPUTE_PGM_RSRC2:USER_SGPR: 8
; COMPUTE_PGM_RSRC2:TRAP_HANDLER: 0
; COMPUTE_PGM_RSRC2:TGID_X_EN: 1
; COMPUTE_PGM_RSRC2:TGID_Y_EN: 0
; COMPUTE_PGM_RSRC2:TGID_Z_EN: 0
; COMPUTE_PGM_RSRC2:TIDIG_COMP_CNT: 0
; COMPUTE_PGM_RSRC3_GFX90A:ACCUM_OFFSET: 9
; COMPUTE_PGM_RSRC3_GFX90A:TG_SPLIT: 0
	.section	.text._ZL33flash_attn_stream_k_fixup_uniformILi80ELi16ELi2EEvPfPK15HIP_vector_typeIfLj2EEiiiiiiS1_IjLj3EES5_S5_,"axG",@progbits,_ZL33flash_attn_stream_k_fixup_uniformILi80ELi16ELi2EEvPfPK15HIP_vector_typeIfLj2EEiiiiiiS1_IjLj3EES5_S5_,comdat
	.globl	_ZL33flash_attn_stream_k_fixup_uniformILi80ELi16ELi2EEvPfPK15HIP_vector_typeIfLj2EEiiiiiiS1_IjLj3EES5_S5_ ; -- Begin function _ZL33flash_attn_stream_k_fixup_uniformILi80ELi16ELi2EEvPfPK15HIP_vector_typeIfLj2EEiiiiiiS1_IjLj3EES5_S5_
	.p2align	8
	.type	_ZL33flash_attn_stream_k_fixup_uniformILi80ELi16ELi2EEvPfPK15HIP_vector_typeIfLj2EEiiiiiiS1_IjLj3EES5_S5_,@function
_ZL33flash_attn_stream_k_fixup_uniformILi80ELi16ELi2EEvPfPK15HIP_vector_typeIfLj2EEiiiiiiS1_IjLj3EES5_S5_: ; @_ZL33flash_attn_stream_k_fixup_uniformILi80ELi16ELi2EEvPfPK15HIP_vector_typeIfLj2EEiiiiiiS1_IjLj3EES5_S5_
; %bb.0:
	s_load_dwordx8 s[12:19], s[4:5], 0x1c
	s_load_dwordx2 s[10:11], s[4:5], 0x10
	s_load_dwordx4 s[0:3], s[4:5], 0x3c
	s_waitcnt lgkmcnt(0)
	s_mul_hi_u32 s9, s15, s6
	s_add_i32 s9, s6, s9
	s_lshr_b32 s9, s9, s16
	s_mul_i32 s15, s9, s17
	s_sub_i32 s16, s6, s15
	s_mul_hi_u32 s15, s16, s18
	s_add_i32 s15, s16, s15
	s_lshr_b32 s15, s15, s19
	s_mul_i32 s0, s15, s0
	s_sub_i32 s0, s16, s0
	;; [unrolled: 5-line block ×3, first 2 shown]
	s_lshl_b32 s0, s16, 4
	s_lshl_b32 s17, s1, 1
	s_add_i32 s0, s0, s7
	s_cmp_lt_i32 s0, s10
	s_cselect_b64 s[0:1], -1, 0
	s_add_i32 s17, s17, s8
	s_cmp_lt_i32 s17, s13
	s_cselect_b64 s[2:3], -1, 0
	s_and_b64 s[0:1], s[0:1], s[2:3]
	s_andn2_b64 vcc, exec, s[0:1]
	s_cbranch_vccnz .LBB11_6
; %bb.1:
	s_load_dwordx4 s[0:3], s[4:5], 0x0
	s_mul_i32 s4, s9, s10
	s_mul_i32 s15, s15, s13
	s_add_i32 s4, s4, s7
	s_mul_i32 s4, s4, s11
	s_add_i32 s9, s17, s15
	;; [unrolled: 2-line block ×3, first 2 shown]
	s_mulk_i32 s5, 0x500
	s_mulk_i32 s4, 0x50
	s_add_i32 s4, s4, s5
	v_add_u32_e32 v2, s4, v0
	v_ashrrev_i32_e32 v3, 31, v2
	v_lshlrev_b64 v[2:3], 2, v[2:3]
	s_waitcnt lgkmcnt(0)
	v_mov_b32_e32 v1, s1
	v_add_co_u32_e32 v2, vcc, s0, v2
	v_addc_co_u32_e32 v3, vcc, v1, v3, vcc
	global_load_dword v8, v[2:3], off
	s_mul_i32 s9, s6, s14
	s_lshl_b32 s4, s7, 1
	s_add_i32 s11, s9, s14
	s_add_i32 s0, s4, s8
	s_lshl_b32 s1, s11, 5
	s_add_i32 s0, s0, s1
	s_sub_i32 s0, s0, 32
	s_ashr_i32 s1, s0, 31
	s_lshl_b64 s[0:1], s[0:1], 3
	s_add_u32 s0, s2, s0
	s_addc_u32 s1, s3, s1
	s_load_dword s5, s[0:1], 0x4
	s_add_i32 s10, s11, -2
	s_cmp_lt_i32 s10, s9
	s_cbranch_scc1 .LBB11_4
; %bb.2:
	s_lshl_b32 s16, s12, 7
	s_ashr_i32 s17, s16, 31
	s_lshl_b64 s[16:17], s[16:17], 2
	s_add_u32 s10, s2, s16
	s_addc_u32 s13, s3, s17
	s_add_i32 s6, s6, 1
	s_load_dword s0, s[0:1], 0x0
	s_mul_i32 s1, s14, s6
	s_lshl_b32 s6, s1, 5
	s_add_i32 s6, s8, s6
	s_lshl_b32 s12, s12, 5
	s_add_i32 s6, s6, s12
	s_add_i32 s6, s6, s4
	s_sub_i32 s4, s6, 64
	s_mulk_i32 s7, 0xa0
	s_mul_i32 s6, s8, 0x50
	s_mulk_i32 s1, 0xa00
	s_add_i32 s6, s6, s7
	s_add_i32 s6, s6, s1
	v_add_u32_e32 v0, s6, v0
	s_add_i32 s11, s11, -1
	v_add_u32_e32 v0, 0xffffec00, v0
	s_waitcnt lgkmcnt(0)
	v_mov_b32_e32 v7, s5
	v_mov_b32_e32 v6, s0
	;; [unrolled: 1-line block ×3, first 2 shown]
	s_mov_b32 s6, 0x3fb8aa3b
	s_mov_b32 s7, 0xc2ce8ed0
	;; [unrolled: 1-line block ×3, first 2 shown]
	v_mov_b32_e32 v5, 0x7f800000
	s_mov_b32 s12, 0xc1a00000
.LBB11_3:                               ; =>This Inner Loop Header: Depth=1
	v_ashrrev_i32_e32 v1, 31, v0
	v_lshlrev_b64 v[10:11], 2, v[0:1]
	v_add_co_u32_e32 v10, vcc, s10, v10
	v_addc_co_u32_e32 v11, vcc, v4, v11, vcc
	global_load_dword v1, v[10:11], off
	s_ashr_i32 s5, s4, 31
	s_lshl_b64 s[0:1], s[4:5], 3
	s_add_u32 s0, s2, s0
	s_addc_u32 s1, s3, s1
	s_load_dwordx2 s[14:15], s[0:1], 0x0
	s_waitcnt vmcnt(1)
	v_mov_b32_e32 v9, v8
	v_max_f32_e32 v8, v6, v6
	v_mov_b32_e32 v10, v7
	s_add_i32 s11, s11, -1
	s_waitcnt lgkmcnt(0)
	v_max_f32_e64 v7, s14, s14
	v_max_f32_e32 v7, v8, v7
	v_sub_f32_e32 v11, s14, v7
	v_sub_f32_e32 v8, v6, v7
	v_mul_f32_e32 v12, 0x3fb8aa3b, v11
	v_mov_b32_e32 v6, v7
	v_mul_f32_e32 v7, 0x3fb8aa3b, v8
	v_fma_f32 v15, v11, s6, -v12
	v_rndne_f32_e32 v16, v12
	v_fma_f32 v13, v8, s6, -v7
	v_rndne_f32_e32 v14, v7
	v_fmac_f32_e32 v15, 0x32a5705f, v11
	v_sub_f32_e32 v12, v12, v16
	v_fmac_f32_e32 v13, 0x32a5705f, v8
	v_sub_f32_e32 v7, v7, v14
	v_add_f32_e32 v12, v12, v15
	v_cvt_i32_f32_e32 v16, v16
	v_add_f32_e32 v7, v7, v13
	v_exp_f32_e32 v12, v12
	v_cvt_i32_f32_e32 v14, v14
	v_exp_f32_e32 v7, v7
	v_cmp_ngt_f32_e32 vcc, s7, v11
	v_ldexp_f32 v12, v12, v16
	v_cmp_ngt_f32_e64 s[0:1], s7, v8
	v_ldexp_f32 v7, v7, v14
	v_cndmask_b32_e32 v12, 0, v12, vcc
	v_cmp_nlt_f32_e32 vcc, s8, v11
	v_cndmask_b32_e64 v7, 0, v7, s[0:1]
	v_cmp_nlt_f32_e64 s[0:1], s8, v8
	v_cndmask_b32_e32 v12, v5, v12, vcc
	v_cmp_le_f32_e32 vcc, s12, v11
	v_cndmask_b32_e64 v7, v5, v7, s[0:1]
	v_cmp_le_f32_e64 s[0:1], s12, v8
	v_cndmask_b32_e32 v8, 0, v12, vcc
	s_sub_i32 s4, s4, 32
	v_cndmask_b32_e64 v11, 0, v7, s[0:1]
	v_mul_f32_e32 v7, s15, v8
	v_add_u32_e32 v0, 0xfffff600, v0
	s_cmp_le_i32 s11, s9
	v_fmac_f32_e32 v7, v10, v11
	s_waitcnt vmcnt(0)
	v_mul_f32_e32 v8, v1, v8
	v_fmac_f32_e32 v8, v9, v11
	s_cbranch_scc0 .LBB11_3
	s_branch .LBB11_5
.LBB11_4:
	s_waitcnt lgkmcnt(0)
	v_mov_b32_e32 v7, s5
.LBB11_5:
	s_waitcnt vmcnt(0)
	v_div_scale_f32 v0, s[0:1], v7, v7, v8
	v_rcp_f32_e32 v1, v0
	v_div_scale_f32 v4, vcc, v8, v7, v8
	v_fma_f32 v5, -v0, v1, 1.0
	v_fmac_f32_e32 v1, v5, v1
	v_mul_f32_e32 v5, v4, v1
	v_fma_f32 v6, -v0, v5, v4
	v_fmac_f32_e32 v5, v6, v1
	v_fma_f32 v0, -v0, v5, v4
	v_div_fmas_f32 v0, v0, v1, v5
	v_div_fixup_f32 v0, v0, v7, v8
	global_store_dword v[2:3], v0, off
.LBB11_6:
	s_endpgm
	.section	.rodata,"a",@progbits
	.p2align	6, 0x0
	.amdhsa_kernel _ZL33flash_attn_stream_k_fixup_uniformILi80ELi16ELi2EEvPfPK15HIP_vector_typeIfLj2EEiiiiiiS1_IjLj3EES5_S5_
		.amdhsa_group_segment_fixed_size 0
		.amdhsa_private_segment_fixed_size 0
		.amdhsa_kernarg_size 76
		.amdhsa_user_sgpr_count 6
		.amdhsa_user_sgpr_private_segment_buffer 1
		.amdhsa_user_sgpr_dispatch_ptr 0
		.amdhsa_user_sgpr_queue_ptr 0
		.amdhsa_user_sgpr_kernarg_segment_ptr 1
		.amdhsa_user_sgpr_dispatch_id 0
		.amdhsa_user_sgpr_flat_scratch_init 0
		.amdhsa_user_sgpr_kernarg_preload_length 0
		.amdhsa_user_sgpr_kernarg_preload_offset 0
		.amdhsa_user_sgpr_private_segment_size 0
		.amdhsa_uses_dynamic_stack 0
		.amdhsa_system_sgpr_private_segment_wavefront_offset 0
		.amdhsa_system_sgpr_workgroup_id_x 1
		.amdhsa_system_sgpr_workgroup_id_y 1
		.amdhsa_system_sgpr_workgroup_id_z 1
		.amdhsa_system_sgpr_workgroup_info 0
		.amdhsa_system_vgpr_workitem_id 0
		.amdhsa_next_free_vgpr 17
		.amdhsa_next_free_sgpr 20
		.amdhsa_accum_offset 20
		.amdhsa_reserve_vcc 1
		.amdhsa_reserve_flat_scratch 0
		.amdhsa_float_round_mode_32 0
		.amdhsa_float_round_mode_16_64 0
		.amdhsa_float_denorm_mode_32 3
		.amdhsa_float_denorm_mode_16_64 3
		.amdhsa_dx10_clamp 1
		.amdhsa_ieee_mode 1
		.amdhsa_fp16_overflow 0
		.amdhsa_tg_split 0
		.amdhsa_exception_fp_ieee_invalid_op 0
		.amdhsa_exception_fp_denorm_src 0
		.amdhsa_exception_fp_ieee_div_zero 0
		.amdhsa_exception_fp_ieee_overflow 0
		.amdhsa_exception_fp_ieee_underflow 0
		.amdhsa_exception_fp_ieee_inexact 0
		.amdhsa_exception_int_div_zero 0
	.end_amdhsa_kernel
	.section	.text._ZL33flash_attn_stream_k_fixup_uniformILi80ELi16ELi2EEvPfPK15HIP_vector_typeIfLj2EEiiiiiiS1_IjLj3EES5_S5_,"axG",@progbits,_ZL33flash_attn_stream_k_fixup_uniformILi80ELi16ELi2EEvPfPK15HIP_vector_typeIfLj2EEiiiiiiS1_IjLj3EES5_S5_,comdat
.Lfunc_end11:
	.size	_ZL33flash_attn_stream_k_fixup_uniformILi80ELi16ELi2EEvPfPK15HIP_vector_typeIfLj2EEiiiiiiS1_IjLj3EES5_S5_, .Lfunc_end11-_ZL33flash_attn_stream_k_fixup_uniformILi80ELi16ELi2EEvPfPK15HIP_vector_typeIfLj2EEiiiiiiS1_IjLj3EES5_S5_
                                        ; -- End function
	.section	.AMDGPU.csdata,"",@progbits
; Kernel info:
; codeLenInByte = 856
; NumSgprs: 24
; NumVgprs: 17
; NumAgprs: 0
; TotalNumVgprs: 17
; ScratchSize: 0
; MemoryBound: 0
; FloatMode: 240
; IeeeMode: 1
; LDSByteSize: 0 bytes/workgroup (compile time only)
; SGPRBlocks: 2
; VGPRBlocks: 2
; NumSGPRsForWavesPerEU: 24
; NumVGPRsForWavesPerEU: 17
; AccumOffset: 20
; Occupancy: 8
; WaveLimiterHint : 0
; COMPUTE_PGM_RSRC2:SCRATCH_EN: 0
; COMPUTE_PGM_RSRC2:USER_SGPR: 6
; COMPUTE_PGM_RSRC2:TRAP_HANDLER: 0
; COMPUTE_PGM_RSRC2:TGID_X_EN: 1
; COMPUTE_PGM_RSRC2:TGID_Y_EN: 1
; COMPUTE_PGM_RSRC2:TGID_Z_EN: 1
; COMPUTE_PGM_RSRC2:TIDIG_COMP_CNT: 0
; COMPUTE_PGM_RSRC3_GFX90A:ACCUM_OFFSET: 4
; COMPUTE_PGM_RSRC3_GFX90A:TG_SPLIT: 0
	.section	.text._ZL33flash_attn_stream_k_fixup_generalILi80ELi16ELi2EEvPfPK15HIP_vector_typeIfLj2EEiiiiS1_IjLj3EES5_S5_S5_,"axG",@progbits,_ZL33flash_attn_stream_k_fixup_generalILi80ELi16ELi2EEvPfPK15HIP_vector_typeIfLj2EEiiiiS1_IjLj3EES5_S5_S5_,comdat
	.globl	_ZL33flash_attn_stream_k_fixup_generalILi80ELi16ELi2EEvPfPK15HIP_vector_typeIfLj2EEiiiiS1_IjLj3EES5_S5_S5_ ; -- Begin function _ZL33flash_attn_stream_k_fixup_generalILi80ELi16ELi2EEvPfPK15HIP_vector_typeIfLj2EEiiiiS1_IjLj3EES5_S5_S5_
	.p2align	8
	.type	_ZL33flash_attn_stream_k_fixup_generalILi80ELi16ELi2EEvPfPK15HIP_vector_typeIfLj2EEiiiiS1_IjLj3EES5_S5_S5_,@function
_ZL33flash_attn_stream_k_fixup_generalILi80ELi16ELi2EEvPfPK15HIP_vector_typeIfLj2EEiiiiS1_IjLj3EES5_S5_S5_: ; @_ZL33flash_attn_stream_k_fixup_generalILi80ELi16ELi2EEvPfPK15HIP_vector_typeIfLj2EEiiiiS1_IjLj3EES5_S5_S5_
; %bb.0:
	s_load_dwordx4 s[12:15], s[4:5], 0x10
	s_load_dword s9, s[4:5], 0x50
	s_mov_b32 s2, 0
	s_waitcnt lgkmcnt(0)
	s_mul_hi_i32 s3, s15, s6
	s_cmp_lg_u64 s[2:3], 0
	s_mul_i32 s2, s15, s6
	s_cbranch_scc0 .LBB12_21
; %bb.1:
	v_cvt_f32_u32_e32 v1, s9
	v_cvt_f32_ubyte0_e32 v2, 0
	s_sub_u32 s10, 0, s9
	s_subb_u32 s11, 0, 0
	v_madmk_f32 v1, v2, 0x4f800000, v1
	v_rcp_f32_e32 v1, v1
	v_mul_f32_e32 v1, 0x5f7ffffc, v1
	v_mul_f32_e32 v2, 0x2f800000, v1
	v_trunc_f32_e32 v2, v2
	v_madmk_f32 v1, v2, 0xcf800000, v1
	v_cvt_u32_f32_e32 v2, v2
	v_cvt_u32_f32_e32 v1, v1
	v_readfirstlane_b32 s16, v2
	v_readfirstlane_b32 s17, v1
	s_mul_i32 s18, s10, s16
	s_mul_hi_u32 s20, s10, s17
	s_mul_i32 s19, s11, s17
	s_add_i32 s18, s20, s18
	s_add_i32 s18, s18, s19
	s_mul_i32 s21, s10, s17
	s_mul_hi_u32 s19, s17, s18
	s_mul_i32 s20, s17, s18
	s_mul_hi_u32 s17, s17, s21
	s_add_u32 s17, s17, s20
	s_addc_u32 s19, 0, s19
	s_mul_hi_u32 s22, s16, s21
	s_mul_i32 s21, s16, s21
	s_add_u32 s17, s17, s21
	s_mul_hi_u32 s20, s16, s18
	s_addc_u32 s17, s19, s22
	s_addc_u32 s19, s20, 0
	s_mul_i32 s18, s16, s18
	s_add_u32 s17, s17, s18
	s_addc_u32 s18, 0, s19
	v_add_co_u32_e32 v1, vcc, s17, v1
	s_cmp_lg_u64 vcc, 0
	s_addc_u32 s16, s16, s18
	v_readfirstlane_b32 s18, v1
	s_mul_i32 s17, s10, s16
	s_mul_hi_u32 s19, s10, s18
	s_add_i32 s17, s19, s17
	s_mul_i32 s11, s11, s18
	s_add_i32 s17, s17, s11
	s_mul_i32 s10, s10, s18
	s_mul_hi_u32 s19, s16, s10
	s_mul_i32 s20, s16, s10
	s_mul_i32 s22, s18, s17
	s_mul_hi_u32 s10, s18, s10
	s_mul_hi_u32 s21, s18, s17
	s_add_u32 s10, s10, s22
	s_addc_u32 s18, 0, s21
	s_add_u32 s10, s10, s20
	s_mul_hi_u32 s11, s16, s17
	s_addc_u32 s10, s18, s19
	s_addc_u32 s11, s11, 0
	s_mul_i32 s17, s16, s17
	s_add_u32 s10, s10, s17
	s_addc_u32 s11, 0, s11
	v_add_co_u32_e32 v1, vcc, s10, v1
	s_cmp_lg_u64 vcc, 0
	s_addc_u32 s18, s16, s11
	s_ashr_i32 s10, s3, 31
	s_add_u32 s16, s2, s10
	s_mov_b32 s11, s10
	s_addc_u32 s17, s3, s10
	s_xor_b64 s[16:17], s[16:17], s[10:11]
	v_readfirstlane_b32 s20, v1
	s_mul_i32 s19, s16, s18
	s_mul_hi_u32 s21, s16, s20
	s_mul_hi_u32 s3, s16, s18
	s_add_u32 s19, s21, s19
	s_addc_u32 s3, 0, s3
	s_mul_hi_u32 s22, s17, s20
	s_mul_i32 s20, s17, s20
	s_add_u32 s19, s19, s20
	s_mul_hi_u32 s21, s17, s18
	s_addc_u32 s3, s3, s22
	s_addc_u32 s19, s21, 0
	s_mul_i32 s18, s17, s18
	s_add_u32 s3, s3, s18
	s_addc_u32 s18, 0, s19
	s_add_u32 s19, s3, 1
	s_addc_u32 s20, s18, 0
	s_add_u32 s21, s3, 2
	s_mul_i32 s23, s9, s18
	s_mul_hi_u32 s24, s9, s3
	s_addc_u32 s22, s18, 0
	s_add_i32 s24, s24, s23
	s_mul_i32 s23, s9, s3
	v_mov_b32_e32 v1, s23
	v_sub_co_u32_e32 v1, vcc, s16, v1
	s_cmp_lg_u64 vcc, 0
	s_subb_u32 s16, s17, s24
	v_subrev_co_u32_e32 v2, vcc, s9, v1
	s_cmp_lg_u64 vcc, 0
	s_subb_u32 s17, s16, 0
	v_readfirstlane_b32 s23, v2
	s_cmp_ge_u32 s23, s9
	s_cselect_b32 s23, -1, 0
	s_cmp_eq_u32 s17, 0
	s_cselect_b32 s17, s23, -1
	s_cmp_lg_u32 s17, 0
	s_cselect_b32 s17, s22, s20
	v_readfirstlane_b32 s20, v1
	s_cselect_b32 s19, s21, s19
	s_cmp_ge_u32 s20, s9
	s_cselect_b32 s20, -1, 0
	s_cmp_eq_u32 s16, 0
	s_cselect_b32 s16, s20, -1
	s_cmp_lg_u32 s16, 0
	s_cselect_b32 s17, s17, s18
	s_cselect_b32 s16, s19, s3
	s_xor_b64 s[16:17], s[16:17], s[10:11]
	s_sub_u32 s20, s16, s10
	s_load_dwordx4 s[16:19], s[4:5], 0x44
	s_cbranch_execnz .LBB12_3
.LBB12_2:
	v_cvt_f32_u32_e32 v1, s9
	s_sub_i32 s0, 0, s9
	v_rcp_iflag_f32_e32 v1, v1
	v_mul_f32_e32 v1, 0x4f7ffffe, v1
	v_cvt_u32_f32_e32 v1, v1
	v_readfirstlane_b32 s1, v1
	s_mul_i32 s0, s0, s1
	s_mul_hi_u32 s0, s1, s0
	s_add_i32 s1, s1, s0
	s_mul_hi_u32 s0, s2, s1
	s_mul_i32 s3, s0, s9
	s_sub_i32 s2, s2, s3
	s_add_i32 s1, s0, 1
	s_sub_i32 s3, s2, s9
	s_cmp_ge_u32 s2, s9
	s_cselect_b32 s0, s1, s0
	s_cselect_b32 s2, s3, s2
	s_add_i32 s1, s0, 1
	s_cmp_ge_u32 s2, s9
	s_cselect_b32 s20, s1, s0
.LBB12_3:
	s_add_i32 s0, s6, 1
	s_mul_hi_i32 s3, s15, s0
	s_mov_b32 s2, 0
	s_cmp_lg_u64 s[2:3], 0
	s_mul_i32 s2, s15, s0
	s_cbranch_scc0 .LBB12_22
; %bb.4:
	v_cvt_f32_u32_e32 v1, s9
	v_cvt_f32_ubyte0_e32 v2, 0
	s_sub_u32 s10, 0, s9
	s_subb_u32 s11, 0, 0
	v_madmk_f32 v1, v2, 0x4f800000, v1
	v_rcp_f32_e32 v1, v1
	v_mul_f32_e32 v1, 0x5f7ffffc, v1
	v_mul_f32_e32 v2, 0x2f800000, v1
	v_trunc_f32_e32 v2, v2
	v_madmk_f32 v1, v2, 0xcf800000, v1
	v_cvt_u32_f32_e32 v2, v2
	v_cvt_u32_f32_e32 v1, v1
	s_waitcnt lgkmcnt(0)
	v_readfirstlane_b32 s19, v2
	v_readfirstlane_b32 s21, v1
	s_mul_i32 s22, s10, s19
	s_mul_hi_u32 s24, s10, s21
	s_mul_i32 s23, s11, s21
	s_add_i32 s22, s24, s22
	s_add_i32 s22, s22, s23
	s_mul_i32 s25, s10, s21
	s_mul_hi_u32 s23, s21, s22
	s_mul_i32 s24, s21, s22
	s_mul_hi_u32 s21, s21, s25
	s_add_u32 s21, s21, s24
	s_addc_u32 s23, 0, s23
	s_mul_hi_u32 s26, s19, s25
	s_mul_i32 s25, s19, s25
	s_add_u32 s21, s21, s25
	s_mul_hi_u32 s24, s19, s22
	s_addc_u32 s21, s23, s26
	s_addc_u32 s23, s24, 0
	s_mul_i32 s22, s19, s22
	s_add_u32 s21, s21, s22
	s_addc_u32 s22, 0, s23
	v_add_co_u32_e32 v1, vcc, s21, v1
	s_cmp_lg_u64 vcc, 0
	s_addc_u32 s19, s19, s22
	v_readfirstlane_b32 s22, v1
	s_mul_i32 s21, s10, s19
	s_mul_hi_u32 s23, s10, s22
	s_add_i32 s21, s23, s21
	s_mul_i32 s11, s11, s22
	s_add_i32 s21, s21, s11
	s_mul_i32 s10, s10, s22
	s_mul_hi_u32 s23, s19, s10
	s_mul_i32 s24, s19, s10
	s_mul_i32 s26, s22, s21
	s_mul_hi_u32 s10, s22, s10
	s_mul_hi_u32 s25, s22, s21
	s_add_u32 s10, s10, s26
	s_addc_u32 s22, 0, s25
	s_add_u32 s10, s10, s24
	s_mul_hi_u32 s11, s19, s21
	s_addc_u32 s10, s22, s23
	s_addc_u32 s11, s11, 0
	s_mul_i32 s21, s19, s21
	s_add_u32 s10, s10, s21
	s_addc_u32 s11, 0, s11
	v_add_co_u32_e32 v1, vcc, s10, v1
	s_cmp_lg_u64 vcc, 0
	s_addc_u32 s19, s19, s11
	s_ashr_i32 s10, s3, 31
	s_add_u32 s22, s2, s10
	s_mov_b32 s11, s10
	s_addc_u32 s23, s3, s10
	s_xor_b64 s[22:23], s[22:23], s[10:11]
	v_readfirstlane_b32 s21, v1
	s_mul_i32 s11, s22, s19
	s_mul_hi_u32 s24, s22, s21
	s_mul_hi_u32 s3, s22, s19
	s_add_u32 s11, s24, s11
	s_addc_u32 s3, 0, s3
	s_mul_hi_u32 s25, s23, s21
	s_mul_i32 s21, s23, s21
	s_add_u32 s11, s11, s21
	s_mul_hi_u32 s24, s23, s19
	s_addc_u32 s3, s3, s25
	s_addc_u32 s11, s24, 0
	s_mul_i32 s19, s23, s19
	s_add_u32 s3, s3, s19
	s_addc_u32 s11, 0, s11
	s_mul_i32 s11, s9, s11
	s_mul_hi_u32 s24, s9, s3
	s_add_i32 s24, s24, s11
	s_mul_i32 s11, s9, s3
	v_mov_b32_e32 v1, s11
	s_add_u32 s19, s3, 1
	s_add_u32 s21, s3, 2
	v_sub_co_u32_e32 v1, vcc, s22, v1
	s_cmp_lg_u64 vcc, 0
	s_subb_u32 s11, s23, s24
	v_subrev_co_u32_e32 v2, vcc, s9, v1
	s_cmp_lg_u64 vcc, 0
	s_subb_u32 s22, s11, 0
	v_cmp_le_u32_e32 vcc, s9, v2
	s_cmp_eq_u32 s22, 0
	v_cndmask_b32_e64 v2, 0, -1, vcc
	s_cselect_b64 vcc, -1, 0
	v_cndmask_b32_e32 v2, -1, v2, vcc
	v_mov_b32_e32 v3, s19
	v_mov_b32_e32 v4, s21
	v_cmp_ne_u32_e32 vcc, 0, v2
	v_cndmask_b32_e32 v2, v3, v4, vcc
	v_cmp_le_u32_e32 vcc, s9, v1
	s_cmp_eq_u32 s11, 0
	v_cndmask_b32_e64 v1, 0, -1, vcc
	s_cselect_b64 vcc, -1, 0
	v_cndmask_b32_e32 v1, -1, v1, vcc
	v_mov_b32_e32 v3, s3
	v_cmp_ne_u32_e32 vcc, 0, v1
	v_cndmask_b32_e32 v1, v3, v2, vcc
	v_xor_b32_e32 v1, s10, v1
	v_subrev_co_u32_e32 v2, vcc, s10, v1
	s_cbranch_execnz .LBB12_6
.LBB12_5:
	v_cvt_f32_u32_e32 v1, s9
	s_sub_i32 s0, 0, s9
	s_mov_b32 s1, 0
	v_rcp_iflag_f32_e32 v1, v1
	v_mul_f32_e32 v1, 0x4f7ffffe, v1
	v_cvt_u32_f32_e32 v1, v1
	v_readfirstlane_b32 s3, v1
	s_mul_i32 s0, s0, s3
	s_mul_hi_u32 s0, s3, s0
	s_add_i32 s3, s3, s0
	s_mul_hi_u32 s0, s2, s3
	s_mul_i32 s10, s0, s9
	s_sub_i32 s2, s2, s10
	s_add_i32 s3, s0, 1
	s_sub_i32 s10, s2, s9
	s_cmp_ge_u32 s2, s9
	s_cselect_b32 s0, s3, s0
	s_cselect_b32 s2, s10, s2
	s_add_i32 s3, s0, 1
	s_cmp_ge_u32 s2, s9
	s_cselect_b32 s0, s3, s0
	v_pk_mov_b32 v[2:3], s[0:1], s[0:1] op_sel:[0,1]
.LBB12_6:
	s_waitcnt lgkmcnt(0)
	s_mul_hi_u32 s0, s20, s16
	s_add_i32 s0, s0, s20
	v_mul_hi_u32 v1, v2, s16
	s_lshr_b32 s19, s0, s17
	v_add_u32_e32 v1, v1, v2
	s_mul_i32 s0, s19, s18
	v_lshrrev_b32_e32 v1, s17, v1
	s_cmp_eq_u32 s0, s20
	v_cmp_eq_u32_e64 s[0:1], s19, v1
	v_mul_lo_u32 v1, v1, s18
	v_cmp_eq_u32_e32 vcc, s20, v2
	s_cselect_b64 s[10:11], -1, 0
	v_cmp_ne_u32_e64 s[2:3], v1, v2
	s_and_b64 s[0:1], s[0:1], s[2:3]
	s_or_b64 s[2:3], vcc, s[10:11]
	s_or_b64 s[0:1], s[2:3], s[0:1]
	s_and_b64 vcc, exec, s[0:1]
	s_cbranch_vccnz .LBB12_24
; %bb.7:
	s_load_dwordx8 s[24:31], s[4:5], 0x20
	s_load_dword s0, s[4:5], 0x40
	s_mov_b32 s10, 0
	s_waitcnt lgkmcnt(0)
	s_mul_hi_u32 s1, s20, s24
	s_add_i32 s1, s1, s20
	s_lshr_b32 s11, s1, s25
	s_mul_i32 s1, s11, s26
	s_sub_i32 s1, s20, s1
	s_mul_hi_u32 s2, s1, s27
	s_add_i32 s2, s1, s2
	s_lshr_b32 s23, s2, s28
	s_mul_i32 s2, s23, s29
	s_sub_i32 s1, s1, s2
	;; [unrolled: 5-line block ×3, first 2 shown]
	s_mul_hi_u32 s1, s0, s16
	s_add_i32 s0, s0, s1
	s_lshr_b32 s24, s0, s17
	s_lshl_b32 s0, s24, 4
	s_lshl_b32 s25, s2, 1
	s_add_i32 s0, s0, s7
	s_cmp_lt_i32 s0, s12
	s_cselect_b64 s[0:1], -1, 0
	s_add_i32 s25, s25, s8
	s_cmp_lt_i32 s25, s14
	s_cselect_b64 s[2:3], -1, 0
	s_and_b64 s[0:1], s[0:1], s[2:3]
	s_andn2_b64 vcc, exec, s[0:1]
	s_cbranch_vccnz .LBB12_24
; %bb.8:
	s_load_dwordx4 s[0:3], s[4:5], 0x0
	s_lshl_b32 s4, s7, 1
	s_add_i32 s8, s4, s8
	s_lshl_b32 s4, s9, 7
	s_mov_b32 s5, s10
	s_lshl_b64 s[4:5], s[4:5], 2
	s_waitcnt lgkmcnt(0)
	s_add_u32 s21, s2, s4
	s_mul_i32 s4, s11, s12
	s_addc_u32 s22, s3, s5
	s_mul_i32 s23, s23, s14
	s_add_i32 s4, s4, s7
	s_mul_i32 s4, s4, s13
	s_add_i32 s7, s25, s23
	;; [unrolled: 2-line block ×3, first 2 shown]
	s_mulk_i32 s5, 0x500
	s_mulk_i32 s4, 0x50
	s_add_i32 s5, s5, s4
	v_add_u32_e32 v2, s5, v0
	v_ashrrev_i32_e32 v3, 31, v2
	v_lshlrev_b64 v[2:3], 2, v[2:3]
	v_mov_b32_e32 v1, s1
	v_add_co_u32_e32 v2, vcc, s0, v2
	v_addc_co_u32_e32 v3, vcc, v1, v3, vcc
	global_load_dword v5, v[2:3], off
	s_mul_i32 s4, s8, 0x50
	v_add_u32_e32 v4, s4, v0
	v_cvt_f32_u32_e32 v0, s9
	v_cvt_f32_ubyte0_e32 v1, 0
	s_lshl_b32 s0, s6, 5
	s_add_i32 s0, s8, s0
	v_mac_f32_e32 v0, 0x4f800000, v1
	v_rcp_f32_e32 v0, v0
	v_cvt_f32_u32_e32 v1, s9
	s_ashr_i32 s1, s0, 31
	s_lshl_b64 s[0:1], s[0:1], 3
	v_mul_f32_e32 v0, 0x5f7ffffc, v0
	v_rcp_iflag_f32_e32 v1, v1
	s_add_u32 s0, s2, s0
	v_mul_f32_e32 v9, 0x2f800000, v0
	s_addc_u32 s1, s3, s1
	v_trunc_f32_e32 v10, v9
	s_load_dwordx2 s[0:1], s[0:1], 0x0
	v_mac_f32_e32 v0, 0xcf800000, v10
	v_cvt_u32_f32_e32 v9, v0
	v_mul_f32_e32 v0, 0x4f7ffffe, v1
	v_cvt_u32_f32_e32 v10, v10
	v_cvt_u32_f32_e32 v11, v0
	s_add_i32 s12, s6, -1
	s_waitcnt lgkmcnt(0)
	v_mov_b32_e32 v6, s1
	v_mov_b32_e32 v7, s0
	;; [unrolled: 1-line block ×3, first 2 shown]
	s_mov_b32 s6, 0x3fb8aa3b
	s_mov_b32 s7, 0xc2ce8ed0
	;; [unrolled: 1-line block ×4, first 2 shown]
	v_mov_b32_e32 v12, 0x7f800000
	s_mul_hi_i32 s11, s12, s15
	s_cmp_lg_u64 s[10:11], 0
	s_mul_i32 s4, s12, s15
	s_cbranch_scc0 .LBB12_15
.LBB12_9:
	s_sub_u32 s0, 0, s9
	v_readfirstlane_b32 s5, v9
	v_readfirstlane_b32 s24, v10
	s_subb_u32 s1, 0, 0
	s_mul_hi_u32 s23, s0, s5
	s_mul_i32 s25, s0, s24
	s_mul_i32 s20, s1, s5
	s_add_i32 s23, s23, s25
	s_add_i32 s23, s23, s20
	s_mul_i32 s26, s0, s5
	s_mul_hi_u32 s20, s5, s23
	s_mul_i32 s25, s5, s23
	s_mul_hi_u32 s5, s5, s26
	s_add_u32 s5, s5, s25
	s_addc_u32 s20, 0, s20
	s_mul_hi_u32 s27, s24, s26
	s_mul_i32 s26, s24, s26
	s_add_u32 s5, s5, s26
	s_mul_hi_u32 s25, s24, s23
	s_addc_u32 s5, s20, s27
	s_addc_u32 s20, s25, 0
	s_mul_i32 s23, s24, s23
	s_add_u32 s5, s5, s23
	s_addc_u32 s20, 0, s20
	v_add_co_u32_e32 v0, vcc, s5, v9
	s_cmp_lg_u64 vcc, 0
	s_addc_u32 s5, s24, s20
	v_readfirstlane_b32 s23, v0
	s_mul_i32 s20, s0, s5
	s_mul_hi_u32 s24, s0, s23
	s_add_i32 s20, s24, s20
	s_mul_i32 s1, s1, s23
	s_add_i32 s20, s20, s1
	s_mul_i32 s0, s0, s23
	s_mul_hi_u32 s24, s5, s0
	s_mul_i32 s25, s5, s0
	s_mul_i32 s27, s23, s20
	s_mul_hi_u32 s0, s23, s0
	s_mul_hi_u32 s26, s23, s20
	s_add_u32 s0, s0, s27
	s_addc_u32 s23, 0, s26
	s_add_u32 s0, s0, s25
	s_mul_hi_u32 s1, s5, s20
	s_addc_u32 s0, s23, s24
	s_addc_u32 s1, s1, 0
	s_mul_i32 s20, s5, s20
	s_add_u32 s0, s0, s20
	s_addc_u32 s1, 0, s1
	v_add_co_u32_e32 v0, vcc, s0, v0
	s_cmp_lg_u64 vcc, 0
	s_addc_u32 s5, s5, s1
	s_ashr_i32 s0, s11, 31
	s_add_u32 s24, s4, s0
	s_mov_b32 s1, s0
	s_addc_u32 s25, s11, s0
	s_xor_b64 s[24:25], s[24:25], s[0:1]
	v_readfirstlane_b32 s20, v0
	s_mul_i32 s11, s24, s5
	s_mul_hi_u32 s23, s24, s20
	s_mul_hi_u32 s1, s24, s5
	s_add_u32 s11, s23, s11
	s_addc_u32 s1, 0, s1
	s_mul_hi_u32 s26, s25, s20
	s_mul_i32 s20, s25, s20
	s_add_u32 s11, s11, s20
	s_mul_hi_u32 s23, s25, s5
	s_addc_u32 s1, s1, s26
	s_addc_u32 s11, s23, 0
	s_mul_i32 s5, s25, s5
	s_add_u32 s1, s1, s5
	s_addc_u32 s5, 0, s11
	s_mul_i32 s5, s9, s5
	s_mul_hi_u32 s23, s9, s1
	s_add_i32 s23, s23, s5
	s_mul_i32 s5, s9, s1
	v_mov_b32_e32 v0, s5
	s_add_u32 s11, s1, 1
	s_add_u32 s20, s1, 2
	v_sub_co_u32_e32 v0, vcc, s24, v0
	s_cmp_lg_u64 vcc, 0
	s_subb_u32 s5, s25, s23
	v_subrev_co_u32_e32 v1, vcc, s9, v0
	s_cmp_lg_u64 vcc, 0
	s_subb_u32 s23, s5, 0
	v_cmp_le_u32_e32 vcc, s9, v1
	s_cmp_eq_u32 s23, 0
	v_cndmask_b32_e64 v1, 0, -1, vcc
	s_cselect_b64 vcc, -1, 0
	v_cndmask_b32_e32 v1, -1, v1, vcc
	v_mov_b32_e32 v13, s11
	v_mov_b32_e32 v14, s20
	v_cmp_ne_u32_e32 vcc, 0, v1
	v_cndmask_b32_e32 v1, v13, v14, vcc
	v_cmp_le_u32_e32 vcc, s9, v0
	s_cmp_eq_u32 s5, 0
	v_cndmask_b32_e64 v0, 0, -1, vcc
	s_cselect_b64 vcc, -1, 0
	v_cndmask_b32_e32 v0, -1, v0, vcc
	v_mov_b32_e32 v13, s1
	v_cmp_ne_u32_e32 vcc, 0, v0
	v_cndmask_b32_e32 v0, v13, v1, vcc
	v_xor_b32_e32 v0, s0, v0
	v_subrev_co_u32_e32 v0, vcc, s0, v0
	s_cbranch_execnz .LBB12_11
.LBB12_10:
	s_sub_i32 s0, 0, s9
	v_mul_lo_u32 v0, s0, v11
	v_mul_hi_u32 v0, v11, v0
	v_add_u32_e32 v0, v11, v0
	v_mul_hi_u32 v0, s4, v0
	v_mul_lo_u32 v13, v0, s9
	v_sub_u32_e32 v13, s4, v13
	v_add_u32_e32 v1, 1, v0
	v_subrev_u32_e32 v14, s9, v13
	v_cmp_le_u32_e32 vcc, s9, v13
	v_cndmask_b32_e32 v13, v13, v14, vcc
	v_cndmask_b32_e32 v0, v0, v1, vcc
	v_add_u32_e32 v1, 1, v0
	v_cmp_le_u32_e32 vcc, s9, v13
	v_cndmask_b32_e32 v0, v0, v1, vcc
.LBB12_11:
	v_cmp_ne_u32_e32 vcc, v8, v0
	s_cbranch_vccz .LBB12_14
; %bb.12:
	s_add_i32 s0, s12, s9
	s_lshl_b32 s0, s0, 5
	v_mul_hi_u32 v1, v0, s16
	s_add_i32 s0, s0, s8
	s_mov_b32 s1, s10
	v_add_u32_e32 v1, v1, v0
	s_lshl_b64 s[0:1], s[0:1], 3
	v_lshrrev_b32_e32 v1, s17, v1
	s_add_u32 s4, s2, s0
	v_mul_lo_u32 v13, v1, s18
	s_addc_u32 s5, s3, s1
	v_cmp_eq_u32_e32 vcc, v13, v0
	v_cmp_gt_u32_e64 s[0:1], s19, v1
	s_or_b64 s[0:1], s[0:1], vcc
	s_and_b64 vcc, exec, s[0:1]
	s_cbranch_vccnz .LBB12_16
; %bb.13:
	s_add_i32 s11, s12, -1
	s_mov_b64 s[0:1], 0
	s_branch .LBB12_17
.LBB12_14:
                                        ; implicit-def: $sgpr0_sgpr1
                                        ; implicit-def: $vgpr14
                                        ; implicit-def: $vgpr1
                                        ; implicit-def: $vgpr13
                                        ; implicit-def: $sgpr11
                                        ; implicit-def: $vgpr0
	s_branch .LBB12_18
.LBB12_15:
                                        ; implicit-def: $vgpr0_vgpr1
	s_branch .LBB12_10
.LBB12_16:
	s_mov_b64 s[0:1], -1
	s_mov_b32 s11, s12
	v_mov_b32_e32 v0, v8
.LBB12_17:
	s_mul_i32 s20, s12, 0xa00
	v_add_u32_e32 v14, s20, v4
	v_ashrrev_i32_e32 v15, 31, v14
	v_lshlrev_b64 v[14:15], 2, v[14:15]
	v_mov_b32_e32 v1, s22
	v_add_co_u32_e32 v14, vcc, s21, v14
	v_addc_co_u32_e32 v15, vcc, v1, v15, vcc
	global_load_dword v14, v[14:15], off
	s_load_dwordx2 s[4:5], s[4:5], 0x0
	v_max_f32_e32 v1, v7, v7
	s_waitcnt lgkmcnt(0)
	v_max_f32_e64 v13, s4, s4
	v_max_f32_e32 v1, v1, v13
	v_sub_f32_e32 v13, v7, v1
	v_sub_f32_e32 v15, s4, v1
	v_mul_f32_e32 v16, 0x3fb8aa3b, v13
	v_mul_f32_e32 v17, 0x3fb8aa3b, v15
	v_fma_f32 v18, v13, s6, -v16
	v_rndne_f32_e32 v19, v16
	v_fma_f32 v20, v15, s6, -v17
	v_rndne_f32_e32 v21, v17
	v_fmac_f32_e32 v18, 0x32a5705f, v13
	v_sub_f32_e32 v16, v16, v19
	v_fmac_f32_e32 v20, 0x32a5705f, v15
	v_sub_f32_e32 v17, v17, v21
	v_add_f32_e32 v16, v16, v18
	v_cvt_i32_f32_e32 v19, v19
	v_add_f32_e32 v17, v17, v20
	v_exp_f32_e32 v16, v16
	v_cvt_i32_f32_e32 v21, v21
	v_exp_f32_e32 v17, v17
	v_cmp_ngt_f32_e32 vcc, s7, v13
	v_ldexp_f32 v16, v16, v19
	v_cndmask_b32_e32 v16, 0, v16, vcc
	v_ldexp_f32 v17, v17, v21
	v_cmp_ngt_f32_e32 vcc, s7, v15
	v_cndmask_b32_e32 v17, 0, v17, vcc
	v_cmp_nlt_f32_e32 vcc, s13, v13
	v_cndmask_b32_e32 v16, v12, v16, vcc
	v_cmp_nlt_f32_e32 vcc, s13, v15
	v_cndmask_b32_e32 v17, v12, v17, vcc
	v_cmp_le_f32_e32 vcc, s14, v13
	v_cndmask_b32_e32 v16, 0, v16, vcc
	v_cmp_le_f32_e32 vcc, s14, v15
	v_cndmask_b32_e32 v15, 0, v17, vcc
	v_mul_f32_e32 v13, s5, v15
	v_fmac_f32_e32 v13, v6, v16
	s_waitcnt vmcnt(0)
	v_mul_f32_e32 v14, v14, v15
	v_fmac_f32_e32 v14, v5, v16
	s_cbranch_execnz .LBB12_19
.LBB12_18:
	s_add_i32 s11, s12, -1
	s_mov_b64 s[0:1], 0
	v_mov_b32_e32 v0, v8
	v_mov_b32_e32 v13, v6
	;; [unrolled: 1-line block ×3, first 2 shown]
	s_waitcnt vmcnt(0)
	v_mov_b32_e32 v14, v5
.LBB12_19:
	s_andn2_b64 vcc, exec, s[0:1]
	s_cbranch_vccz .LBB12_23
; %bb.20:
	v_mov_b32_e32 v8, v0
	s_mov_b32 s12, s11
	v_mov_b32_e32 v6, v13
	v_mov_b32_e32 v7, v1
	s_waitcnt vmcnt(0)
	v_mov_b32_e32 v5, v14
	s_mul_hi_i32 s11, s12, s15
	s_cmp_lg_u64 s[10:11], 0
	s_mul_i32 s4, s12, s15
	s_cbranch_scc1 .LBB12_9
	s_branch .LBB12_15
.LBB12_21:
                                        ; implicit-def: $sgpr20_sgpr21
	s_load_dwordx4 s[16:19], s[4:5], 0x44
	s_branch .LBB12_2
.LBB12_22:
                                        ; implicit-def: $vgpr2_vgpr3
	s_branch .LBB12_5
.LBB12_23:
	v_div_scale_f32 v0, s[0:1], v13, v13, v14
	v_rcp_f32_e32 v1, v0
	v_div_scale_f32 v4, vcc, v14, v13, v14
	s_waitcnt vmcnt(0)
	v_fma_f32 v5, -v0, v1, 1.0
	v_fmac_f32_e32 v1, v5, v1
	v_mul_f32_e32 v5, v4, v1
	v_fma_f32 v6, -v0, v5, v4
	v_fmac_f32_e32 v5, v6, v1
	v_fma_f32 v0, -v0, v5, v4
	v_div_fmas_f32 v0, v0, v1, v5
	v_div_fixup_f32 v0, v0, v13, v14
	global_store_dword v[2:3], v0, off
.LBB12_24:
	s_endpgm
	.section	.rodata,"a",@progbits
	.p2align	6, 0x0
	.amdhsa_kernel _ZL33flash_attn_stream_k_fixup_generalILi80ELi16ELi2EEvPfPK15HIP_vector_typeIfLj2EEiiiiS1_IjLj3EES5_S5_S5_
		.amdhsa_group_segment_fixed_size 0
		.amdhsa_private_segment_fixed_size 0
		.amdhsa_kernarg_size 336
		.amdhsa_user_sgpr_count 6
		.amdhsa_user_sgpr_private_segment_buffer 1
		.amdhsa_user_sgpr_dispatch_ptr 0
		.amdhsa_user_sgpr_queue_ptr 0
		.amdhsa_user_sgpr_kernarg_segment_ptr 1
		.amdhsa_user_sgpr_dispatch_id 0
		.amdhsa_user_sgpr_flat_scratch_init 0
		.amdhsa_user_sgpr_kernarg_preload_length 0
		.amdhsa_user_sgpr_kernarg_preload_offset 0
		.amdhsa_user_sgpr_private_segment_size 0
		.amdhsa_uses_dynamic_stack 0
		.amdhsa_system_sgpr_private_segment_wavefront_offset 0
		.amdhsa_system_sgpr_workgroup_id_x 1
		.amdhsa_system_sgpr_workgroup_id_y 1
		.amdhsa_system_sgpr_workgroup_id_z 1
		.amdhsa_system_sgpr_workgroup_info 0
		.amdhsa_system_vgpr_workitem_id 0
		.amdhsa_next_free_vgpr 22
		.amdhsa_next_free_sgpr 32
		.amdhsa_accum_offset 24
		.amdhsa_reserve_vcc 1
		.amdhsa_reserve_flat_scratch 0
		.amdhsa_float_round_mode_32 0
		.amdhsa_float_round_mode_16_64 0
		.amdhsa_float_denorm_mode_32 3
		.amdhsa_float_denorm_mode_16_64 3
		.amdhsa_dx10_clamp 1
		.amdhsa_ieee_mode 1
		.amdhsa_fp16_overflow 0
		.amdhsa_tg_split 0
		.amdhsa_exception_fp_ieee_invalid_op 0
		.amdhsa_exception_fp_denorm_src 0
		.amdhsa_exception_fp_ieee_div_zero 0
		.amdhsa_exception_fp_ieee_overflow 0
		.amdhsa_exception_fp_ieee_underflow 0
		.amdhsa_exception_fp_ieee_inexact 0
		.amdhsa_exception_int_div_zero 0
	.end_amdhsa_kernel
	.section	.text._ZL33flash_attn_stream_k_fixup_generalILi80ELi16ELi2EEvPfPK15HIP_vector_typeIfLj2EEiiiiS1_IjLj3EES5_S5_S5_,"axG",@progbits,_ZL33flash_attn_stream_k_fixup_generalILi80ELi16ELi2EEvPfPK15HIP_vector_typeIfLj2EEiiiiS1_IjLj3EES5_S5_S5_,comdat
.Lfunc_end12:
	.size	_ZL33flash_attn_stream_k_fixup_generalILi80ELi16ELi2EEvPfPK15HIP_vector_typeIfLj2EEiiiiS1_IjLj3EES5_S5_S5_, .Lfunc_end12-_ZL33flash_attn_stream_k_fixup_generalILi80ELi16ELi2EEvPfPK15HIP_vector_typeIfLj2EEiiiiS1_IjLj3EES5_S5_S5_
                                        ; -- End function
	.section	.AMDGPU.csdata,"",@progbits
; Kernel info:
; codeLenInByte = 2828
; NumSgprs: 36
; NumVgprs: 22
; NumAgprs: 0
; TotalNumVgprs: 22
; ScratchSize: 0
; MemoryBound: 0
; FloatMode: 240
; IeeeMode: 1
; LDSByteSize: 0 bytes/workgroup (compile time only)
; SGPRBlocks: 4
; VGPRBlocks: 2
; NumSGPRsForWavesPerEU: 36
; NumVGPRsForWavesPerEU: 22
; AccumOffset: 24
; Occupancy: 8
; WaveLimiterHint : 0
; COMPUTE_PGM_RSRC2:SCRATCH_EN: 0
; COMPUTE_PGM_RSRC2:USER_SGPR: 6
; COMPUTE_PGM_RSRC2:TRAP_HANDLER: 0
; COMPUTE_PGM_RSRC2:TGID_X_EN: 1
; COMPUTE_PGM_RSRC2:TGID_Y_EN: 1
; COMPUTE_PGM_RSRC2:TGID_Z_EN: 1
; COMPUTE_PGM_RSRC2:TIDIG_COMP_CNT: 0
; COMPUTE_PGM_RSRC3_GFX90A:ACCUM_OFFSET: 5
; COMPUTE_PGM_RSRC3_GFX90A:TG_SPLIT: 0
	.section	.text._ZL26flash_attn_combine_resultsILi80EEvPKfPK15HIP_vector_typeIfLj2EEPfi,"axG",@progbits,_ZL26flash_attn_combine_resultsILi80EEvPKfPK15HIP_vector_typeIfLj2EEPfi,comdat
	.globl	_ZL26flash_attn_combine_resultsILi80EEvPKfPK15HIP_vector_typeIfLj2EEPfi ; -- Begin function _ZL26flash_attn_combine_resultsILi80EEvPKfPK15HIP_vector_typeIfLj2EEPfi
	.p2align	8
	.type	_ZL26flash_attn_combine_resultsILi80EEvPKfPK15HIP_vector_typeIfLj2EEPfi,@function
_ZL26flash_attn_combine_resultsILi80EEvPKfPK15HIP_vector_typeIfLj2EEPfi: ; @_ZL26flash_attn_combine_resultsILi80EEvPKfPK15HIP_vector_typeIfLj2EEPfi
; %bb.0:
	s_load_dwordx2 s[0:1], s[4:5], 0x20
	s_load_dword s21, s[4:5], 0x18
	s_load_dwordx4 s[16:19], s[4:5], 0x0
	s_load_dwordx2 s[14:15], s[4:5], 0x10
	s_waitcnt lgkmcnt(0)
	s_mul_i32 s0, s0, s8
	s_add_i32 s0, s0, s6
	s_mul_i32 s20, s0, s1
	s_add_i32 s20, s20, s7
	s_lshl_b32 s10, s21, 1
	s_mul_i32 s0, s20, s21
	v_cmp_gt_i32_e32 vcc, s10, v0
	s_and_saveexec_b64 s[2:3], vcc
	s_cbranch_execz .LBB13_13
; %bb.1:
	v_xad_u32 v1, v0, -1, s10
	s_movk_i32 s4, 0x4f
	s_ashr_i32 s1, s0, 31
	v_cmp_lt_u32_e32 vcc, s4, v1
	s_mov_b64 s[6:7], -1
	v_mov_b32_e32 v2, v0
	s_and_saveexec_b64 s[4:5], vcc
	s_cbranch_execz .LBB13_10
; %bb.2:
	s_mov_b32 s6, 0xcccccccd
	v_mul_hi_u32 v1, v1, s6
	v_lshrrev_b32_e32 v6, 6, v1
	s_lshl_b64 s[6:7], s[0:1], 3
	v_add_u32_e32 v2, -1, v6
	s_add_u32 s11, s18, s6
	v_add_u32_e32 v1, 0x50, v0
	v_lshrrev_b32_e32 v3, 1, v2
	s_addc_u32 s12, s19, s7
	v_add_u32_e32 v7, 1, v3
	v_cmp_lt_u32_e32 vcc, 13, v2
	v_mov_b32_e32 v4, 0
	v_pk_mov_b32 v[2:3], v[0:1], v[0:1] op_sel:[0,1]
	s_and_saveexec_b64 s[6:7], vcc
	s_cbranch_execz .LBB13_6
; %bb.3:
	v_and_b32_e32 v8, -8, v7
	s_mov_b32 s13, 0
	v_lshl_add_u32 v9, v0, 2, 0
	s_mov_b64 s[8:9], 0
	v_mov_b32_e32 v10, s12
	v_mov_b32_e32 v5, 0
	v_pk_mov_b32 v[2:3], v[0:1], v[0:1] op_sel:[0,1]
.LBB13_4:                               ; =>This Inner Loop Header: Depth=1
	v_mov_b32_e32 v4, v2
	v_lshlrev_b64 v[26:27], 2, v[4:5]
	v_add_u32_e32 v12, 0xa0, v3
	v_mov_b32_e32 v13, v5
	v_add_co_u32_e32 v26, vcc, s11, v26
	v_lshlrev_b64 v[12:13], 2, v[12:13]
	v_addc_co_u32_e32 v27, vcc, v10, v27, vcc
	v_add_u32_e32 v14, 0x140, v3
	v_mov_b32_e32 v15, v5
	v_add_co_u32_e32 v12, vcc, s11, v12
	v_lshlrev_b64 v[14:15], 2, v[14:15]
	v_addc_co_u32_e32 v13, vcc, v10, v13, vcc
	;; [unrolled: 5-line block ×7, first 2 shown]
	v_mov_b32_e32 v4, v3
	v_add_co_u32_e32 v24, vcc, s11, v24
	v_lshlrev_b64 v[28:29], 2, v[4:5]
	v_addc_co_u32_e32 v25, vcc, v10, v25, vcc
	v_add_u32_e32 v4, 0xa0, v2
	v_add_co_u32_e32 v28, vcc, s11, v28
	v_addc_co_u32_e32 v29, vcc, v10, v29, vcc
	global_load_dword v1, v[26:27], off
	v_lshlrev_b64 v[26:27], 2, v[4:5]
	v_add_u32_e32 v4, 0x140, v2
	v_add_co_u32_e32 v26, vcc, s11, v26
	v_addc_co_u32_e32 v27, vcc, v10, v27, vcc
	v_lshlrev_b64 v[30:31], 2, v[4:5]
	v_add_u32_e32 v4, 0x1e0, v2
	global_load_dword v11, v[28:29], off
	global_load_dword v32, v[26:27], off
	;; [unrolled: 1-line block ×3, first 2 shown]
	v_add_co_u32_e32 v12, vcc, s11, v30
	v_addc_co_u32_e32 v13, vcc, v10, v31, vcc
	v_lshlrev_b64 v[26:27], 2, v[4:5]
	v_add_u32_e32 v4, 0x280, v2
	v_add_co_u32_e32 v26, vcc, s11, v26
	v_addc_co_u32_e32 v27, vcc, v10, v27, vcc
	v_lshlrev_b64 v[28:29], 2, v[4:5]
	v_add_u32_e32 v4, 0x320, v2
	global_load_dword v30, v[12:13], off
	global_load_dword v31, v[14:15], off
	;; [unrolled: 1-line block ×4, first 2 shown]
	v_add_co_u32_e32 v12, vcc, s11, v28
	v_addc_co_u32_e32 v13, vcc, v10, v29, vcc
	v_lshlrev_b64 v[14:15], 2, v[4:5]
	v_add_u32_e32 v4, 0x3c0, v2
	v_add_co_u32_e32 v14, vcc, s11, v14
	v_addc_co_u32_e32 v15, vcc, v10, v15, vcc
	v_lshlrev_b64 v[16:17], 2, v[4:5]
	v_add_u32_e32 v4, 0x460, v2
	global_load_dword v26, v[12:13], off
	global_load_dword v27, v[18:19], off
	;; [unrolled: 1-line block ×4, first 2 shown]
	v_add_co_u32_e32 v12, vcc, s11, v16
	v_addc_co_u32_e32 v13, vcc, v10, v17, vcc
	v_lshlrev_b64 v[14:15], 2, v[4:5]
	v_add_co_u32_e32 v14, vcc, s11, v14
	v_addc_co_u32_e32 v15, vcc, v10, v15, vcc
	global_load_dword v16, v[12:13], off
	global_load_dword v17, v[22:23], off
	;; [unrolled: 1-line block ×4, first 2 shown]
	v_add_u32_e32 v8, -8, v8
	s_add_i32 s13, s13, 16
	v_cmp_eq_u32_e32 vcc, 0, v8
	v_add_u32_e32 v12, 0x400, v9
	v_add_u32_e32 v13, 0x600, v9
	;; [unrolled: 1-line block ×7, first 2 shown]
	v_mov_b32_e32 v4, s13
	s_or_b64 s[8:9], vcc, s[8:9]
	v_add_u32_e32 v2, 0x500, v2
	s_waitcnt vmcnt(14)
	ds_write2_b32 v9, v1, v11 offset1:80
	s_waitcnt vmcnt(12)
	ds_write2_b32 v9, v32, v33 offset0:160 offset1:240
	v_add_u32_e32 v9, 0x1400, v9
	s_waitcnt vmcnt(10)
	ds_write2_b32 v12, v30, v31 offset0:64 offset1:144
	s_waitcnt vmcnt(8)
	ds_write2_b32 v13, v34, v35 offset0:96 offset1:176
	;; [unrolled: 2-line block ×6, first 2 shown]
	s_andn2_b64 exec, exec, s[8:9]
	s_cbranch_execnz .LBB13_4
; %bb.5:
	s_or_b64 exec, exec, s[8:9]
.LBB13_6:
	s_or_b64 exec, exec, s[6:7]
	v_and_b32_e32 v1, 7, v7
	v_cmp_ne_u32_e32 vcc, 0, v1
	s_and_saveexec_b64 s[6:7], vcc
	s_cbranch_execz .LBB13_9
; %bb.7:
	s_movk_i32 s8, 0x140
	v_mul_lo_u32 v4, v4, s8
	v_lshlrev_b32_e32 v5, 2, v0
	v_add3_u32 v7, v4, v5, 0
	s_mov_b64 s[8:9], 0
	v_mov_b32_e32 v8, s12
	v_mov_b32_e32 v5, 0
.LBB13_8:                               ; =>This Inner Loop Header: Depth=1
	v_mov_b32_e32 v4, v2
	v_lshlrev_b64 v[10:11], 2, v[4:5]
	v_mov_b32_e32 v4, v3
	v_add_co_u32_e32 v10, vcc, s11, v10
	v_addc_co_u32_e32 v11, vcc, v8, v11, vcc
	v_lshlrev_b64 v[12:13], 2, v[4:5]
	v_add_co_u32_e32 v12, vcc, s11, v12
	v_addc_co_u32_e32 v13, vcc, v8, v13, vcc
	global_load_dword v4, v[10:11], off
	global_load_dword v9, v[12:13], off
	v_add_u32_e32 v1, -1, v1
	v_cmp_eq_u32_e32 vcc, 0, v1
	v_add_u32_e32 v2, 0xa0, v2
	v_add_u32_e32 v3, 0xa0, v3
	s_or_b64 s[8:9], vcc, s[8:9]
	s_waitcnt vmcnt(0)
	ds_write2_b32 v7, v4, v9 offset1:80
	v_add_u32_e32 v7, 0x280, v7
	s_andn2_b64 exec, exec, s[8:9]
	s_cbranch_execnz .LBB13_8
.LBB13_9:
	s_or_b64 exec, exec, s[6:7]
	v_add_u32_e32 v1, 1, v6
	v_and_b32_e32 v4, 0x7fffffe, v1
	s_movk_i32 s6, 0x50
	v_mad_u64_u32 v[2:3], s[6:7], v4, s6, v[0:1]
	v_cmp_ne_u32_e32 vcc, v1, v4
	s_orn2_b64 s[6:7], vcc, exec
.LBB13_10:
	s_or_b64 exec, exec, s[4:5]
	s_and_b64 exec, exec, s[6:7]
	s_cbranch_execz .LBB13_13
; %bb.11:
	s_lshl_b64 s[4:5], s[0:1], 3
	v_mov_b32_e32 v3, 0
	s_add_u32 s1, s18, s4
	v_lshlrev_b64 v[4:5], 2, v[2:3]
	s_addc_u32 s4, s19, s5
	v_mov_b32_e32 v1, s4
	v_add_co_u32_e32 v4, vcc, s1, v4
	v_addc_co_u32_e32 v5, vcc, v1, v5, vcc
	v_lshl_add_u32 v1, v2, 2, 0
	s_mov_b64 s[4:5], 0
.LBB13_12:                              ; =>This Inner Loop Header: Depth=1
	global_load_dword v3, v[4:5], off
	v_add_co_u32_e32 v4, vcc, 0x140, v4
	v_add_u32_e32 v2, 0x50, v2
	v_addc_co_u32_e32 v5, vcc, 0, v5, vcc
	v_cmp_le_i32_e32 vcc, s10, v2
	s_or_b64 s[4:5], vcc, s[4:5]
	s_waitcnt vmcnt(0)
	ds_write_b32 v1, v3
	v_add_u32_e32 v1, 0x140, v1
	s_andn2_b64 exec, exec, s[4:5]
	s_cbranch_execnz .LBB13_12
.LBB13_13:
	s_or_b64 exec, exec, s[2:3]
	v_mov_b32_e32 v1, 0
	s_waitcnt lgkmcnt(0)
	s_barrier
	ds_read_b32 v1, v1
	s_cmp_lt_i32 s21, 2
	s_cbranch_scc1 .LBB13_21
; %bb.14:
	s_add_i32 s1, s21, -1
	s_add_i32 s2, s21, -2
	s_cmp_lt_u32 s2, 7
	s_cbranch_scc1 .LBB13_18
; %bb.15:
	s_mov_b32 s4, 0
	s_add_i32 s2, 0, 8
	s_and_b32 s3, s1, -8
.LBB13_16:                              ; =>This Inner Loop Header: Depth=1
	v_mov_b32_e32 v8, s2
	ds_read2_b32 v[2:3], v8 offset1:2
	ds_read2_b32 v[4:5], v8 offset0:4 offset1:6
	ds_read2_b32 v[6:7], v8 offset0:8 offset1:10
	;; [unrolled: 1-line block ×3, first 2 shown]
	s_mov_b32 s5, s4
	s_waitcnt lgkmcnt(3)
	v_max3_f32 v1, v1, v2, v3
	s_waitcnt lgkmcnt(2)
	v_max3_f32 v1, v1, v4, v5
	s_add_i32 s2, s2, 64
	s_add_i32 s4, s4, 8
	s_waitcnt lgkmcnt(1)
	v_max3_f32 v1, v1, v6, v7
	s_cmp_eq_u32 s3, s4
	s_waitcnt lgkmcnt(0)
	v_max3_f32 v1, v1, v8, v9
	s_cbranch_scc0 .LBB13_16
; %bb.17:
	s_add_i32 s2, s5, 9
	s_and_b32 s1, s1, 7
	s_cmp_eq_u32 s1, 0
	s_cbranch_scc0 .LBB13_19
	s_branch .LBB13_21
.LBB13_18:
	s_mov_b32 s2, 1
	s_and_b32 s1, s1, 7
	s_cmp_eq_u32 s1, 0
	s_cbranch_scc1 .LBB13_21
.LBB13_19:
	s_lshl_b32 s2, s2, 3
	s_add_i32 s2, s2, 0
.LBB13_20:                              ; =>This Inner Loop Header: Depth=1
	v_mov_b32_e32 v2, s2
	ds_read_b32 v2, v2
	s_waitcnt lgkmcnt(1)
	v_max_f32_e32 v1, v1, v1
	s_add_i32 s2, s2, 8
	s_add_i32 s1, s1, -1
	s_cmp_lg_u32 s1, 0
	s_waitcnt lgkmcnt(0)
	v_max_f32_e32 v2, v2, v2
	v_max_f32_e32 v1, v1, v2
	s_cbranch_scc1 .LBB13_20
.LBB13_21:
	s_cmp_lt_i32 s21, 1
	s_cbranch_scc1 .LBB13_26
; %bb.22:
	s_mul_i32 s18, s0, 0x50
	s_ashr_i32 s19, s18, 31
	s_cmp_lt_u32 s21, 8
	v_mov_b32_e32 v8, 0
	s_cbranch_scc1 .LBB13_27
; %bb.23:
	s_lshl_b64 s[0:1], s[18:19], 2
	s_add_u32 s23, s16, s0
	s_addc_u32 s0, s17, s1
	v_lshlrev_b32_e32 v2, 2, v0
	v_mov_b32_e32 v10, s0
	v_add_co_u32_e32 v2, vcc, s23, v2
	v_addc_co_u32_e32 v3, vcc, 0, v10, vcc
	v_add_co_u32_e32 v2, vcc, 0x140, v2
	s_and_b32 s22, s21, 0x7ffffff8
	v_addc_co_u32_e32 v3, vcc, 0, v3, vcc
	v_add_u32_e32 v4, 0x140, v0
	s_mov_b32 s24, 0
	v_mov_b32_e32 v7, 0
	s_mov_b32 s25, 0x3fb8aa3b
	s_mov_b32 s26, 0xc2ce8ed0
	;; [unrolled: 1-line block ×3, first 2 shown]
	v_mov_b32_e32 v11, 0x7f800000
	s_mov_b32 s28, 0
	v_mov_b32_e32 v9, 0
	v_mov_b32_e32 v8, 0
.LBB13_24:                              ; =>This Inner Loop Header: Depth=1
	v_add_u32_e32 v6, 0xfffffec0, v4
	global_load_dword v36, v[2:3], off
	global_load_dword v37, v[2:3], off offset:320
	v_add_co_u32_e32 v2, vcc, 0xa00, v2
	v_lshlrev_b64 v[28:29], 2, v[6:7]
	v_addc_co_u32_e32 v3, vcc, 0, v3, vcc
	v_mov_b32_e32 v5, v7
	v_add_co_u32_e32 v28, vcc, s23, v28
	v_lshlrev_b64 v[30:31], 2, v[4:5]
	v_addc_co_u32_e32 v29, vcc, v10, v29, vcc
	v_add_u32_e32 v6, 0xffffffb0, v4
	v_add_co_u32_e32 v30, vcc, s23, v30
	v_mov_b32_e32 v24, s24
	v_lshlrev_b64 v[32:33], 2, v[6:7]
	v_addc_co_u32_e32 v31, vcc, v10, v31, vcc
	ds_read2_b64 v[12:15], v24 offset1:1
	ds_read2_b64 v[16:19], v24 offset0:2 offset1:3
	ds_read2_b64 v[20:23], v24 offset0:4 offset1:5
	;; [unrolled: 1-line block ×3, first 2 shown]
	v_add_u32_e32 v6, 0x50, v4
	global_load_dword v5, v[28:29], off
	v_add_co_u32_e32 v28, vcc, s23, v32
	v_addc_co_u32_e32 v29, vcc, v10, v33, vcc
	v_lshlrev_b64 v[32:33], 2, v[6:7]
	v_add_u32_e32 v6, 0xa0, v4
	v_add_co_u32_e32 v32, vcc, s23, v32
	v_addc_co_u32_e32 v33, vcc, v10, v33, vcc
	v_lshlrev_b64 v[34:35], 2, v[6:7]
	v_add_u32_e32 v6, 0xf0, v4
	global_load_dword v38, v[28:29], off
	global_load_dword v39, v[30:31], off
	global_load_dword v40, v[32:33], off
	v_add_co_u32_e32 v28, vcc, s23, v34
	v_addc_co_u32_e32 v29, vcc, v10, v35, vcc
	v_lshlrev_b64 v[30:31], 2, v[6:7]
	v_add_co_u32_e32 v30, vcc, s23, v30
	s_waitcnt lgkmcnt(3)
	v_sub_f32_e32 v6, v12, v1
	v_sub_f32_e32 v12, v14, v1
	s_waitcnt lgkmcnt(2)
	v_sub_f32_e32 v14, v16, v1
	v_sub_f32_e32 v16, v18, v1
	;; [unrolled: 3-line block ×4, first 2 shown]
	v_addc_co_u32_e32 v31, vcc, v10, v31, vcc
	global_load_dword v26, v[28:29], off
	v_mul_f32_e32 v32, 0x3fb8aa3b, v14
	global_load_dword v30, v[30:31], off
	v_mul_f32_e32 v28, 0x3fb8aa3b, v6
	v_fma_f32 v31, v6, s25, -v28
	v_rndne_f32_e32 v43, v28
	v_mul_f32_e32 v29, 0x3fb8aa3b, v12
	v_mul_f32_e32 v33, 0x3fb8aa3b, v16
	v_mul_f32_e32 v34, 0x3fb8aa3b, v18
	v_fmac_f32_e32 v31, 0x32a5705f, v6
	v_sub_f32_e32 v28, v28, v43
	v_fma_f32 v44, v12, s25, -v29
	v_rndne_f32_e32 v45, v29
	v_fma_f32 v46, v14, s25, -v32
	v_rndne_f32_e32 v47, v32
	;; [unrolled: 2-line block ×3, first 2 shown]
	v_fma_f32 v50, v18, s25, -v34
	v_add_f32_e32 v28, v28, v31
	v_rndne_f32_e32 v31, v34
	v_mul_f32_e32 v35, 0x3fb8aa3b, v20
	v_mul_f32_e32 v41, 0x3fb8aa3b, v22
	v_fmac_f32_e32 v44, 0x32a5705f, v12
	v_sub_f32_e32 v29, v29, v45
	v_fmac_f32_e32 v46, 0x32a5705f, v14
	v_sub_f32_e32 v32, v32, v47
	;; [unrolled: 2-line block ×4, first 2 shown]
	v_add_f32_e32 v29, v29, v44
	v_fma_f32 v44, v20, s25, -v35
	v_add_f32_e32 v32, v32, v46
	v_rndne_f32_e32 v46, v35
	v_add_f32_e32 v33, v33, v48
	v_fma_f32 v48, v22, s25, -v41
	v_add_f32_e32 v34, v34, v50
	v_rndne_f32_e32 v50, v41
	v_mul_f32_e32 v42, 0x3fb8aa3b, v24
	v_fmac_f32_e32 v44, 0x32a5705f, v20
	v_sub_f32_e32 v35, v35, v46
	v_fmac_f32_e32 v48, 0x32a5705f, v22
	v_sub_f32_e32 v41, v41, v50
	v_add_f32_e32 v35, v35, v44
	v_fma_f32 v44, v24, s25, -v42
	v_add_f32_e32 v41, v41, v48
	v_rndne_f32_e32 v48, v42
	v_cvt_i32_f32_e32 v43, v43
	v_fmac_f32_e32 v44, 0x32a5705f, v24
	v_sub_f32_e32 v42, v42, v48
	v_exp_f32_e32 v28, v28
	v_cvt_i32_f32_e32 v45, v45
	v_add_f32_e32 v42, v42, v44
	v_exp_f32_e32 v29, v29
	v_cvt_i32_f32_e32 v47, v47
	v_cvt_i32_f32_e32 v49, v49
	v_cvt_i32_f32_e32 v31, v31
	v_cvt_i32_f32_e32 v46, v46
	v_cvt_i32_f32_e32 v50, v50
	v_cvt_i32_f32_e32 v48, v48
	v_exp_f32_e32 v32, v32
	v_exp_f32_e32 v33, v33
	;; [unrolled: 1-line block ×6, first 2 shown]
	v_ldexp_f32 v28, v28, v43
	v_cmp_ngt_f32_e64 s[12:13], s26, v6
	v_ldexp_f32 v29, v29, v45
	v_cmp_ngt_f32_e32 vcc, s26, v12
	v_cndmask_b32_e64 v28, 0, v28, s[12:13]
	v_cmp_nlt_f32_e64 s[12:13], s27, v6
	v_ldexp_f32 v32, v32, v47
	v_cmp_ngt_f32_e64 s[0:1], s26, v14
	v_ldexp_f32 v33, v33, v49
	v_cmp_ngt_f32_e64 s[2:3], s26, v16
	;; [unrolled: 2-line block ×6, first 2 shown]
	v_cndmask_b32_e32 v29, 0, v29, vcc
	v_cmp_nlt_f32_e32 vcc, s27, v12
	v_cndmask_b32_e64 v6, v11, v28, s[12:13]
	v_cndmask_b32_e64 v12, 0, v32, s[0:1]
	v_cmp_nlt_f32_e64 s[0:1], s27, v14
	v_cndmask_b32_e64 v14, 0, v33, s[2:3]
	v_cmp_nlt_f32_e64 s[2:3], s27, v16
	;; [unrolled: 2-line block ×6, first 2 shown]
	v_cndmask_b32_e32 v24, v11, v29, vcc
	v_fmac_f32_e32 v9, v6, v13
	s_waitcnt vmcnt(5)
	v_fmac_f32_e32 v8, v5, v6
	v_cndmask_b32_e64 v12, v11, v12, s[0:1]
	v_fmac_f32_e32 v9, v24, v15
	v_fmac_f32_e32 v8, v36, v24
	v_cndmask_b32_e64 v14, v11, v14, s[2:3]
	v_fmac_f32_e32 v9, v12, v17
	;; [unrolled: 3-line block ×3, first 2 shown]
	s_waitcnt vmcnt(4)
	v_fmac_f32_e32 v8, v38, v14
	v_cndmask_b32_e64 v18, v11, v18, s[6:7]
	v_fmac_f32_e32 v9, v16, v21
	s_waitcnt vmcnt(3)
	v_fmac_f32_e32 v8, v39, v16
	v_cndmask_b32_e64 v20, v11, v20, s[8:9]
	v_fmac_f32_e32 v9, v18, v23
	s_waitcnt vmcnt(2)
	v_fmac_f32_e32 v8, v40, v18
	s_add_i32 s28, s28, 8
	s_add_i32 s24, s24, 64
	v_cndmask_b32_e64 v22, v11, v22, s[10:11]
	v_fmac_f32_e32 v9, v20, v25
	s_waitcnt vmcnt(1)
	v_fmac_f32_e32 v8, v26, v20
	s_cmp_eq_u32 s22, s28
	v_add_u32_e32 v4, 0x280, v4
	v_fmac_f32_e32 v9, v22, v27
	s_waitcnt vmcnt(0)
	v_fmac_f32_e32 v8, v30, v22
	s_cbranch_scc0 .LBB13_24
; %bb.25:
	s_and_b32 s0, s21, 7
	s_cmp_eq_u32 s0, 0
	s_cbranch_scc0 .LBB13_28
	s_branch .LBB13_30
.LBB13_26:
	s_waitcnt lgkmcnt(0)
	v_mov_b32_e32 v1, 0x7fc00000
	s_branch .LBB13_31
.LBB13_27:
	s_mov_b32 s22, 0
	v_mov_b32_e32 v9, 0
	s_and_b32 s0, s21, 7
	s_cmp_eq_u32 s0, 0
	s_cbranch_scc1 .LBB13_30
.LBB13_28:
	s_lshl_b64 s[2:3], s[18:19], 2
	s_mul_i32 s1, s22, 0x50
	v_add_u32_e32 v2, s1, v0
	v_mov_b32_e32 v3, 0
	s_add_u32 s1, s16, s2
	v_lshlrev_b64 v[2:3], 2, v[2:3]
	s_addc_u32 s2, s17, s3
	v_mov_b32_e32 v4, s2
	v_add_co_u32_e32 v2, vcc, s1, v2
	s_lshl_b32 s1, s22, 3
	v_addc_co_u32_e32 v3, vcc, v4, v3, vcc
	s_add_i32 s1, s1, 0
	s_mov_b32 s2, 0x3fb8aa3b
	s_mov_b32 s3, 0xc2ce8ed0
	s_mov_b32 s4, 0x42b17218
	v_mov_b32_e32 v4, 0x7f800000
.LBB13_29:                              ; =>This Inner Loop Header: Depth=1
	global_load_dword v5, v[2:3], off
	v_mov_b32_e32 v6, s1
	ds_read_b64 v[6:7], v6
	v_add_co_u32_e32 v2, vcc, 0x140, v2
	v_addc_co_u32_e32 v3, vcc, 0, v3, vcc
	s_waitcnt lgkmcnt(0)
	v_sub_f32_e32 v6, v6, v1
	v_mul_f32_e32 v10, 0x3fb8aa3b, v6
	v_fma_f32 v11, v6, s2, -v10
	v_rndne_f32_e32 v12, v10
	v_fmac_f32_e32 v11, 0x32a5705f, v6
	v_sub_f32_e32 v10, v10, v12
	v_add_f32_e32 v10, v10, v11
	v_cvt_i32_f32_e32 v12, v12
	v_exp_f32_e32 v10, v10
	v_cmp_ngt_f32_e32 vcc, s3, v6
	s_add_i32 s1, s1, 8
	s_add_i32 s0, s0, -1
	v_ldexp_f32 v10, v10, v12
	v_cndmask_b32_e32 v10, 0, v10, vcc
	v_cmp_nlt_f32_e32 vcc, s4, v6
	v_cndmask_b32_e32 v6, v4, v10, vcc
	s_cmp_lg_u32 s0, 0
	v_fmac_f32_e32 v9, v6, v7
	s_waitcnt vmcnt(0)
	v_fmac_f32_e32 v8, v5, v6
	s_cbranch_scc1 .LBB13_29
.LBB13_30:
	s_waitcnt lgkmcnt(0)
	v_div_scale_f32 v1, s[0:1], v9, v9, v8
	v_rcp_f32_e32 v2, v1
	v_div_scale_f32 v3, vcc, v8, v9, v8
	v_fma_f32 v4, -v1, v2, 1.0
	v_fmac_f32_e32 v2, v4, v2
	v_mul_f32_e32 v4, v3, v2
	v_fma_f32 v5, -v1, v4, v3
	v_fmac_f32_e32 v4, v5, v2
	v_fma_f32 v1, -v1, v4, v3
	v_div_fmas_f32 v1, v1, v2, v4
	v_div_fixup_f32 v1, v1, v9, v8
.LBB13_31:
	s_mul_i32 s0, s20, 0x50
	s_ashr_i32 s1, s0, 31
	s_lshl_b64 s[0:1], s[0:1], 2
	s_add_u32 s0, s14, s0
	s_addc_u32 s1, s15, s1
	v_lshlrev_b32_e32 v0, 2, v0
	global_store_dword v0, v1, s[0:1]
	s_endpgm
	.section	.rodata,"a",@progbits
	.p2align	6, 0x0
	.amdhsa_kernel _ZL26flash_attn_combine_resultsILi80EEvPKfPK15HIP_vector_typeIfLj2EEPfi
		.amdhsa_group_segment_fixed_size 0
		.amdhsa_private_segment_fixed_size 0
		.amdhsa_kernarg_size 288
		.amdhsa_user_sgpr_count 6
		.amdhsa_user_sgpr_private_segment_buffer 1
		.amdhsa_user_sgpr_dispatch_ptr 0
		.amdhsa_user_sgpr_queue_ptr 0
		.amdhsa_user_sgpr_kernarg_segment_ptr 1
		.amdhsa_user_sgpr_dispatch_id 0
		.amdhsa_user_sgpr_flat_scratch_init 0
		.amdhsa_user_sgpr_kernarg_preload_length 0
		.amdhsa_user_sgpr_kernarg_preload_offset 0
		.amdhsa_user_sgpr_private_segment_size 0
		.amdhsa_uses_dynamic_stack 0
		.amdhsa_system_sgpr_private_segment_wavefront_offset 0
		.amdhsa_system_sgpr_workgroup_id_x 1
		.amdhsa_system_sgpr_workgroup_id_y 1
		.amdhsa_system_sgpr_workgroup_id_z 1
		.amdhsa_system_sgpr_workgroup_info 0
		.amdhsa_system_vgpr_workitem_id 0
		.amdhsa_next_free_vgpr 51
		.amdhsa_next_free_sgpr 29
		.amdhsa_accum_offset 52
		.amdhsa_reserve_vcc 1
		.amdhsa_reserve_flat_scratch 0
		.amdhsa_float_round_mode_32 0
		.amdhsa_float_round_mode_16_64 0
		.amdhsa_float_denorm_mode_32 3
		.amdhsa_float_denorm_mode_16_64 3
		.amdhsa_dx10_clamp 1
		.amdhsa_ieee_mode 1
		.amdhsa_fp16_overflow 0
		.amdhsa_tg_split 0
		.amdhsa_exception_fp_ieee_invalid_op 0
		.amdhsa_exception_fp_denorm_src 0
		.amdhsa_exception_fp_ieee_div_zero 0
		.amdhsa_exception_fp_ieee_overflow 0
		.amdhsa_exception_fp_ieee_underflow 0
		.amdhsa_exception_fp_ieee_inexact 0
		.amdhsa_exception_int_div_zero 0
	.end_amdhsa_kernel
	.section	.text._ZL26flash_attn_combine_resultsILi80EEvPKfPK15HIP_vector_typeIfLj2EEPfi,"axG",@progbits,_ZL26flash_attn_combine_resultsILi80EEvPKfPK15HIP_vector_typeIfLj2EEPfi,comdat
.Lfunc_end13:
	.size	_ZL26flash_attn_combine_resultsILi80EEvPKfPK15HIP_vector_typeIfLj2EEPfi, .Lfunc_end13-_ZL26flash_attn_combine_resultsILi80EEvPKfPK15HIP_vector_typeIfLj2EEPfi
                                        ; -- End function
	.section	.AMDGPU.csdata,"",@progbits
; Kernel info:
; codeLenInByte = 3136
; NumSgprs: 33
; NumVgprs: 51
; NumAgprs: 0
; TotalNumVgprs: 51
; ScratchSize: 0
; MemoryBound: 0
; FloatMode: 240
; IeeeMode: 1
; LDSByteSize: 0 bytes/workgroup (compile time only)
; SGPRBlocks: 4
; VGPRBlocks: 6
; NumSGPRsForWavesPerEU: 33
; NumVGPRsForWavesPerEU: 51
; AccumOffset: 52
; Occupancy: 8
; WaveLimiterHint : 1
; COMPUTE_PGM_RSRC2:SCRATCH_EN: 0
; COMPUTE_PGM_RSRC2:USER_SGPR: 6
; COMPUTE_PGM_RSRC2:TRAP_HANDLER: 0
; COMPUTE_PGM_RSRC2:TGID_X_EN: 1
; COMPUTE_PGM_RSRC2:TGID_Y_EN: 1
; COMPUTE_PGM_RSRC2:TGID_Z_EN: 1
; COMPUTE_PGM_RSRC2:TIDIG_COMP_CNT: 0
; COMPUTE_PGM_RSRC3_GFX90A:ACCUM_OFFSET: 12
; COMPUTE_PGM_RSRC3_GFX90A:TG_SPLIT: 0
	.section	.text._ZL18flash_attn_ext_f16ILi96ELi96ELi16ELi2ELb0ELb0EEvPKcS1_S1_S1_S1_PKiPfP15HIP_vector_typeIfLj2EEffffjfiS5_IjLj3EEiiiiiiiiiiiliiliiiiil,"axG",@progbits,_ZL18flash_attn_ext_f16ILi96ELi96ELi16ELi2ELb0ELb0EEvPKcS1_S1_S1_S1_PKiPfP15HIP_vector_typeIfLj2EEffffjfiS5_IjLj3EEiiiiiiiiiiiliiliiiiil,comdat
	.globl	_ZL18flash_attn_ext_f16ILi96ELi96ELi16ELi2ELb0ELb0EEvPKcS1_S1_S1_S1_PKiPfP15HIP_vector_typeIfLj2EEffffjfiS5_IjLj3EEiiiiiiiiiiiliiliiiiil ; -- Begin function _ZL18flash_attn_ext_f16ILi96ELi96ELi16ELi2ELb0ELb0EEvPKcS1_S1_S1_S1_PKiPfP15HIP_vector_typeIfLj2EEffffjfiS5_IjLj3EEiiiiiiiiiiiliiliiiiil
	.p2align	8
	.type	_ZL18flash_attn_ext_f16ILi96ELi96ELi16ELi2ELb0ELb0EEvPKcS1_S1_S1_S1_PKiPfP15HIP_vector_typeIfLj2EEffffjfiS5_IjLj3EEiiiiiiiiiiiliiliiiiil,@function
_ZL18flash_attn_ext_f16ILi96ELi96ELi16ELi2ELb0ELb0EEvPKcS1_S1_S1_S1_PKiPfP15HIP_vector_typeIfLj2EEffffjfiS5_IjLj3EEiiiiiiiiiiiliiliiiiil: ; @_ZL18flash_attn_ext_f16ILi96ELi96ELi16ELi2ELb0ELb0EEvPKcS1_S1_S1_S1_PKiPfP15HIP_vector_typeIfLj2EEffffjfiS5_IjLj3EEiiiiiiiiiiiliiliiiiil
; %bb.0:
	s_load_dwordx2 s[2:3], s[4:5], 0x80
	s_load_dwordx4 s[36:39], s[4:5], 0x64
	s_mov_b32 s53, s6
                                        ; implicit-def: $vgpr210 : SGPR spill to VGPR lane
	s_load_dword s47, s[4:5], 0xd0
	s_mov_b32 s0, 0
	s_waitcnt lgkmcnt(0)
	s_abs_i32 s1, s3
	v_cvt_f32_u32_e32 v1, s1
	s_sub_i32 s8, 0, s1
	s_abs_i32 s7, s37
	s_xor_b32 s6, s37, s3
	v_rcp_iflag_f32_e32 v1, v1
	s_ashr_i32 s6, s6, 31
	v_cvt_f32_ubyte0_e32 v3, 0
	v_mul_f32_e32 v1, 0x4f7ffffe, v1
	v_cvt_u32_f32_e32 v1, v1
	v_readfirstlane_b32 s9, v1
	s_mul_i32 s8, s8, s9
	s_mul_hi_u32 s8, s9, s8
	s_add_i32 s9, s9, s8
	s_mul_hi_u32 s8, s7, s9
	s_mul_i32 s9, s8, s1
	s_sub_i32 s7, s7, s9
	s_add_i32 s10, s8, 1
	s_sub_i32 s9, s7, s1
	s_cmp_ge_u32 s7, s1
	s_cselect_b32 s8, s10, s8
	s_cselect_b32 s7, s9, s7
	s_add_i32 s9, s8, 1
	s_cmp_ge_u32 s7, s1
	s_cselect_b32 s1, s9, s8
	s_add_i32 s2, s2, 63
	s_xor_b32 s1, s1, s6
	s_ashr_i32 s7, s2, 31
	s_sub_i32 s33, s1, s6
	s_lshr_b32 s1, s7, 26
	s_add_i32 s2, s2, s1
	s_add_i32 s1, s36, 15
	s_lshr_b32 s6, s1, 4
	s_add_i32 s1, s33, 1
	s_ashr_i32 s88, s2, 6
	s_lshr_b32 s2, s1, 31
	s_add_i32 s1, s1, s2
	s_ashr_i32 s1, s1, 1
	v_writelane_b32 v210, s6, 0
	s_mul_i32 s2, s6, s88
	v_writelane_b32 v210, s2, 1
	s_mul_i32 s1, s2, s1
	;; [unrolled: 2-line block ×3, first 2 shown]
	s_mul_i32 s6, s1, s38
	s_ashr_i32 s7, s6, 31
	v_cvt_f32_u32_e32 v1, s47
	v_writelane_b32 v210, s1, 3
	s_mul_i32 s1, s7, s53
	s_mul_hi_u32 s2, s6, s53
	s_add_i32 s1, s2, s1
	s_mul_i32 s8, s6, s53
	s_cmp_lg_u64 s[0:1], 0
	s_cbranch_scc0 .LBB14_2
; %bb.1:
	v_madmk_f32 v2, v3, 0x4f800000, v1
	v_rcp_f32_e32 v2, v2
	s_sub_u32 s0, 0, s47
	s_subb_u32 s9, 0, 0
	s_mov_b64 s[2:3], 0
	v_mul_f32_e32 v2, 0x5f7ffffc, v2
	v_mul_f32_e32 v4, 0x2f800000, v2
	v_trunc_f32_e32 v4, v4
	v_madmk_f32 v2, v4, 0xcf800000, v2
	v_cvt_u32_f32_e32 v4, v4
	v_cvt_u32_f32_e32 v2, v2
	v_readfirstlane_b32 s10, v4
	v_readfirstlane_b32 s11, v2
	s_mul_hi_u32 s13, s0, s11
	s_mul_i32 s14, s0, s10
	s_mul_i32 s12, s9, s11
	s_add_i32 s13, s13, s14
	s_add_i32 s13, s13, s12
	s_mul_i32 s15, s0, s11
	s_mul_hi_u32 s12, s11, s13
	s_mul_i32 s14, s11, s13
	s_mul_hi_u32 s11, s11, s15
	s_add_u32 s11, s11, s14
	s_addc_u32 s12, 0, s12
	s_mul_hi_u32 s16, s10, s15
	s_mul_i32 s15, s10, s15
	s_add_u32 s11, s11, s15
	s_mul_hi_u32 s14, s10, s13
	s_addc_u32 s11, s12, s16
	s_addc_u32 s12, s14, 0
	s_mul_i32 s13, s10, s13
	s_add_u32 s11, s11, s13
	s_addc_u32 s12, 0, s12
	v_add_co_u32_e32 v2, vcc, s11, v2
	s_cmp_lg_u64 vcc, 0
	s_addc_u32 s10, s10, s12
	v_readfirstlane_b32 s12, v2
	s_mul_i32 s11, s0, s10
	s_mul_hi_u32 s13, s0, s12
	s_add_i32 s11, s13, s11
	s_mul_i32 s9, s9, s12
	s_add_i32 s11, s11, s9
	s_mul_i32 s0, s0, s12
	s_mul_hi_u32 s13, s10, s0
	s_mul_i32 s14, s10, s0
	s_mul_i32 s16, s12, s11
	s_mul_hi_u32 s0, s12, s0
	s_mul_hi_u32 s15, s12, s11
	s_add_u32 s0, s0, s16
	s_addc_u32 s12, 0, s15
	s_add_u32 s0, s0, s14
	s_mul_hi_u32 s9, s10, s11
	s_addc_u32 s0, s12, s13
	s_addc_u32 s9, s9, 0
	s_mul_i32 s11, s10, s11
	s_add_u32 s0, s0, s11
	s_addc_u32 s9, 0, s9
	v_add_co_u32_e32 v2, vcc, s0, v2
	s_cmp_lg_u64 vcc, 0
	s_addc_u32 s9, s10, s9
	s_ashr_i32 s10, s1, 31
	s_add_u32 s0, s8, s10
	s_mov_b32 s11, s10
	s_addc_u32 s1, s1, s10
	s_xor_b64 s[0:1], s[0:1], s[10:11]
	v_readfirstlane_b32 s14, v2
	s_mul_i32 s13, s0, s9
	s_mul_hi_u32 s15, s0, s14
	s_mul_hi_u32 s12, s0, s9
	s_add_u32 s13, s15, s13
	s_addc_u32 s12, 0, s12
	s_mul_hi_u32 s16, s1, s14
	s_mul_i32 s14, s1, s14
	s_add_u32 s13, s13, s14
	s_mul_hi_u32 s15, s1, s9
	s_addc_u32 s12, s12, s16
	s_addc_u32 s13, s15, 0
	s_mul_i32 s9, s1, s9
	s_add_u32 s9, s12, s9
	s_addc_u32 s12, 0, s13
	s_add_u32 s13, s9, 1
	s_addc_u32 s14, s12, 0
	s_add_u32 s15, s9, 2
	s_mul_i32 s17, s47, s12
	s_mul_hi_u32 s18, s47, s9
	s_addc_u32 s16, s12, 0
	s_add_i32 s18, s18, s17
	s_mul_i32 s17, s47, s9
	v_mov_b32_e32 v2, s17
	v_sub_co_u32_e32 v2, vcc, s0, v2
	s_cmp_lg_u64 vcc, 0
	s_subb_u32 s0, s1, s18
	v_subrev_co_u32_e32 v4, vcc, s47, v2
	s_cmp_lg_u64 vcc, 0
	s_subb_u32 s1, s0, 0
	v_readfirstlane_b32 s17, v4
	s_cmp_ge_u32 s17, s47
	s_cselect_b32 s17, -1, 0
	s_cmp_eq_u32 s1, 0
	s_cselect_b32 s1, s17, -1
	s_cmp_lg_u32 s1, 0
	s_cselect_b32 s1, s16, s14
	v_readfirstlane_b32 s14, v2
	s_cselect_b32 s13, s15, s13
	s_cmp_ge_u32 s14, s47
	s_cselect_b32 s14, -1, 0
	s_cmp_eq_u32 s0, 0
	s_cselect_b32 s0, s14, -1
	s_cmp_lg_u32 s0, 0
	s_cselect_b32 s1, s1, s12
	s_cselect_b32 s0, s13, s9
	s_xor_b64 s[0:1], s[0:1], s[10:11]
	s_sub_u32 s56, s0, s10
	s_branch .LBB14_3
.LBB14_2:
	s_mov_b64 s[2:3], -1
                                        ; implicit-def: $sgpr56_sgpr57
.LBB14_3:
	s_load_dwordx2 s[0:1], s[4:5], 0x74
	v_cvt_f32_u32_e32 v2, s47
	s_andn2_b64 vcc, exec, s[2:3]
	s_waitcnt lgkmcnt(0)
	v_writelane_b32 v210, s0, 4
	v_writelane_b32 v210, s1, 5
	s_cbranch_vccnz .LBB14_5
; %bb.4:
	v_rcp_iflag_f32_e32 v4, v2
	s_sub_i32 s0, 0, s47
	v_mul_f32_e32 v4, 0x4f7ffffe, v4
	v_cvt_u32_f32_e32 v4, v4
	v_readfirstlane_b32 s1, v4
	s_mul_i32 s0, s0, s1
	s_mul_hi_u32 s0, s1, s0
	s_add_i32 s1, s1, s0
	s_mul_hi_u32 s0, s8, s1
	s_mul_i32 s2, s0, s47
	s_sub_i32 s2, s8, s2
	s_add_i32 s1, s0, 1
	s_sub_i32 s3, s2, s47
	s_cmp_ge_u32 s2, s47
	s_cselect_b32 s0, s1, s0
	s_cselect_b32 s2, s3, s2
	s_add_i32 s1, s0, 1
	s_cmp_ge_u32 s2, s47
	s_cselect_b32 s56, s1, s0
.LBB14_5:
	s_add_i32 s0, s53, 1
	s_mul_i32 s1, s7, s0
	s_mul_hi_u32 s2, s6, s0
	s_add_i32 s3, s2, s1
	s_mov_b32 s2, 0
	s_cmp_lg_u64 s[2:3], 0
	s_mul_i32 s2, s6, s0
	s_cbranch_scc0 .LBB14_240
; %bb.6:
	v_madmk_f32 v1, v3, 0x4f800000, v1
	v_rcp_f32_e32 v1, v1
	s_sub_u32 s6, 0, s47
	s_subb_u32 s7, 0, 0
	v_mul_f32_e32 v1, 0x5f7ffffc, v1
	v_mul_f32_e32 v3, 0x2f800000, v1
	v_trunc_f32_e32 v3, v3
	v_madmk_f32 v1, v3, 0xcf800000, v1
	v_cvt_u32_f32_e32 v3, v3
	v_cvt_u32_f32_e32 v1, v1
	v_readfirstlane_b32 s8, v3
	v_readfirstlane_b32 s9, v1
	s_mul_hi_u32 s11, s6, s9
	s_mul_i32 s12, s6, s8
	s_mul_i32 s10, s7, s9
	s_add_i32 s11, s11, s12
	s_add_i32 s11, s11, s10
	s_mul_i32 s13, s6, s9
	s_mul_hi_u32 s10, s9, s11
	s_mul_i32 s12, s9, s11
	s_mul_hi_u32 s9, s9, s13
	s_add_u32 s9, s9, s12
	s_addc_u32 s10, 0, s10
	s_mul_hi_u32 s14, s8, s13
	s_mul_i32 s13, s8, s13
	s_add_u32 s9, s9, s13
	s_mul_hi_u32 s12, s8, s11
	s_addc_u32 s9, s10, s14
	s_addc_u32 s10, s12, 0
	s_mul_i32 s11, s8, s11
	s_add_u32 s9, s9, s11
	s_addc_u32 s10, 0, s10
	v_add_co_u32_e32 v1, vcc, s9, v1
	s_cmp_lg_u64 vcc, 0
	s_addc_u32 s8, s8, s10
	v_readfirstlane_b32 s10, v1
	s_mul_i32 s9, s6, s8
	s_mul_hi_u32 s11, s6, s10
	s_add_i32 s9, s11, s9
	s_mul_i32 s7, s7, s10
	s_add_i32 s9, s9, s7
	s_mul_i32 s6, s6, s10
	s_mul_hi_u32 s11, s8, s6
	s_mul_i32 s12, s8, s6
	s_mul_i32 s14, s10, s9
	s_mul_hi_u32 s6, s10, s6
	s_mul_hi_u32 s13, s10, s9
	s_add_u32 s6, s6, s14
	s_addc_u32 s10, 0, s13
	s_add_u32 s6, s6, s12
	s_mul_hi_u32 s7, s8, s9
	s_addc_u32 s6, s10, s11
	s_addc_u32 s7, s7, 0
	s_mul_i32 s9, s8, s9
	s_add_u32 s6, s6, s9
	s_addc_u32 s7, 0, s7
	v_add_co_u32_e32 v1, vcc, s6, v1
	s_cmp_lg_u64 vcc, 0
	s_addc_u32 s10, s8, s7
	s_ashr_i32 s6, s3, 31
	s_add_u32 s8, s2, s6
	s_mov_b32 s7, s6
	s_addc_u32 s9, s3, s6
	s_xor_b64 s[8:9], s[8:9], s[6:7]
	v_readfirstlane_b32 s12, v1
	s_mul_i32 s11, s8, s10
	s_mul_hi_u32 s13, s8, s12
	s_mul_hi_u32 s3, s8, s10
	s_add_u32 s11, s13, s11
	s_addc_u32 s3, 0, s3
	s_mul_hi_u32 s14, s9, s12
	s_mul_i32 s12, s9, s12
	s_add_u32 s11, s11, s12
	s_mul_hi_u32 s13, s9, s10
	s_addc_u32 s3, s3, s14
	s_addc_u32 s11, s13, 0
	s_mul_i32 s10, s9, s10
	s_add_u32 s3, s3, s10
	s_addc_u32 s10, 0, s11
	s_add_u32 s11, s3, 1
	s_addc_u32 s12, s10, 0
	s_add_u32 s13, s3, 2
	s_mul_i32 s15, s47, s10
	s_mul_hi_u32 s16, s47, s3
	s_addc_u32 s14, s10, 0
	s_add_i32 s16, s16, s15
	s_mul_i32 s15, s47, s3
	v_mov_b32_e32 v1, s15
	v_sub_co_u32_e32 v1, vcc, s8, v1
	s_cmp_lg_u64 vcc, 0
	s_subb_u32 s8, s9, s16
	v_subrev_co_u32_e32 v3, vcc, s47, v1
	s_cmp_lg_u64 vcc, 0
	s_subb_u32 s9, s8, 0
	v_readfirstlane_b32 s15, v3
	s_cmp_ge_u32 s15, s47
	s_cselect_b32 s15, -1, 0
	s_cmp_eq_u32 s9, 0
	s_cselect_b32 s9, s15, -1
	s_cmp_lg_u32 s9, 0
	s_cselect_b32 s9, s14, s12
	v_readfirstlane_b32 s12, v1
	s_cselect_b32 s11, s13, s11
	s_cmp_ge_u32 s12, s47
	s_cselect_b32 s12, -1, 0
	s_cmp_eq_u32 s8, 0
	s_cselect_b32 s8, s12, -1
	s_cmp_lg_u32 s8, 0
	s_cselect_b32 s9, s9, s10
	s_cselect_b32 s8, s11, s3
	s_xor_b64 s[8:9], s[8:9], s[6:7]
	s_sub_u32 s60, s8, s6
	s_load_dwordx2 s[44:45], s[4:5], 0x5c
	s_cbranch_execnz .LBB14_8
.LBB14_7:
	v_rcp_iflag_f32_e32 v1, v2
	s_sub_i32 s0, 0, s47
	v_mul_f32_e32 v1, 0x4f7ffffe, v1
	v_cvt_u32_f32_e32 v1, v1
	v_readfirstlane_b32 s1, v1
	s_mul_i32 s0, s0, s1
	s_mul_hi_u32 s0, s1, s0
	s_add_i32 s1, s1, s0
	s_mul_hi_u32 s0, s2, s1
	s_mul_i32 s3, s0, s47
	s_sub_i32 s2, s2, s3
	s_add_i32 s1, s0, 1
	s_sub_i32 s3, s2, s47
	s_cmp_ge_u32 s2, s47
	s_cselect_b32 s0, s1, s0
	s_cselect_b32 s2, s3, s2
	s_add_i32 s1, s0, 1
	s_cmp_ge_u32 s2, s47
	s_cselect_b32 s60, s1, s0
.LBB14_8:
	s_abs_i32 s89, s88
	v_cvt_f32_u32_e32 v1, s89
	v_readlane_b32 s2, v210, 4
	s_load_dwordx16 s[16:31], s[4:5], 0x0
	s_load_dword s6, s[4:5], 0x40
	s_load_dwordx2 s[0:1], s[4:5], 0x8c
	s_load_dwordx4 s[40:43], s[4:5], 0x98
	s_load_dwordx2 s[48:49], s[4:5], 0xa8
	s_load_dwordx2 s[12:13], s[4:5], 0xb8
	;; [unrolled: 1-line block ×3, first 2 shown]
	s_ashr_i32 s35, s2, 3
	v_rcp_iflag_f32_e32 v1, v1
	s_sub_i32 s2, 0, s89
	v_readlane_b32 s3, v210, 5
	s_waitcnt lgkmcnt(0)
	v_writelane_b32 v210, s0, 6
	v_mul_f32_e32 v1, 0x4f7ffffe, v1
	v_cvt_u32_f32_e32 v1, v1
	v_writelane_b32 v210, s1, 7
	s_ashr_i32 s1, s88, 31
	v_writelane_b32 v210, s1, 8
	v_readfirstlane_b32 s52, v1
	s_mul_i32 s2, s2, s52
	s_mul_hi_u32 s2, s52, s2
	s_abs_i32 s1, s56
	s_add_i32 s52, s52, s2
	s_mul_hi_u32 s2, s1, s52
	s_mul_i32 s2, s2, s89
	s_sub_i32 s1, s1, s2
	s_ashr_i32 s57, s39, 3
	s_ashr_i32 s38, s0, 2
	;; [unrolled: 1-line block ×5, first 2 shown]
	s_sub_i32 s2, s1, s89
	s_cmp_ge_u32 s1, s89
	s_cselect_b32 s1, s2, s1
	s_sub_i32 s2, s1, s89
	s_cmp_ge_u32 s1, s89
	s_cselect_b32 s1, s2, s1
	s_xor_b32 s1, s1, s0
	s_sub_i32 s78, s1, s0
	s_sub_i32 s0, s60, s56
	s_add_i32 s2, s0, s78
	s_min_i32 s67, s88, s2
	s_cmp_gt_i32 s60, s56
	s_cselect_b64 s[8:9], -1, 0
	s_cmp_le_i32 s60, s56
	v_cvt_f16_f32_e32 v1, s6
	s_cselect_b64 s[0:1], -1, 0
	s_cmp_gt_i32 s88, s2
	s_cselect_b64 s[2:3], -1, 0
	s_or_b64 s[0:1], s[2:3], s[0:1]
	v_bfe_u32 v63, v0, 10, 10
	s_mov_b32 s63, 0
	s_and_b64 vcc, exec, s[0:1]
	v_pack_b32_f16 v35, v1, v1
	v_lshlrev_b32_e32 v51, 1, v63
	v_lshlrev_b32_e32 v37, 2, v63
	;; [unrolled: 1-line block ×3, first 2 shown]
	v_and_b32_e32 v69, 1, v63
	s_cbranch_vccz .LBB14_11
; %bb.9:
	s_andn2_b64 vcc, exec, s[8:9]
	s_cbranch_vccz .LBB14_212
.LBB14_10:
	s_endpgm
.LBB14_11:
	s_cmp_eq_u64 s[24:25], 0
	v_and_b32_e32 v1, 0x3ff, v0
	v_writelane_b32 v210, s47, 9
	s_cselect_b64 s[0:1], -1, 0
	v_lshrrev_b32_e32 v4, 3, v1
	v_writelane_b32 v210, s0, 10
	s_cmp_lg_u64 s[26:27], 0
	v_and_b32_e32 v14, 15, v1
	v_and_b32_e32 v5, 30, v4
	v_writelane_b32 v210, s1, 11
	s_cselect_b64 s[0:1], -1, 0
	v_mul_u32_u24_e32 v2, 0xd0, v14
	v_lshlrev_b32_e32 v6, 2, v5
	v_writelane_b32 v210, s0, 12
	v_add3_u32 v39, 0, v2, v6
	v_lshlrev_b32_e32 v11, 4, v63
	v_lshrrev_b32_e32 v6, 2, v1
	v_lshlrev_b32_e32 v7, 2, v1
	v_writelane_b32 v210, s1, 13
	v_and_b32_e32 v3, 0x7f0, v65
	s_movk_i32 s0, 0xd0
	v_add_u32_e32 v8, v11, v6
	v_and_b32_e32 v2, 12, v7
	v_add_u32_e32 v9, v4, v65
	v_and_b32_e32 v4, 28, v7
	v_and_b32_e32 v13, 16, v11
	;; [unrolled: 1-line block ×3, first 2 shown]
	v_and_or_b32 v16, v1, 14, v3
	v_mad_u32_u24 v22, v8, s0, 0
	v_lshlrev_b32_e32 v23, 2, v2
	s_movk_i32 s59, 0x80
	s_movk_i32 s1, 0x90
	v_mul_u32_u24_e32 v12, 0xd0, v9
	v_lshrrev_b32_e32 v16, 1, v16
	v_add_u16_e32 v17, v7, v13
	v_mul_u32_u24_e32 v19, 0x68, v7
	v_add3_u32 v41, v22, v23, s59
	v_lshlrev_b32_e32 v22, 2, v4
	v_add_u32_e32 v15, v7, v13
	v_lshrrev_b16_e32 v17, 1, v17
	v_and_b32_e32 v18, 8, v65
	v_or_b32_e32 v19, v19, v14
	v_or_b32_e32 v6, 3, v6
	s_movk_i32 s2, 0x1a0
	v_add3_u32 v43, 0, v12, v22
	v_mad_u32_u24 v12, v16, s1, 0
	v_mul_u32_u24_e32 v20, 0xd0, v7
	v_mul_u32_u24_e32 v6, 0xd0, v6
	;; [unrolled: 1-line block ×3, first 2 shown]
	v_lshl_add_u32 v47, v17, 2, v12
	v_lshl_add_u32 v12, v15, 1, v12
	v_mad_u32_u24 v15, v18, s2, 0
	v_lshlrev_b32_e32 v16, 1, v19
	v_lshlrev_b32_e32 v17, 1, v14
	v_add_u32_e32 v71, v15, v16
	v_add3_u32 v76, v15, v20, v17
	v_add3_u32 v77, v15, v6, v17
	;; [unrolled: 1-line block ×3, first 2 shown]
	s_movk_i32 s3, 0x1a00
	v_add_u32_e32 v78, v15, v16
	v_mad_u32_u24 v19, v7, s0, v15
	v_add3_u32 v80, v15, v6, v17
	v_add3_u32 v15, 0, 64, v21
	s_add_i32 s1, 0, 0x60
	v_add3_u32 v79, v19, v17, s3
	v_add_u32_e32 v81, v15, v16
	v_mad_u32_u24 v19, v7, s0, v15
	v_add3_u32 v83, v15, v6, v17
	v_mov_b32_e32 v15, s1
	v_mad_u32_u24 v15, v18, s2, v15
	s_add_i32 s1, 0, 0x80
	v_add3_u32 v82, v19, v17, s3
	v_add_u32_e32 v84, v15, v16
	v_mad_u32_u24 v19, v7, s0, v15
	v_add3_u32 v86, v15, v6, v17
	v_mov_b32_e32 v15, s1
	v_mad_u32_u24 v15, v18, s2, v15
	;; [unrolled: 7-line block ×3, first 2 shown]
	v_mad_u32_u24 v7, v7, s0, v15
	s_lshl_b32 s62, s53, 5
	s_ashr_i32 s47, s46, 31
	s_ashr_i32 s39, s38, 31
	s_mov_b32 s10, s35
	s_ashr_i32 s35, s34, 31
	v_add3_u32 v88, v19, v17, s3
	v_add3_u32 v91, v7, v17, s3
	;; [unrolled: 1-line block ×3, first 2 shown]
	s_lshl_b64 s[2:3], s[62:63], 3
	v_or_b32_e32 v6, v65, v1
	v_lshrrev_b32_e32 v10, 5, v1
	s_add_u32 s1, s30, s2
	v_lshlrev_b32_e32 v6, 3, v6
	v_add_u32_e32 v90, v15, v16
	s_addc_u32 s2, s31, s3
	v_add_co_u32_e32 v16, vcc, s1, v6
	v_add_u32_e32 v15, v10, v63
	v_or_b32_e32 v6, v11, v14
	v_mov_b32_e32 v7, s2
	v_mad_u32_u24 v23, v6, 52, v5
	v_lshlrev_b32_e32 v5, 1, v15
	v_and_b32_e32 v6, 15, v15
	s_movk_i32 s1, 0x3e0
	v_add_u32_e32 v26, 4, v15
	v_addc_co_u32_e32 v17, vcc, 0, v7, vcc
	v_and_or_b32 v25, v5, s1, v6
	v_lshlrev_b32_e32 v5, 1, v26
	v_and_b32_e32 v7, 15, v26
	s_movk_i32 s1, 0x7e0
	v_add_u32_e32 v28, 8, v15
	v_and_or_b32 v27, v5, s1, v7
	v_lshlrev_b32_e32 v5, 1, v28
	v_and_b32_e32 v7, 15, v28
	v_add_u32_e32 v30, 12, v15
	v_and_or_b32 v29, v5, s1, v7
	v_lshlrev_b32_e32 v5, 1, v30
	v_and_b32_e32 v7, 15, v30
	v_add_u32_e32 v32, 16, v15
	v_and_or_b32 v31, v5, s1, v7
	v_lshlrev_b32_e32 v5, 1, v32
	v_add_u32_e32 v34, 20, v15
	v_and_or_b32 v33, v5, s1, v6
	v_lshlrev_b32_e32 v5, 1, v34
	v_and_b32_e32 v6, 15, v34
	v_add_u32_e32 v38, 24, v15
	v_and_or_b32 v36, v5, s1, v6
	v_lshlrev_b32_e32 v5, 1, v38
	v_and_b32_e32 v6, 15, v38
	;; [unrolled: 4-line block ×3, first 2 shown]
	v_lshrrev_b32_e32 v45, 4, v1
	v_and_or_b32 v44, v5, s1, v6
	v_add_u32_e32 v5, v45, v51
	v_add_u32_e32 v46, 8, v5
	v_writelane_b32 v210, s53, 14
	s_movk_i32 s2, 0xfe0
	v_lshlrev_b32_e32 v6, 1, v46
	v_and_b32_e32 v7, 15, v46
	v_and_or_b32 v48, v6, s2, v7
	v_lshlrev_b32_e32 v6, 1, v5
	v_and_b32_e32 v7, 15, v5
	v_add_u32_e32 v50, 16, v5
	v_readlane_b32 s7, v210, 3
	v_and_or_b32 v49, v6, s1, v7
	v_lshlrev_b32_e32 v6, 1, v50
	s_abs_i32 s90, s7
	v_and_or_b32 v52, v6, s2, v7
	v_cvt_f32_u32_e32 v6, s90
	v_readlane_b32 s9, v210, 2
	s_abs_i32 s91, s9
	v_cvt_f32_u32_e32 v18, s91
	v_rcp_iflag_f32_e32 v6, v6
	v_add_u32_e32 v53, 24, v5
	v_lshlrev_b32_e32 v5, 1, v53
	v_and_b32_e32 v7, 15, v53
	v_readlane_b32 s8, v210, 1
	v_and_or_b32 v54, v5, s2, v7
	v_mul_f32_e32 v5, 0x4f7ffffe, v6
	s_abs_i32 s92, s8
	s_abs_i32 s93, s12
	v_cvt_u32_f32_e32 v5, v5
	v_rcp_iflag_f32_e32 v6, v18
	v_cvt_f32_u32_e32 v7, s92
	v_cvt_f32_u32_e32 v18, s93
	s_mov_b32 s2, s12
	v_writelane_b32 v210, s2, 15
	v_writelane_b32 v210, s3, 16
	v_readfirstlane_b32 s2, v5
	v_rcp_iflag_f32_e32 v5, v7
	v_rcp_iflag_f32_e32 v7, v18
	v_mul_f32_e32 v6, 0x4f7ffffe, v6
	v_cvt_u32_f32_e32 v6, v6
	v_mul_f32_e32 v5, 0x4f7ffffe, v5
	v_mul_f32_e32 v7, 0x4f7ffffe, v7
	v_cvt_u32_f32_e32 v5, v5
	v_cvt_u32_f32_e32 v7, v7
	s_sub_i32 s1, 0, s93
	v_readfirstlane_b32 s3, v6
	v_readfirstlane_b32 s6, v5
	v_mul_lo_u32 v5, s1, v7
	v_mul_hi_u32 v5, v7, v5
	v_mul_lo_u32 v6, s34, v8
	v_add_u32_e32 v93, v7, v5
	v_ashrrev_i32_e32 v7, 31, v6
	v_and_b32_e32 v5, 3, v1
	v_lshlrev_b32_e32 v5, 4, v5
	v_lshlrev_b64 v[18:19], 2, v[6:7]
	v_add_co_u32_e32 v6, vcc, v5, v18
	v_addc_co_u32_e32 v7, vcc, 0, v19, vcc
	v_cmp_eq_u32_e64 s[4:5], 1, v69
	v_mov_b32_e32 v20, s21
	v_add_co_u32_e32 v55, vcc, s20, v6
	v_mul_lo_u32 v6, s38, v8
	v_writelane_b32 v210, s4, 17
	v_addc_co_u32_e32 v56, vcc, v7, v20, vcc
	v_ashrrev_i32_e32 v7, 31, v6
	v_writelane_b32 v210, s5, 18
	v_cmp_gt_u32_e64 s[12:13], 32, v1
	v_lshlrev_b64 v[20:21], 2, v[6:7]
	v_writelane_b32 v210, s12, 19
	v_add_co_u32_e32 v5, vcc, v5, v20
	v_writelane_b32 v210, s13, 20
	s_ashr_i32 s7, s7, 31
	v_addc_co_u32_e32 v6, vcc, 0, v21, vcc
	v_add_u32_e32 v98, 64, v12
	v_add_u32_e32 v99, 0x44, v12
	v_add_u16_e32 v12, v10, v51
	v_writelane_b32 v210, s7, 21
	s_sub_i32 s7, 0, s90
	v_mov_b32_e32 v7, s19
	v_add_co_u32_e32 v57, vcc, s18, v5
	v_lshrrev_b16_e32 v100, 1, v12
	v_lshlrev_b32_e32 v12, 1, v1
	s_mul_i32 s7, s7, s2
	v_addc_co_u32_e32 v58, vcc, v6, v7, vcc
	v_mul_lo_u32 v6, s34, v9
	v_add_u32_e32 v101, v10, v51
	v_and_b32_e32 v22, 62, v12
	v_add_u16_e32 v10, v10, v63
	s_mul_hi_u32 s7, s2, s7
	v_ashrrev_i32_e32 v7, 31, v6
	v_lshl_add_u32 v102, v22, 1, 0
	v_lshrrev_b16_e32 v112, 1, v10
	v_mul_u32_u24_e32 v10, 52, v25
	s_add_i32 s2, s2, s7
	v_add_co_u32_e32 v148, vcc, s59, v55
	v_lshl_add_u32 v8, s34, 5, v6
	v_lshl_add_u32 v114, v10, 2, v102
	v_lshrrev_b32_e32 v115, 1, v26
	v_mul_u32_u24_e32 v116, 0xd0, v27
	v_mul_u32_u24_e32 v10, 52, v27
	v_writelane_b32 v210, s2, 22
	s_ashr_i32 s2, s9, 31
	v_addc_co_u32_e32 v149, vcc, 0, v56, vcc
	v_lshlrev_b64 v[26:27], 2, v[6:7]
	v_lshlrev_b32_e32 v94, 2, v2
	v_mul_lo_u32 v2, s38, v9
	v_ashrrev_i32_e32 v9, 31, v8
	v_lshl_add_u32 v117, v10, 2, v102
	v_mul_u32_u24_e32 v10, 52, v29
	v_writelane_b32 v210, s2, 23
	s_sub_i32 s2, 0, s91
	v_mov_b32_e32 v6, s21
	v_add_co_u32_e32 v150, vcc, s20, v26
	v_lshrrev_b32_e32 v118, 1, v28
	v_mul_u32_u24_e32 v119, 0xd0, v29
	v_lshl_add_u32 v120, v10, 2, v102
	v_mul_u32_u24_e32 v10, 52, v31
	s_mul_i32 s2, s2, s3
	v_addc_co_u32_e32 v151, vcc, v6, v27, vcc
	v_lshlrev_b64 v[28:29], 2, v[8:9]
	v_lshl_add_u32 v123, v10, 2, v102
	v_mul_u32_u24_e32 v10, 52, v33
	s_mul_hi_u32 s2, s3, s2
	v_add_co_u32_e32 v152, vcc, s20, v28
	v_lshl_add_u32 v126, v10, 2, v102
	v_mul_u32_u24_e32 v10, 52, v36
	s_add_i32 s2, s3, s2
	v_addc_co_u32_e32 v153, vcc, v6, v29, vcc
	v_mad_u32_u24 v96, v3, s0, v39
	v_ashrrev_i32_e32 v3, 31, v2
	v_mul_u32_u24_e32 v12, 52, v101
	v_lshl_add_u32 v129, v10, 2, v102
	v_mul_u32_u24_e32 v10, 52, v40
	v_writelane_b32 v210, s2, 24
	s_ashr_i32 s2, s8, 31
	v_add_co_u32_e32 v154, vcc, s59, v57
	v_lshlrev_b32_e32 v95, 2, v4
	v_lshl_add_u32 v4, s38, 5, v2
	v_lshl_add_u32 v103, v12, 2, v102
	v_add_u32_e32 v12, 16, v101
	v_lshrrev_b32_e32 v121, 1, v30
	v_mul_u32_u24_e32 v122, 0xd0, v31
	v_lshl_add_u32 v132, v10, 2, v102
	v_mul_u32_u24_e32 v10, 52, v44
	v_writelane_b32 v210, s2, 25
	s_sub_i32 s2, 0, s92
	v_addc_co_u32_e32 v155, vcc, 0, v58, vcc
	v_lshlrev_b64 v[30:31], 2, v[2:3]
	v_ashrrev_i32_e32 v5, 31, v4
	v_lshrrev_b32_e32 v104, 1, v12
	v_add_u32_e32 v12, 24, v101
	v_lshl_add_u32 v135, v10, 2, v102
	v_add_u16_e32 v10, v45, v51
	s_mul_i32 s2, s2, s6
	v_mov_b32_e32 v2, s19
	v_add_co_u32_e32 v156, vcc, s18, v30
	v_lshrrev_b32_e32 v105, 1, v12
	v_add_u16_e32 v12, v45, v37
	v_lshrrev_b32_e32 v124, 1, v32
	v_mul_u32_u24_e32 v125, 0xd0, v33
	v_lshrrev_b16_e32 v136, 1, v10
	v_mad_u32_u24 v10, v49, 52, v14
	s_mul_hi_u32 s2, s6, s2
	v_addc_co_u32_e32 v157, vcc, v2, v31, vcc
	v_lshlrev_b64 v[32:33], 2, v[4:5]
	v_lshrrev_b16_e32 v106, 1, v12
	v_add_u32_e32 v12, v45, v37
	v_lshrrev_b32_e32 v127, 1, v34
	v_lshl_add_u32 v138, v10, 2, 0
	v_mad_u32_u24 v10, v48, 52, v14
	s_add_i32 s2, s6, s2
	v_add_co_u32_e32 v158, vcc, s18, v32
	v_bfe_u32 v34, v1, 4, 1
	v_mul_u32_u24_e32 v97, 0xd0, v13
	v_mad_u32_u24 v13, v12, 52, v14
	v_add_u32_e32 v12, 16, v12
	v_and_b32_e32 v24, 31, v1
	v_lshl_add_u32 v141, v10, 2, 0
	v_mad_u32_u24 v10, v52, 52, v14
	v_writelane_b32 v210, s2, 26
	s_lshl_b64 s[2:3], s[46:47], 1
	v_addc_co_u32_e32 v159, vcc, v2, v33, vcc
	v_mul_lo_u32 v2, s10, v34
	v_lshrrev_b32_e32 v108, 1, v12
	v_or_b32_e32 v12, v11, v1
	v_or_b32_e32 v11, v11, v24
	v_mul_u32_u24_e32 v128, 0xd0, v36
	v_lshl_add_u32 v144, v10, 2, 0
	v_mad_u32_u24 v10, v54, 52, v14
	v_writelane_b32 v210, s2, 27
	v_add3_u32 v36, v2, v14, 32
	v_add_u32_e32 v162, 8, v101
	v_bfe_u32 v170, v1, 5, 1
	v_and_b32_e32 v2, 7, v1
	v_mbcnt_lo_u32_b32 v172, -1, 0
	v_cmp_eq_u32_e64 s[0:1], 0, v69
	v_cmp_gt_u32_e64 s[4:5], 16, v1
	v_lshl_add_u32 v107, v13, 2, 0
	v_mul_u32_u24_e32 v109, 0xd0, v12
	v_mul_u32_u24_e32 v110, 0xd0, v11
	v_lshl_add_u32 v111, v23, 2, 0
	v_mul_u32_u24_e32 v113, 0xd0, v25
	v_lshrrev_b32_e32 v130, 1, v38
	v_mul_u32_u24_e32 v131, 0xd0, v40
	v_lshrrev_b32_e32 v133, 1, v42
	v_mul_u32_u24_e32 v134, 0xd0, v44
	v_mul_u32_u24_e32 v137, 0xd0, v49
	v_lshrrev_b32_e32 v139, 1, v46
	v_mul_u32_u24_e32 v140, 0xd0, v48
	v_lshrrev_b32_e32 v142, 1, v50
	;; [unrolled: 2-line block ×3, first 2 shown]
	v_mul_u32_u24_e32 v146, 0xd0, v54
	v_lshl_add_u32 v147, v10, 2, 0
	v_writelane_b32 v210, s3, 28
	s_lshl_b64 s[70:71], s[34:35], 8
	s_lshl_b64 s[72:73], s[38:39], 8
	s_mov_b32 s47, 0x3fb8aa3b
	s_mov_b32 s69, 0xc2ce8ed0
	;; [unrolled: 1-line block ×5, first 2 shown]
	v_mov_b32_e32 v160, 0
	v_mul_u32_u24_e32 v161, 0x90, v101
	v_add_u32_e32 v163, 0x1a00, v43
	v_add_u32_e32 v164, 0x1a00, v76
	;; [unrolled: 1-line block ×7, first 2 shown]
	v_and_b32_e32 v38, 1, v1
	v_and_b32_e32 v40, 1, v15
	v_lshrrev_b32_e32 v171, 1, v162
	v_lshlrev_b32_e32 v42, 4, v2
	v_mbcnt_hi_u32_b32 v173, -1, v172
	v_mov_b32_e32 v174, 0x7f800000
	v_mad_u64_u32 v[44:45], s[2:3], v170, s10, v[24:25]
	v_lshlrev_b32_e32 v46, 2, v24
	v_writelane_b32 v210, s10, 29
	s_branch .LBB14_14
.LBB14_12:                              ;   in Loop: Header=BB14_14 Depth=1
	s_or_b64 exec, exec, s[14:15]
	s_barrier
.LBB14_13:                              ;   in Loop: Header=BB14_14 Depth=1
	s_add_i32 s2, s56, s88
	s_abs_i32 s6, s2
	s_mul_hi_u32 s7, s6, s52
	s_mul_i32 s7, s7, s89
	s_sub_i32 s6, s6, s7
	s_ashr_i32 s3, s2, 31
	s_sub_i32 s7, s6, s89
	s_cmp_ge_u32 s6, s89
	s_cselect_b32 s6, s7, s6
	s_sub_i32 s7, s6, s89
	s_cmp_ge_u32 s6, s89
	s_cselect_b32 s6, s7, s6
	s_xor_b32 s6, s6, s3
	s_sub_i32 s3, s3, s6
	s_add_i32 s56, s2, s3
	s_sub_i32 s2, s60, s56
	s_min_i32 s67, s88, s2
	s_cmp_gt_i32 s60, s56
	s_cselect_b64 s[8:9], -1, 0
	s_cmp_le_i32 s88, s2
	s_cselect_b64 s[2:3], -1, 0
	s_and_b64 s[2:3], s[2:3], s[8:9]
	s_mov_b32 s78, 0
	s_and_b64 vcc, exec, s[2:3]
	s_cbranch_vccz .LBB14_211
.LBB14_14:                              ; =>This Loop Header: Depth=1
                                        ;     Child Loop BB14_145 Depth 2
                                        ;     Child Loop BB14_47 Depth 2
	s_ashr_i32 s2, s56, 31
	v_readlane_b32 s3, v210, 21
	s_xor_b32 s2, s2, s3
	s_abs_i32 s3, s56
	v_readlane_b32 s6, v210, 22
	s_mul_hi_u32 s6, s3, s6
	s_mul_i32 s7, s6, s90
	s_sub_i32 s3, s3, s7
	s_add_i32 s7, s6, 1
	s_sub_i32 s8, s3, s90
	s_cmp_ge_u32 s3, s90
	s_cselect_b32 s6, s7, s6
	s_cselect_b32 s3, s8, s3
	s_add_i32 s7, s6, 1
	s_cmp_ge_u32 s3, s90
	s_cselect_b32 s3, s7, s6
	s_xor_b32 s3, s3, s2
	s_sub_i32 s2, s3, s2
	v_readlane_b32 s3, v210, 3
	s_mul_i32 s3, s2, s3
	s_sub_i32 s6, s56, s3
	s_ashr_i32 s3, s6, 31
	v_readlane_b32 s7, v210, 23
	s_xor_b32 s3, s3, s7
	s_abs_i32 s7, s6
	v_readlane_b32 s8, v210, 24
	s_mul_hi_u32 s8, s7, s8
	s_mul_i32 s9, s8, s91
	s_sub_i32 s7, s7, s9
	s_add_i32 s9, s8, 1
	s_sub_i32 s10, s7, s91
	s_cmp_ge_u32 s7, s91
	s_cselect_b32 s8, s9, s8
	s_cselect_b32 s7, s10, s7
	s_add_i32 s9, s8, 1
	s_cmp_ge_u32 s7, s91
	s_cselect_b32 s7, s9, s8
	s_xor_b32 s7, s7, s3
	s_sub_i32 s3, s7, s3
	v_readlane_b32 s7, v210, 2
	s_mul_i32 s7, s3, s7
	s_sub_i32 s7, s6, s7
	;; [unrolled: 21-line block ×3, first 2 shown]
	s_ashr_i32 s8, s7, 31
	v_readlane_b32 s9, v210, 8
	s_abs_i32 s7, s7
	s_xor_b32 s8, s8, s9
	s_mul_hi_u32 s9, s7, s52
	s_mul_i32 s10, s9, s89
	s_sub_i32 s7, s7, s10
	s_add_i32 s10, s9, 1
	s_sub_i32 s11, s7, s89
	s_cmp_ge_u32 s7, s89
	s_cselect_b32 s9, s10, s9
	s_cselect_b32 s7, s11, s7
	s_add_i32 s10, s9, 1
	s_cmp_ge_u32 s7, s89
	s_cselect_b32 s7, s10, s9
	v_readlane_b32 s10, v210, 12
	s_xor_b32 s7, s7, s8
	v_readlane_b32 s11, v210, 13
	s_andn2_b64 vcc, exec, s[10:11]
	s_sub_i32 s13, s7, s8
	s_cbranch_vccnz .LBB14_16
; %bb.15:                               ;   in Loop: Header=BB14_14 Depth=1
	v_readlane_b32 s7, v210, 0
	s_mul_i32 s7, s2, s7
	s_add_i32 s8, s13, s7
	s_ashr_i32 s9, s8, 31
	s_lshl_b64 s[8:9], s[8:9], 2
	s_add_u32 s8, s26, s8
	s_addc_u32 s9, s27, s9
	global_load_dword v1, v160, s[8:9]
	s_waitcnt vmcnt(0)
	v_readfirstlane_b32 s7, v1
	s_ashr_i32 s8, s7, 31
	s_lshr_b32 s8, s8, 26
	s_add_i32 s7, s7, s8
	s_ashr_i32 s7, s7, 6
	s_min_i32 s67, s67, s7
.LBB14_16:                              ;   in Loop: Header=BB14_14 Depth=1
	v_readlane_b32 s8, v210, 4
	v_readlane_b32 s9, v210, 5
	s_mul_i32 s7, s3, s33
	s_lshl_b32 s87, s6, 1
	s_mul_i32 s6, s2, s9
	s_add_i32 s10, s87, s7
	s_ashr_i32 s7, s6, 31
	s_add_u32 s6, s16, s6
	s_mul_i32 s8, s10, s8
	s_addc_u32 s7, s17, s7
	s_ashr_i32 s9, s8, 31
	s_add_u32 s94, s6, s8
	s_addc_u32 s42, s7, s9
	s_ashr_i32 s11, s2, 31
	s_mul_i32 s6, s2, s41
	s_mul_hi_u32 s7, s2, s40
	s_add_i32 s6, s7, s6
	s_mul_i32 s7, s11, s40
	v_readlane_b32 s8, v210, 6
	s_add_i32 s54, s6, s7
	s_mul_i32 s55, s2, s40
	v_readlane_b32 s9, v210, 7
	s_add_u32 s6, s18, s55
	s_mul_i32 s95, s3, s9
	s_addc_u32 s7, s19, s54
	s_ashr_i32 s58, s95, 31
	s_add_u32 s65, s6, s95
	s_addc_u32 s66, s7, s58
	s_abs_i32 s6, s2
	v_mul_hi_u32 v1, s6, v93
	v_mul_lo_u32 v1, v1, s93
	v_sub_u32_e32 v1, s6, v1
	s_mul_i32 s6, s36, s37
	s_mul_i32 s6, s6, s2
	v_subrev_u32_e32 v2, s93, v1
	v_cmp_le_u32_e32 vcc, s93, v1
	s_add_i32 s6, s10, s6
	v_cndmask_b32_e32 v1, v1, v2, vcc
	s_mul_i32 s62, s6, 48
	v_subrev_u32_e32 v2, s93, v1
	v_cmp_le_u32_e32 vcc, s93, v1
	s_lshl_b64 s[6:7], s[62:63], 3
	v_cndmask_b32_e32 v1, v1, v2, vcc
	s_add_u32 s85, s28, s6
	v_xor_b32_e32 v1, s11, v1
	s_addc_u32 s86, s29, s7
	s_mul_i32 s6, s2, s49
	s_mul_hi_u32 s7, s2, s48
	v_subrev_u32_e32 v1, s11, v1
	s_add_i32 s6, s7, s6
	s_mul_i32 s11, s11, s48
	s_add_i32 s62, s6, s11
	s_mul_i32 s61, s2, s48
	s_add_u32 s2, s20, s61
	s_mul_i32 s7, s3, s43
	s_addc_u32 s11, s21, s62
	s_ashr_i32 s6, s7, 31
	s_add_u32 s84, s2, s7
	s_addc_u32 s64, s11, s6
	s_ashr_i32 s11, s10, 31
	s_lshl_b64 s[2:3], s[10:11], 2
	v_ashrrev_i32_e32 v2, 31, v1
	v_mul_lo_u32 v3, v1, s51
	v_mul_hi_u32 v4, v1, s50
	s_add_u32 s10, s24, s2
	v_add_u32_e32 v3, v4, v3
	v_mul_lo_u32 v2, v2, s50
	v_mul_lo_u32 v1, v1, s50
	s_addc_u32 s11, s25, s3
	v_readlane_b32 s2, v210, 10
	v_add_u32_e32 v23, v3, v2
	v_mov_b32_e32 v2, s23
	v_add_co_u32_e64 v48, s[8:9], s22, v1
	v_readlane_b32 s3, v210, 11
	v_addc_co_u32_e64 v45, vcc, v2, v23, s[8:9]
	s_and_b64 s[2:3], s[2:3], exec
	v_or_b32_e32 v25, s87, v170
	s_cselect_b32 s75, 0, s11
	s_cselect_b32 s74, 0, s10
	s_cmp_lg_u32 s78, 0
	v_cmp_gt_i32_e32 vcc, s33, v25
	s_cbranch_scc0 .LBB14_43
; %bb.17:                               ;   in Loop: Header=BB14_14 Depth=1
	s_lshl_b32 s2, s13, 4
	v_add_u32_e32 v1, s2, v100
	v_cmp_le_i32_e64 s[10:11], s36, v1
	s_xor_b64 s[14:15], vcc, -1
	s_or_b64 s[10:11], s[10:11], s[14:15]
	s_and_saveexec_b64 s[76:77], s[10:11]
	s_xor_b64 s[10:11], exec, s[76:77]
	s_cbranch_execz .LBB14_19
; %bb.18:                               ;   in Loop: Header=BB14_14 Depth=1
	ds_write_b32 v103, v160
                                        ; implicit-def: $vgpr1
.LBB14_19:                              ;   in Loop: Header=BB14_14 Depth=1
	s_andn2_saveexec_b64 s[10:11], s[10:11]
	s_cbranch_execz .LBB14_21
; %bb.20:                               ;   in Loop: Header=BB14_14 Depth=1
	v_mad_u64_u32 v[2:3], s[76:77], v1, s57, v[44:45]
	v_ashrrev_i32_e32 v3, 31, v2
	v_lshlrev_b64 v[2:3], 3, v[2:3]
	v_mov_b32_e32 v1, s42
	v_add_co_u32_e32 v2, vcc, s94, v2
	v_addc_co_u32_e32 v3, vcc, v1, v3, vcc
	global_load_dwordx2 v[2:3], v[2:3], off
	s_waitcnt vmcnt(0)
	v_cvt_f16_f32_e32 v1, v2
	v_cvt_f16_f32_e32 v2, v3
	v_pack_b32_f16 v1, v1, v2
	v_pk_mul_f16 v1, v35, v1
	ds_write_b32 v103, v1
.LBB14_21:                              ;   in Loop: Header=BB14_14 Depth=1
	s_or_b64 exec, exec, s[10:11]
	v_add_u32_e32 v1, s2, v171
	v_cmp_le_i32_e32 vcc, s36, v1
	s_or_b64 s[10:11], vcc, s[14:15]
	s_and_saveexec_b64 s[76:77], s[10:11]
	s_xor_b64 s[10:11], exec, s[76:77]
	s_cbranch_execz .LBB14_23
; %bb.22:                               ;   in Loop: Header=BB14_14 Depth=1
	ds_write_b32 v103, v160 offset:1664
                                        ; implicit-def: $vgpr1
.LBB14_23:                              ;   in Loop: Header=BB14_14 Depth=1
	s_andn2_saveexec_b64 s[10:11], s[10:11]
	s_cbranch_execz .LBB14_25
; %bb.24:                               ;   in Loop: Header=BB14_14 Depth=1
	v_mad_u64_u32 v[2:3], s[76:77], v1, s57, v[44:45]
	v_ashrrev_i32_e32 v3, 31, v2
	v_lshlrev_b64 v[2:3], 3, v[2:3]
	v_mov_b32_e32 v1, s42
	v_add_co_u32_e32 v2, vcc, s94, v2
	v_addc_co_u32_e32 v3, vcc, v1, v3, vcc
	global_load_dwordx2 v[2:3], v[2:3], off
	s_waitcnt vmcnt(0)
	v_cvt_f16_f32_e32 v1, v2
	v_cvt_f16_f32_e32 v2, v3
	v_pack_b32_f16 v1, v1, v2
	v_pk_mul_f16 v1, v35, v1
	ds_write_b32 v103, v1 offset:1664
.LBB14_25:                              ;   in Loop: Header=BB14_14 Depth=1
	s_or_b64 exec, exec, s[10:11]
	v_add_u32_e32 v1, s2, v104
	v_cmp_le_i32_e32 vcc, s36, v1
	s_or_b64 s[10:11], vcc, s[14:15]
	s_and_saveexec_b64 s[76:77], s[10:11]
	s_xor_b64 s[10:11], exec, s[76:77]
	s_cbranch_execz .LBB14_27
; %bb.26:                               ;   in Loop: Header=BB14_14 Depth=1
	ds_write_b32 v103, v160 offset:3328
                                        ; implicit-def: $vgpr1
.LBB14_27:                              ;   in Loop: Header=BB14_14 Depth=1
	s_andn2_saveexec_b64 s[10:11], s[10:11]
	s_cbranch_execz .LBB14_29
; %bb.28:                               ;   in Loop: Header=BB14_14 Depth=1
	v_mad_u64_u32 v[2:3], s[76:77], v1, s57, v[44:45]
	v_ashrrev_i32_e32 v3, 31, v2
	v_lshlrev_b64 v[2:3], 3, v[2:3]
	v_mov_b32_e32 v1, s42
	v_add_co_u32_e32 v2, vcc, s94, v2
	v_addc_co_u32_e32 v3, vcc, v1, v3, vcc
	global_load_dwordx2 v[2:3], v[2:3], off
	s_waitcnt vmcnt(0)
	v_cvt_f16_f32_e32 v1, v2
	v_cvt_f16_f32_e32 v2, v3
	v_pack_b32_f16 v1, v1, v2
	v_pk_mul_f16 v1, v35, v1
	ds_write_b32 v103, v1 offset:3328
.LBB14_29:                              ;   in Loop: Header=BB14_14 Depth=1
	;; [unrolled: 28-line block ×3, first 2 shown]
	s_or_b64 exec, exec, s[10:11]
	v_or_b32_e32 v1, s87, v34
	v_cmp_gt_i32_e64 s[10:11], s33, v1
	v_add_u32_e32 v1, s2, v106
	s_xor_b64 s[14:15], s[10:11], -1
	v_cmp_le_i32_e32 vcc, s36, v1
	s_or_b64 s[76:77], vcc, s[14:15]
	s_and_saveexec_b64 s[80:81], s[76:77]
	s_xor_b64 s[76:77], exec, s[80:81]
	s_cbranch_execz .LBB14_35
; %bb.34:                               ;   in Loop: Header=BB14_14 Depth=1
	ds_write_b32 v107, v160 offset:128
                                        ; implicit-def: $vgpr1
.LBB14_35:                              ;   in Loop: Header=BB14_14 Depth=1
	s_andn2_saveexec_b64 s[76:77], s[76:77]
	s_cbranch_execz .LBB14_37
; %bb.36:                               ;   in Loop: Header=BB14_14 Depth=1
	v_mad_u64_u32 v[2:3], s[80:81], v1, s57, v[36:37]
	v_ashrrev_i32_e32 v3, 31, v2
	v_lshlrev_b64 v[2:3], 3, v[2:3]
	v_mov_b32_e32 v1, s42
	v_add_co_u32_e32 v2, vcc, s94, v2
	v_addc_co_u32_e32 v3, vcc, v1, v3, vcc
	global_load_dwordx2 v[2:3], v[2:3], off
	s_waitcnt vmcnt(0)
	v_cvt_f16_f32_e32 v1, v2
	v_cvt_f16_f32_e32 v2, v3
	v_pack_b32_f16 v1, v1, v2
	v_pk_mul_f16 v1, v35, v1
	ds_write_b32 v107, v1 offset:128
.LBB14_37:                              ;   in Loop: Header=BB14_14 Depth=1
	s_or_b64 exec, exec, s[76:77]
	v_add_u32_e32 v1, s2, v108
	v_cmp_le_i32_e32 vcc, s36, v1
	s_or_b64 s[14:15], vcc, s[14:15]
	s_and_saveexec_b64 s[76:77], s[14:15]
	s_xor_b64 s[14:15], exec, s[76:77]
	s_cbranch_execz .LBB14_39
; %bb.38:                               ;   in Loop: Header=BB14_14 Depth=1
	ds_write_b32 v107, v160 offset:3456
                                        ; implicit-def: $vgpr1
.LBB14_39:                              ;   in Loop: Header=BB14_14 Depth=1
	s_andn2_saveexec_b64 s[14:15], s[14:15]
	s_cbranch_execz .LBB14_41
; %bb.40:                               ;   in Loop: Header=BB14_14 Depth=1
	v_mad_u64_u32 v[2:3], s[76:77], v1, s57, v[36:37]
	v_ashrrev_i32_e32 v3, 31, v2
	v_lshlrev_b64 v[2:3], 3, v[2:3]
	v_mov_b32_e32 v1, s42
	v_add_co_u32_e32 v2, vcc, s94, v2
	v_addc_co_u32_e32 v3, vcc, v1, v3, vcc
	global_load_dwordx2 v[2:3], v[2:3], off
	s_waitcnt vmcnt(0)
	v_cvt_f16_f32_e32 v1, v2
	v_cvt_f16_f32_e32 v2, v3
	v_pack_b32_f16 v1, v1, v2
	v_pk_mul_f16 v1, v35, v1
	ds_write_b32 v107, v1 offset:3456
.LBB14_41:                              ;   in Loop: Header=BB14_14 Depth=1
	s_or_b64 exec, exec, s[14:15]
	s_waitcnt lgkmcnt(0)
	s_barrier
	ds_read2_b64 v[10:13], v96 offset1:4
	ds_read2_b64 v[6:9], v96 offset0:8 offset1:12
	ds_read2_b64 v[2:5], v96 offset0:16 offset1:20
	s_add_i32 s3, s67, -1
	v_add_u32_e32 v175, s2, v101
	v_add_u32_e32 v58, s2, v162
	s_cmp_gt_i32 s3, s78
	v_mul_hi_u32 v176, s44, v175
	v_mul_hi_u32 v59, s44, v58
	s_waitcnt lgkmcnt(0)
	s_barrier
	s_cbranch_scc1 .LBB14_44
; %bb.42:                               ;   in Loop: Header=BB14_14 Depth=1
	v_add_u32_e32 v1, v175, v176
	v_lshrrev_b32_e32 v1, s45, v1
	v_mul_lo_u32 v1, v1, s36
	v_sub_u32_e32 v1, v175, v1
	v_mad_i64_i32 v[52:53], s[14:15], v1, s46, 0
	v_add_u32_e32 v1, v58, v59
	v_lshrrev_b32_e32 v1, s45, v1
	v_mul_lo_u32 v1, v1, s36
	v_sub_u32_e32 v1, v58, v1
	v_mad_i64_i32 v[54:55], s[14:15], v1, s46, 0
	v_and_b32_e32 v1, 64, v173
	s_mov_b32 s76, 0
	v_add_u32_e32 v15, 64, v1
	v_xor_b32_e32 v60, 32, v173
	v_xor_b32_e32 v49, 16, v173
	s_mov_b64 s[14:15], 0
	s_mov_b32 s77, 0xfeffffff
	s_branch .LBB14_45
.LBB14_43:                              ;   in Loop: Header=BB14_14 Depth=1
	s_cbranch_execz .LBB14_13
	s_branch .LBB14_116
.LBB14_44:                              ;   in Loop: Header=BB14_14 Depth=1
	s_mov_b64 s[14:15], -1
                                        ; implicit-def: $sgpr76
                                        ; implicit-def: $sgpr77
                                        ; implicit-def: $vgpr52_vgpr53
                                        ; implicit-def: $vgpr54_vgpr55
                                        ; implicit-def: $vgpr15
                                        ; implicit-def: $vgpr60
                                        ; implicit-def: $vgpr49
.LBB14_45:                              ;   in Loop: Header=BB14_14 Depth=1
	s_andn2_b64 vcc, exec, s[14:15]
	v_mov_b32_e32 v56, s76
	v_mov_b32_e32 v1, s76
	;; [unrolled: 1-line block ×15, first 2 shown]
	s_cbranch_vccnz .LBB14_48
; %bb.46:                               ;   in Loop: Header=BB14_14 Depth=1
	v_lshlrev_b32_e32 v1, 1, v22
	v_add_co_u32_e32 v73, vcc, v48, v1
	v_add_u32_e32 v1, v175, v176
	v_lshrrev_b32_e32 v1, s45, v1
	v_mul_lo_u32 v1, v1, s36
	v_sub_u32_e32 v1, v175, v1
	v_mad_i64_i32 v[52:53], s[14:15], v1, s46, 0
	v_add_u32_e32 v1, v58, v59
	v_lshrrev_b32_e32 v1, s45, v1
	v_mul_lo_u32 v1, v1, s36
	v_sub_u32_e32 v1, v58, v1
	v_mbcnt_hi_u32_b32 v61, -1, v172
	v_mad_i64_i32 v[54:55], s[14:15], v1, s46, 0
	v_and_b32_e32 v1, 64, v61
	v_addc_co_u32_e32 v74, vcc, 0, v45, vcc
	v_add_u32_e32 v15, 64, v1
	v_xor_b32_e32 v60, 32, v61
	v_cmp_lt_i32_e32 vcc, v60, v15
	v_xor_b32_e32 v49, 16, v61
	v_cndmask_b32_e32 v1, v61, v60, vcc
	v_cmp_lt_i32_e32 vcc, v49, v15
	v_lshlrev_b32_e32 v175, 2, v1
	v_cndmask_b32_e32 v1, v61, v49, vcc
	v_mov_b32_e32 v72, 0
	v_lshlrev_b32_e32 v176, 2, v1
	s_lshl_b32 s14, s78, 6
	v_mov_b32_e32 v1, 0
	v_mov_b32_e32 v50, 0xfeffffff
	;; [unrolled: 1-line block ×13, first 2 shown]
.LBB14_47:                              ;   Parent Loop BB14_14 Depth=1
                                        ; =>  This Inner Loop Header: Depth=2
	s_ashr_i32 s15, s14, 31
	s_lshl_b64 s[76:77], s[14:15], 1
	v_mov_b32_e32 v179, v50
	v_mov_b32_e32 v192, v1
	v_add_co_u32_e32 v1, vcc, s76, v73
	v_mov_b32_e32 v50, s77
	v_addc_co_u32_e32 v50, vcc, v74, v50, vcc
	v_lshlrev_b64 v[58:59], 1, v[52:53]
	v_add_co_u32_e32 v58, vcc, v1, v58
	v_addc_co_u32_e32 v59, vcc, v50, v59, vcc
	global_load_dword v58, v[58:59], off
	v_add_u32_e32 v180, v102, v161
	s_mul_hi_i32 s77, s14, s38
	s_mul_i32 s76, s14, s38
	s_lshl_b64 s[76:77], s[76:77], 2
	s_add_u32 s15, s65, s76
	s_addc_u32 s76, s66, s77
	s_mul_hi_i32 s77, s14, s34
	s_waitcnt vmcnt(0)
	ds_write_b32 v180, v58 offset:13312
	v_lshlrev_b64 v[58:59], 1, v[54:55]
	v_add_co_u32_e32 v58, vcc, v1, v58
	v_addc_co_u32_e32 v59, vcc, v50, v59, vcc
	global_load_dword v1, v[58:59], off
	v_mov_b32_e32 v50, s76
	s_waitcnt vmcnt(0)
	ds_write_b32 v180, v1 offset:14464
	v_add_co_u32_e32 v1, vcc, s15, v20
	v_addc_co_u32_e32 v50, vcc, v50, v21, vcc
	v_add_co_u32_e32 v58, vcc, v1, v94
	v_addc_co_u32_e32 v59, vcc, 0, v50, vcc
	global_load_dwordx4 v[180:183], v[58:59], off offset:128
	v_add_co_u32_e32 v1, vcc, s15, v30
	v_mov_b32_e32 v50, s76
	v_addc_co_u32_e32 v50, vcc, v50, v31, vcc
	v_add_co_u32_e32 v58, vcc, v1, v95
	v_addc_co_u32_e32 v59, vcc, 0, v50, vcc
	v_add_co_u32_e32 v1, vcc, s15, v32
	v_mov_b32_e32 v50, s76
	v_addc_co_u32_e32 v50, vcc, v50, v33, vcc
	s_mul_i32 s76, s14, s34
	s_lshl_b64 s[76:77], s[76:77], 2
	s_add_u32 s15, s84, s76
	s_addc_u32 s76, s64, s77
	s_add_i32 s78, s78, 1
	s_add_i32 s14, s14, 64
	s_cmp_lt_i32 s78, s3
	s_waitcnt vmcnt(0)
	ds_write_b128 v41, v[180:183]
	global_load_dwordx4 v[180:183], v[58:59], off
	v_add_co_u32_e32 v58, vcc, v1, v95
	v_addc_co_u32_e32 v59, vcc, 0, v50, vcc
	v_add_u32_e32 v1, v39, v97
	s_waitcnt vmcnt(0)
	ds_write_b128 v43, v[180:183]
	global_load_dwordx4 v[180:183], v[58:59], off
	s_waitcnt vmcnt(0)
	ds_write_b128 v163, v[180:183]
	s_waitcnt lgkmcnt(0)
	s_barrier
	ds_read2_b64 v[180:183], v1 offset1:4
	s_waitcnt lgkmcnt(0)
	v_mfma_f32_16x16x16f16 v[184:187], v[180:181], v[10:11], 0
	v_mfma_f32_16x16x16f16 v[180:183], v[182:183], v[12:13], v[184:187]
	s_nop 7
	s_nop 1
	ds_read2_b64 v[184:187], v1 offset0:8 offset1:12
	s_waitcnt lgkmcnt(0)
	v_mfma_f32_16x16x16f16 v[180:183], v[184:185], v[6:7], v[180:183]
	v_mfma_f32_16x16x16f16 v[180:183], v[186:187], v[8:9], v[180:183]
	ds_read2_b64 v[184:187], v1 offset0:16 offset1:20
	v_add_u32_e32 v1, 0x1800, v1
	s_waitcnt lgkmcnt(0)
	v_mfma_f32_16x16x16f16 v[180:183], v[184:185], v[2:3], v[180:183]
	v_mfma_f32_16x16x16f16 v[180:183], v[186:187], v[4:5], v[180:183]
	ds_read2_b64 v[184:187], v1 offset0:64 offset1:68
	s_waitcnt lgkmcnt(0)
	v_mfma_f32_16x16x16f16 v[188:191], v[184:185], v[10:11], 0
	v_mfma_f32_16x16x16f16 v[184:187], v[186:187], v[12:13], v[188:191]
	s_nop 7
	s_nop 1
	ds_read2_b64 v[188:191], v1 offset0:72 offset1:76
	s_waitcnt lgkmcnt(0)
	v_mfma_f32_16x16x16f16 v[184:187], v[188:189], v[6:7], v[184:187]
	v_mfma_f32_16x16x16f16 v[184:187], v[190:191], v[8:9], v[184:187]
	ds_read2_b64 v[188:191], v1 offset0:80 offset1:84
	v_add_u32_e32 v1, 0x3400, v47
	s_waitcnt lgkmcnt(0)
	s_barrier
	ds_read2_b32 v[58:59], v1 offset1:1
	ds_read_b32 v1, v98 offset:13312
	ds_read_b32 v50, v99 offset:13312
	v_mfma_f32_16x16x16f16 v[184:187], v[188:189], v[2:3], v[184:187]
	s_waitcnt lgkmcnt(2)
	v_cvt_f32_f16_e32 v188, v58
	v_cvt_f32_f16_sdwa v189, v58 dst_sel:DWORD dst_unused:UNUSED_PAD src0_sel:WORD_1
	v_pk_add_f32 v[180:181], v[180:181], v[188:189]
	v_add_f32_e32 v58, 0x40051340, v180
	v_mfma_f32_16x16x16f16 v[184:187], v[190:191], v[4:5], v[184:187]
	v_add_f32_e32 v188, 0x40051340, v181
	v_max3_f32 v190, v179, v58, v188
	s_waitcnt lgkmcnt(0)
	v_cvt_f32_f16_sdwa v189, v50 dst_sel:DWORD dst_unused:UNUSED_PAD src0_sel:WORD_1
	v_cvt_f32_f16_e32 v188, v50
	v_cvt_f32_f16_e32 v58, v59
	v_cvt_f32_f16_sdwa v59, v59 dst_sel:DWORD dst_unused:UNUSED_PAD src0_sel:WORD_1
	s_nop 3
	v_pk_add_f32 v[186:187], v[186:187], v[188:189]
	v_cvt_f32_f16_sdwa v189, v1 dst_sel:DWORD dst_unused:UNUSED_PAD src0_sel:WORD_1
	v_cvt_f32_f16_e32 v188, v1
	v_pk_add_f32 v[58:59], v[182:183], v[58:59]
	v_add_f32_e32 v182, 0x40051340, v58
	v_add_f32_e32 v183, 0x40051340, v59
	v_pk_add_f32 v[184:185], v[184:185], v[188:189]
	v_add_f32_e32 v1, 0x40051340, v184
	v_add_f32_e32 v188, 0x40051340, v185
	v_max3_f32 v182, v190, v182, v183
	v_add_f32_e32 v50, 0x40051340, v186
	v_add_f32_e32 v191, 0x40051340, v187
	v_max3_f32 v1, v182, v1, v188
	v_max3_f32 v1, v1, v50, v191
	ds_bpermute_b32 v50, v175, v1
	s_waitcnt lgkmcnt(0)
	v_max_f32_e32 v50, v50, v50
	v_max_f32_e32 v1, v1, v50
	ds_bpermute_b32 v50, v176, v1
	s_waitcnt lgkmcnt(0)
	v_max_f32_e32 v50, v50, v50
	v_max_f32_e32 v50, v1, v50
	v_pk_add_f32 v[180:181], v[180:181], v[50:51] op_sel_hi:[1,0] neg_lo:[0,1] neg_hi:[0,1]
	v_mul_f32_e32 v1, 0x3fb8aa3b, v181
	v_fma_f32 v182, v181, s47, -v1
	v_rndne_f32_e32 v183, v1
	v_fmac_f32_e32 v182, 0x32a5705f, v181
	v_sub_f32_e32 v1, v1, v183
	v_add_f32_e32 v1, v1, v182
	v_exp_f32_e32 v1, v1
	v_cvt_i32_f32_e32 v182, v183
	v_cmp_ngt_f32_e32 vcc, s69, v181
	v_pk_add_f32 v[58:59], v[58:59], v[50:51] op_sel_hi:[1,0] neg_lo:[0,1] neg_hi:[0,1]
	v_ldexp_f32 v1, v1, v182
	v_cndmask_b32_e32 v1, 0, v1, vcc
	v_cmp_nlt_f32_e32 vcc, s68, v181
	v_cndmask_b32_e32 v182, v174, v1, vcc
	v_mul_f32_e32 v1, 0x3fb8aa3b, v180
	v_fma_f32 v181, v180, s47, -v1
	v_rndne_f32_e32 v183, v1
	v_fmac_f32_e32 v181, 0x32a5705f, v180
	v_sub_f32_e32 v1, v1, v183
	v_add_f32_e32 v1, v1, v181
	v_exp_f32_e32 v1, v1
	v_cvt_i32_f32_e32 v181, v183
	v_cmp_ngt_f32_e32 vcc, s69, v180
	v_ldexp_f32 v1, v1, v181
	v_cndmask_b32_e32 v1, 0, v1, vcc
	v_cmp_nlt_f32_e32 vcc, s68, v180
	v_cndmask_b32_e32 v183, v174, v1, vcc
	v_mul_f32_e32 v1, 0x3fb8aa3b, v59
	v_fma_f32 v180, v59, s47, -v1
	v_rndne_f32_e32 v181, v1
	v_fmac_f32_e32 v180, 0x32a5705f, v59
	v_sub_f32_e32 v1, v1, v181
	v_add_f32_e32 v1, v1, v180
	v_exp_f32_e32 v1, v1
	v_cvt_i32_f32_e32 v180, v181
	v_cmp_ngt_f32_e32 vcc, s69, v59
	;; [unrolled: 13-line block ×3, first 2 shown]
	v_ldexp_f32 v1, v1, v59
	v_cndmask_b32_e32 v1, 0, v1, vcc
	v_cmp_nlt_f32_e32 vcc, s68, v58
	v_pk_add_f32 v[58:59], v[184:185], v[50:51] op_sel_hi:[1,0] neg_lo:[0,1] neg_hi:[0,1]
	v_cndmask_b32_e32 v189, v174, v1, vcc
	v_mul_f32_e32 v1, 0x3fb8aa3b, v59
	v_fma_f32 v180, v59, s47, -v1
	v_rndne_f32_e32 v181, v1
	v_fmac_f32_e32 v180, 0x32a5705f, v59
	v_sub_f32_e32 v1, v1, v181
	v_add_f32_e32 v1, v1, v180
	v_exp_f32_e32 v1, v1
	v_cvt_i32_f32_e32 v180, v181
	v_cmp_ngt_f32_e32 vcc, s69, v59
	v_ldexp_f32 v1, v1, v180
	v_cndmask_b32_e32 v1, 0, v1, vcc
	v_cmp_nlt_f32_e32 vcc, s68, v59
	v_cndmask_b32_e32 v184, v174, v1, vcc
	v_mul_f32_e32 v1, 0x3fb8aa3b, v58
	v_fma_f32 v59, v58, s47, -v1
	v_rndne_f32_e32 v180, v1
	v_fmac_f32_e32 v59, 0x32a5705f, v58
	v_sub_f32_e32 v1, v1, v180
	v_add_f32_e32 v1, v1, v59
	v_exp_f32_e32 v1, v1
	v_cvt_i32_f32_e32 v59, v180
	v_cmp_ngt_f32_e32 vcc, s69, v58
	v_ldexp_f32 v1, v1, v59
	v_cndmask_b32_e32 v1, 0, v1, vcc
	v_cmp_nlt_f32_e32 vcc, s68, v58
	v_pk_add_f32 v[58:59], v[186:187], v[50:51] op_sel_hi:[1,0] neg_lo:[0,1] neg_hi:[0,1]
	v_cndmask_b32_e32 v185, v174, v1, vcc
	v_mul_f32_e32 v1, 0x3fb8aa3b, v59
	v_fma_f32 v180, v59, s47, -v1
	v_rndne_f32_e32 v181, v1
	v_fmac_f32_e32 v180, 0x32a5705f, v59
	v_sub_f32_e32 v1, v1, v181
	v_add_f32_e32 v1, v1, v180
	v_exp_f32_e32 v1, v1
	v_cvt_i32_f32_e32 v180, v181
	v_cmp_ngt_f32_e32 vcc, s69, v59
	v_ldexp_f32 v1, v1, v180
	v_cndmask_b32_e32 v1, 0, v1, vcc
	v_cmp_nlt_f32_e32 vcc, s68, v59
	v_cndmask_b32_e32 v186, v174, v1, vcc
	v_mul_f32_e32 v1, 0x3fb8aa3b, v58
	v_fma_f32 v59, v58, s47, -v1
	v_rndne_f32_e32 v180, v1
	v_fmac_f32_e32 v59, 0x32a5705f, v58
	v_sub_f32_e32 v1, v1, v180
	v_add_f32_e32 v1, v1, v59
	v_exp_f32_e32 v1, v1
	v_cvt_i32_f32_e32 v59, v180
	v_cmp_ngt_f32_e32 vcc, s69, v58
	v_ldexp_f32 v1, v1, v59
	v_cndmask_b32_e32 v1, 0, v1, vcc
	v_cmp_nlt_f32_e32 vcc, s68, v58
	v_sub_f32_e32 v58, v179, v50
	v_mul_f32_e32 v59, 0x3fb8aa3b, v58
	v_fma_f32 v179, v58, s47, -v59
	v_rndne_f32_e32 v180, v59
	v_fmac_f32_e32 v179, 0x32a5705f, v58
	v_sub_f32_e32 v59, v59, v180
	v_add_f32_e32 v59, v59, v179
	v_exp_f32_e32 v59, v59
	v_cvt_i32_f32_e32 v179, v180
	v_cndmask_b32_e32 v187, v174, v1, vcc
	v_add_f32_e32 v1, v183, v182
	v_add_f32_e32 v1, v189, v1
	;; [unrolled: 1-line block ×4, first 2 shown]
	v_ldexp_f32 v59, v59, v179
	v_cmp_ngt_f32_e32 vcc, s69, v58
	v_add_f32_e32 v1, v184, v1
	v_cndmask_b32_e32 v59, 0, v59, vcc
	v_cmp_nlt_f32_e32 vcc, s68, v58
	v_add_f32_e32 v1, v187, v1
	v_cndmask_b32_e32 v59, v174, v59, vcc
	v_cmp_le_f32_e32 vcc, s53, v58
	v_add_f32_e32 v1, v186, v1
	v_cndmask_b32_e32 v58, 0, v59, vcc
	v_fmac_f32_e32 v1, v192, v58
	v_cvt_f16_f32_e32 v58, v58
	v_pk_mul_f16 v180, v58, v57 op_sel_hi:[0,1]
	v_pk_mul_f16 v179, v58, v56 op_sel_hi:[0,1]
	v_cvt_f16_f32_e32 v56, v183
	v_cvt_f16_f32_e32 v57, v182
	v_pk_mul_f16 v64, v58, v64 op_sel_hi:[0,1]
	v_pk_mul_f16 v62, v58, v62 op_sel_hi:[0,1]
	;; [unrolled: 1-line block ×10, first 2 shown]
	v_pack_b32_f16 v58, v56, v57
	v_cvt_f16_f32_e32 v56, v188
	v_cvt_f16_f32_e32 v57, v189
	;; [unrolled: 1-line block ×3, first 2 shown]
	v_mov_b32_e32 v182, s76
	v_pack_b32_f16 v59, v57, v56
	v_cvt_f16_f32_e32 v56, v184
	v_cvt_f16_f32_e32 v57, v185
	v_pack_b32_f16 v56, v57, v56
	v_cvt_f16_f32_e32 v57, v186
	v_pack_b32_f16 v57, v75, v57
	v_add_co_u32_e32 v75, vcc, s15, v18
	v_addc_co_u32_e32 v183, vcc, v182, v19, vcc
	v_add_co_u32_e32 v182, vcc, v75, v94
	v_addc_co_u32_e32 v183, vcc, 0, v183, vcc
	global_load_dwordx4 v[182:185], v[182:183], off offset:128
	v_add_co_u32_e32 v75, vcc, s15, v26
	s_waitcnt vmcnt(0)
	ds_write_b128 v41, v[182:185]
	v_mov_b32_e32 v182, s76
	v_addc_co_u32_e32 v183, vcc, v182, v27, vcc
	v_add_co_u32_e32 v182, vcc, v75, v95
	v_addc_co_u32_e32 v183, vcc, 0, v183, vcc
	global_load_dwordx4 v[182:185], v[182:183], off
	v_add_co_u32_e32 v75, vcc, s15, v28
	s_waitcnt vmcnt(0)
	ds_write_b128 v43, v[182:185]
	v_mov_b32_e32 v182, s76
	v_addc_co_u32_e32 v183, vcc, v182, v29, vcc
	v_add_co_u32_e32 v182, vcc, v75, v95
	v_addc_co_u32_e32 v183, vcc, 0, v183, vcc
	global_load_dwordx4 v[182:185], v[182:183], off
	s_waitcnt vmcnt(0)
	ds_write_b128 v163, v[182:185]
	s_waitcnt lgkmcnt(0)
	s_barrier
	ds_read_u16 v75, v76 offset:208
	ds_read_u16 v186, v76 offset:416
	v_cvt_f32_f16_e32 v184, v62
	v_cvt_f32_f16_sdwa v185, v62 dst_sel:DWORD dst_unused:UNUSED_PAD src0_sel:WORD_1
	ds_read_u16 v62, v77
	ds_read_u16 v188, v77 offset:32
	v_cvt_f32_f16_e32 v182, v64
	v_cvt_f32_f16_sdwa v183, v64 dst_sel:DWORD dst_unused:UNUSED_PAD src0_sel:WORD_1
	s_waitcnt lgkmcnt(1)
	v_perm_b32 v187, v62, v186, s12
	ds_read_u16 v62, v71
	ds_read_u16 v189, v71 offset:32
	s_waitcnt lgkmcnt(1)
	v_perm_b32 v186, v75, v62, s12
	s_nop 1
	v_mfma_f32_16x16x16f16 v[182:185], v[186:187], v[58:59], v[182:185]
	ds_read_u16 v186, v71 offset:6656
	ds_read_u16 v190, v164 offset:208
	;; [unrolled: 1-line block ×4, first 2 shown]
	s_waitcnt lgkmcnt(2)
	v_perm_b32 v186, v190, v186, s12
	s_waitcnt lgkmcnt(0)
	v_perm_b32 v187, v191, v187, s12
	s_nop 2
	v_cvt_f16_f32_e32 v62, v182
	v_cvt_f16_f32_e32 v64, v183
	v_cvt_f16_f32_e32 v75, v184
	v_cvt_f16_f32_e32 v185, v185
	v_cvt_f32_f16_e32 v182, v62
	v_cvt_f32_f16_e32 v183, v64
	;; [unrolled: 1-line block ×4, first 2 shown]
	s_nop 1
	v_mfma_f32_16x16x16f16 v[182:185], v[186:187], v[56:57], v[182:185]
	s_nop 7
	s_nop 2
	v_cvt_f16_f32_e32 v62, v182
	v_cvt_f16_f32_e32 v64, v183
	;; [unrolled: 1-line block ×4, first 2 shown]
	v_cvt_f32_f16_sdwa v183, v67 dst_sel:DWORD dst_unused:UNUSED_PAD src0_sel:WORD_1
	v_pack_b32_f16 v64, v62, v64
	v_cvt_f32_f16_e32 v184, v66
	v_pack_b32_f16 v62, v75, v182
	ds_read_u16 v75, v165 offset:208
	ds_read_u16 v186, v165 offset:416
	v_cvt_f32_f16_e32 v182, v67
	v_cvt_f32_f16_sdwa v185, v66 dst_sel:DWORD dst_unused:UNUSED_PAD src0_sel:WORD_1
	s_waitcnt lgkmcnt(1)
	v_perm_b32 v66, v75, v189, s12
	s_waitcnt lgkmcnt(0)
	v_perm_b32 v67, v188, v186, s12
	ds_read_u16 v186, v78 offset:6656
	ds_read_u16 v187, v79 offset:208
	;; [unrolled: 1-line block ×4, first 2 shown]
	v_mfma_f32_16x16x16f16 v[182:185], v[66:67], v[58:59], v[182:185]
	s_nop 7
	s_nop 2
	v_cvt_f16_f32_e32 v66, v182
	v_cvt_f16_f32_e32 v67, v183
	;; [unrolled: 1-line block ×4, first 2 shown]
	v_cvt_f32_f16_e32 v182, v66
	v_cvt_f32_f16_e32 v183, v67
	s_waitcnt lgkmcnt(0)
	v_perm_b32 v67, v189, v188, s12
	v_perm_b32 v66, v187, v186, s12
	v_cvt_f32_f16_e32 v184, v75
	v_cvt_f32_f16_e32 v185, v185
	s_nop 1
	v_mfma_f32_16x16x16f16 v[182:185], v[66:67], v[56:57], v[182:185]
	s_nop 7
	s_nop 2
	v_cvt_f16_f32_e32 v66, v182
	v_cvt_f16_f32_e32 v67, v183
	v_cvt_f16_f32_e32 v75, v184
	v_cvt_f16_f32_e32 v182, v185
	v_cvt_f32_f16_sdwa v183, v70 dst_sel:DWORD dst_unused:UNUSED_PAD src0_sel:WORD_1
	v_pack_b32_f16 v67, v66, v67
	v_cvt_f32_f16_e32 v184, v68
	v_pack_b32_f16 v66, v75, v182
	ds_read_u16 v75, v71 offset:64
	ds_read_u16 v186, v166 offset:208
	ds_read_u16 v187, v166 offset:416
	ds_read_u16 v188, v77 offset:64
	v_cvt_f32_f16_e32 v182, v70
	v_cvt_f32_f16_sdwa v185, v68 dst_sel:DWORD dst_unused:UNUSED_PAD src0_sel:WORD_1
	s_waitcnt lgkmcnt(2)
	v_perm_b32 v186, v186, v75, s12
	s_waitcnt lgkmcnt(0)
	v_perm_b32 v187, v188, v187, s12
	s_nop 1
	v_mfma_f32_16x16x16f16 v[182:185], v[186:187], v[58:59], v[182:185]
	ds_read_u16 v186, v81 offset:6656
	ds_read_u16 v188, v82 offset:208
	ds_read_u16 v187, v82 offset:416
	ds_read_u16 v189, v83 offset:6656
	s_waitcnt lgkmcnt(2)
	v_perm_b32 v186, v188, v186, s12
	s_waitcnt lgkmcnt(0)
	v_perm_b32 v187, v189, v187, s12
	s_nop 2
	v_cvt_f16_f32_e32 v68, v182
	v_cvt_f16_f32_e32 v70, v183
	v_cvt_f16_f32_e32 v75, v184
	v_cvt_f16_f32_e32 v185, v185
	v_cvt_f32_f16_e32 v182, v68
	v_cvt_f32_f16_e32 v183, v70
	v_cvt_f32_f16_e32 v184, v75
	v_cvt_f32_f16_e32 v185, v185
	s_nop 1
	v_mfma_f32_16x16x16f16 v[182:185], v[186:187], v[56:57], v[182:185]
	s_nop 7
	s_nop 2
	v_cvt_f16_f32_e32 v68, v182
	v_cvt_f16_f32_e32 v70, v183
	v_cvt_f16_f32_e32 v75, v184
	v_cvt_f16_f32_e32 v182, v185
	v_cvt_f32_f16_sdwa v183, v181 dst_sel:DWORD dst_unused:UNUSED_PAD src0_sel:WORD_1
	v_pack_b32_f16 v70, v68, v70
	v_cvt_f32_f16_e32 v184, v72
	v_pack_b32_f16 v68, v75, v182
	ds_read_u16 v75, v71 offset:96
	ds_read_u16 v186, v167 offset:208
	ds_read_u16 v187, v167 offset:416
	ds_read_u16 v188, v77 offset:96
	v_cvt_f32_f16_e32 v182, v181
	v_cvt_f32_f16_sdwa v185, v72 dst_sel:DWORD dst_unused:UNUSED_PAD src0_sel:WORD_1
	s_waitcnt lgkmcnt(2)
	v_perm_b32 v186, v186, v75, s12
	s_waitcnt lgkmcnt(0)
	v_perm_b32 v187, v188, v187, s12
	s_nop 1
	v_mfma_f32_16x16x16f16 v[182:185], v[186:187], v[58:59], v[182:185]
	ds_read_u16 v186, v84 offset:6656
	ds_read_u16 v188, v85 offset:208
	ds_read_u16 v187, v85 offset:416
	ds_read_u16 v189, v86 offset:6656
	s_waitcnt lgkmcnt(2)
	v_perm_b32 v186, v188, v186, s12
	s_waitcnt lgkmcnt(0)
	v_perm_b32 v187, v189, v187, s12
	s_nop 2
	v_cvt_f16_f32_e32 v72, v182
	v_cvt_f16_f32_e32 v75, v183
	v_cvt_f16_f32_e32 v181, v184
	v_cvt_f16_f32_e32 v185, v185
	v_cvt_f32_f16_e32 v182, v72
	v_cvt_f32_f16_e32 v183, v75
	;; [unrolled: 41-line block ×3, first 2 shown]
	v_cvt_f32_f16_e32 v184, v181
	v_cvt_f32_f16_e32 v185, v185
	s_nop 1
	v_mfma_f32_16x16x16f16 v[182:185], v[186:187], v[56:57], v[182:185]
	s_nop 7
	s_nop 2
	v_cvt_f16_f32_e32 v177, v182
	v_cvt_f16_f32_e32 v178, v183
	;; [unrolled: 1-line block ×4, first 2 shown]
	v_cvt_f32_f16_sdwa v183, v180 dst_sel:DWORD dst_unused:UNUSED_PAD src0_sel:WORD_1
	v_pack_b32_f16 v178, v177, v178
	v_cvt_f32_f16_e32 v184, v179
	v_pack_b32_f16 v177, v181, v182
	ds_read_u16 v186, v71 offset:160
	ds_read_u16 v187, v169 offset:208
	;; [unrolled: 1-line block ×4, first 2 shown]
	v_cvt_f32_f16_e32 v182, v180
	v_cvt_f32_f16_sdwa v185, v179 dst_sel:DWORD dst_unused:UNUSED_PAD src0_sel:WORD_1
	s_waitcnt lgkmcnt(2)
	v_perm_b32 v180, v187, v186, s12
	s_waitcnt lgkmcnt(0)
	v_perm_b32 v181, v188, v181, s12
	s_nop 1
	v_mfma_f32_16x16x16f16 v[180:183], v[180:181], v[58:59], v[182:185]
	s_nop 6
	ds_read_u16 v184, v90 offset:6656
	ds_read_u16 v185, v91 offset:208
	;; [unrolled: 1-line block ×4, first 2 shown]
	s_waitcnt lgkmcnt(0)
	s_barrier
	v_cvt_f16_f32_e32 v58, v180
	v_cvt_f16_f32_e32 v59, v181
	;; [unrolled: 1-line block ×4, first 2 shown]
	v_cvt_f32_f16_e32 v180, v58
	v_cvt_f32_f16_e32 v181, v59
	v_perm_b32 v59, v187, v186, s12
	v_perm_b32 v58, v185, v184, s12
	v_cvt_f32_f16_e32 v182, v179
	v_cvt_f32_f16_e32 v183, v183
	s_nop 1
	v_mfma_f32_16x16x16f16 v[56:59], v[58:59], v[56:57], v[180:183]
	s_nop 7
	s_nop 2
	v_cvt_f16_f32_e32 v56, v56
	v_cvt_f16_f32_e32 v57, v57
	;; [unrolled: 1-line block ×4, first 2 shown]
	v_pack_b32_f16 v57, v56, v57
	v_pack_b32_f16 v56, v58, v59
	s_cbranch_scc1 .LBB14_47
.LBB14_48:                              ;   in Loop: Header=BB14_14 Depth=1
	s_lshl_b32 s14, s78, 6
	s_ashr_i32 s15, s14, 31
	s_lshl_b64 s[76:77], s[14:15], 1
	v_add_co_u32_e32 v58, vcc, s76, v48
	v_mov_b32_e32 v59, s77
	v_addc_co_u32_e32 v59, vcc, v45, v59, vcc
	v_lshlrev_b32_e32 v73, 1, v22
	v_add_co_u32_e32 v58, vcc, v58, v73
	v_addc_co_u32_e32 v59, vcc, 0, v59, vcc
	v_lshlrev_b64 v[52:53], 1, v[52:53]
	v_add_co_u32_e32 v52, vcc, v58, v52
	v_addc_co_u32_e32 v53, vcc, v59, v53, vcc
	global_load_dword v52, v[52:53], off
	v_add_u32_e32 v73, v102, v161
	s_mul_hi_i32 s77, s38, s14
	s_mul_i32 s76, s38, s14
	s_lshl_b64 s[76:77], s[76:77], 2
	s_add_u32 s3, s65, s76
	s_addc_u32 s15, s66, s77
	s_waitcnt vmcnt(0)
	ds_write_b32 v73, v52 offset:13312
	v_lshlrev_b64 v[52:53], 1, v[54:55]
	v_add_co_u32_e32 v52, vcc, v58, v52
	v_addc_co_u32_e32 v53, vcc, v59, v53, vcc
	global_load_dword v52, v[52:53], off
	v_mov_b32_e32 v53, s15
	v_add_u32_e32 v58, v39, v97
	s_waitcnt vmcnt(0)
	ds_write_b32 v73, v52 offset:14464
	v_add_co_u32_e32 v52, vcc, s3, v20
	v_addc_co_u32_e32 v53, vcc, v53, v21, vcc
	v_add_co_u32_e32 v52, vcc, v52, v94
	v_addc_co_u32_e32 v53, vcc, 0, v53, vcc
	global_load_dwordx4 v[52:55], v[52:53], off offset:128
	s_waitcnt vmcnt(0)
	ds_write_b128 v41, v[52:55]
	v_add_co_u32_e32 v52, vcc, s3, v30
	v_mov_b32_e32 v53, s15
	v_addc_co_u32_e32 v53, vcc, v53, v31, vcc
	v_add_co_u32_e32 v52, vcc, v52, v95
	v_addc_co_u32_e32 v53, vcc, 0, v53, vcc
	global_load_dwordx4 v[52:55], v[52:53], off
	s_waitcnt vmcnt(0)
	ds_write_b128 v43, v[52:55]
	v_add_co_u32_e32 v52, vcc, s3, v32
	v_mov_b32_e32 v53, s15
	v_addc_co_u32_e32 v53, vcc, v53, v33, vcc
	v_add_co_u32_e32 v52, vcc, v52, v95
	v_addc_co_u32_e32 v53, vcc, 0, v53, vcc
	global_load_dwordx4 v[52:55], v[52:53], off
	v_cmp_lt_i32_e32 vcc, v60, v15
	s_mul_hi_i32 s15, s34, s14
	s_mul_i32 s14, s34, s14
	s_lshl_b64 s[14:15], s[14:15], 2
	s_add_u32 s3, s84, s14
	s_addc_u32 s14, s64, s15
	s_cmp_eq_u64 s[74:75], 0
	s_waitcnt vmcnt(0)
	ds_write_b128 v163, v[52:55]
	s_waitcnt lgkmcnt(0)
	s_barrier
	ds_read2_b64 v[52:55], v58 offset1:4
	s_waitcnt lgkmcnt(0)
	v_mfma_f32_16x16x16f16 v[180:183], v[52:53], v[10:11], 0
	v_mfma_f32_16x16x16f16 v[52:55], v[54:55], v[12:13], v[180:183]
	s_nop 7
	s_nop 1
	ds_read2_b64 v[180:183], v58 offset0:8 offset1:12
	s_waitcnt lgkmcnt(0)
	v_mfma_f32_16x16x16f16 v[52:55], v[180:181], v[6:7], v[52:55]
	v_mfma_f32_16x16x16f16 v[52:55], v[182:183], v[8:9], v[52:55]
	ds_read2_b64 v[180:183], v58 offset0:16 offset1:20
	v_add_u32_e32 v58, 0x1800, v58
	s_waitcnt lgkmcnt(0)
	v_mfma_f32_16x16x16f16 v[52:55], v[180:181], v[2:3], v[52:55]
	v_mfma_f32_16x16x16f16 v[52:55], v[182:183], v[4:5], v[52:55]
	ds_read2_b64 v[180:183], v58 offset0:64 offset1:68
	s_waitcnt lgkmcnt(0)
	v_mfma_f32_16x16x16f16 v[184:187], v[180:181], v[10:11], 0
	v_mfma_f32_16x16x16f16 v[10:13], v[182:183], v[12:13], v[184:187]
	ds_read2_b64 v[180:183], v58 offset0:72 offset1:76
	s_waitcnt lgkmcnt(0)
	v_mfma_f32_16x16x16f16 v[10:13], v[180:181], v[6:7], v[10:13]
	v_mfma_f32_16x16x16f16 v[6:9], v[182:183], v[8:9], v[10:13]
	s_nop 7
	s_nop 1
	ds_read2_b64 v[10:13], v58 offset0:80 offset1:84
	s_waitcnt lgkmcnt(0)
	v_mfma_f32_16x16x16f16 v[6:9], v[10:11], v[2:3], v[6:9]
	v_add_u32_e32 v2, 0x3400, v47
	s_barrier
	ds_read2_b32 v[10:11], v2 offset1:1
	ds_read_b32 v2, v98 offset:13312
	ds_read_b32 v58, v99 offset:13312
	v_cndmask_b32_e32 v3, v61, v60, vcc
	v_cmp_lt_i32_e32 vcc, v49, v15
	v_mfma_f32_16x16x16f16 v[6:9], v[12:13], v[4:5], v[6:9]
	v_cndmask_b32_e32 v4, v61, v49, vcc
	v_lshlrev_b32_e32 v49, 2, v4
	s_waitcnt lgkmcnt(2)
	v_cvt_f32_f16_e32 v4, v10
	v_cvt_f32_f16_sdwa v5, v10 dst_sel:DWORD dst_unused:UNUSED_PAD src0_sel:WORD_1
	v_lshlrev_b32_e32 v3, 2, v3
	v_pk_add_f32 v[12:13], v[52:53], v[4:5]
	v_add_f32_e32 v4, 0x40051340, v12
	v_add_f32_e32 v5, 0x40051340, v13
	v_max3_f32 v10, v50, v4, v5
	s_waitcnt lgkmcnt(0)
	v_cvt_f32_f16_sdwa v5, v58 dst_sel:DWORD dst_unused:UNUSED_PAD src0_sel:WORD_1
	v_cvt_f32_f16_e32 v4, v58
	v_pk_add_f32 v[4:5], v[8:9], v[4:5]
	v_cvt_f32_f16_sdwa v9, v2 dst_sel:DWORD dst_unused:UNUSED_PAD src0_sel:WORD_1
	v_cvt_f32_f16_e32 v8, v2
	v_add_f32_e32 v15, 0x40051340, v4
	v_add_f32_e32 v52, 0x40051340, v5
	v_pk_add_f32 v[6:7], v[6:7], v[8:9]
	v_cvt_f32_f16_e32 v8, v11
	v_cvt_f32_f16_sdwa v9, v11 dst_sel:DWORD dst_unused:UNUSED_PAD src0_sel:WORD_1
	v_add_f32_e32 v2, 0x40051340, v6
	v_add_f32_e32 v53, 0x40051340, v7
	v_pk_add_f32 v[8:9], v[54:55], v[8:9]
	v_add_f32_e32 v11, 0x40051340, v8
	v_add_f32_e32 v54, 0x40051340, v9
	v_max3_f32 v10, v10, v11, v54
	v_max3_f32 v2, v10, v2, v53
	;; [unrolled: 1-line block ×3, first 2 shown]
	ds_bpermute_b32 v10, v3, v2
	s_waitcnt lgkmcnt(0)
	v_max_f32_e32 v10, v10, v10
	v_max_f32_e32 v2, v2, v10
	ds_bpermute_b32 v10, v49, v2
	s_waitcnt lgkmcnt(0)
	v_max_f32_e32 v10, v10, v10
	v_max_f32_e32 v2, v2, v10
	v_pk_add_f32 v[10:11], v[12:13], v[2:3] op_sel_hi:[1,0] neg_lo:[0,1] neg_hi:[0,1]
	v_mul_f32_e32 v12, 0x3fb8aa3b, v11
	v_fma_f32 v13, v11, s47, -v12
	v_rndne_f32_e32 v15, v12
	v_fmac_f32_e32 v13, 0x32a5705f, v11
	v_sub_f32_e32 v12, v12, v15
	v_add_f32_e32 v12, v12, v13
	v_exp_f32_e32 v12, v12
	v_cvt_i32_f32_e32 v13, v15
	v_cmp_ngt_f32_e32 vcc, s69, v11
	v_pk_add_f32 v[8:9], v[8:9], v[2:3] op_sel_hi:[1,0] neg_lo:[0,1] neg_hi:[0,1]
	v_pk_add_f32 v[6:7], v[6:7], v[2:3] op_sel_hi:[1,0] neg_lo:[0,1] neg_hi:[0,1]
	v_ldexp_f32 v12, v12, v13
	v_cndmask_b32_e32 v12, 0, v12, vcc
	v_cmp_nlt_f32_e32 vcc, s68, v11
	v_mul_f32_e32 v11, 0x3fb8aa3b, v10
	v_fma_f32 v13, v10, s47, -v11
	v_rndne_f32_e32 v15, v11
	v_fmac_f32_e32 v13, 0x32a5705f, v10
	v_sub_f32_e32 v11, v11, v15
	v_add_f32_e32 v11, v11, v13
	v_exp_f32_e32 v11, v11
	v_cvt_i32_f32_e32 v13, v15
	v_cndmask_b32_e32 v12, v174, v12, vcc
	v_cmp_ngt_f32_e32 vcc, s69, v10
	v_pk_add_f32 v[4:5], v[4:5], v[2:3] op_sel_hi:[1,0] neg_lo:[0,1] neg_hi:[0,1]
	v_ldexp_f32 v11, v11, v13
	v_cndmask_b32_e32 v11, 0, v11, vcc
	v_cmp_nlt_f32_e32 vcc, s68, v10
	v_mul_f32_e32 v10, 0x3fb8aa3b, v9
	v_cndmask_b32_e32 v13, v174, v11, vcc
	v_fma_f32 v11, v9, s47, -v10
	v_rndne_f32_e32 v15, v10
	v_fmac_f32_e32 v11, 0x32a5705f, v9
	v_sub_f32_e32 v10, v10, v15
	v_add_f32_e32 v10, v10, v11
	v_exp_f32_e32 v10, v10
	v_cvt_i32_f32_e32 v11, v15
	v_cmp_ngt_f32_e32 vcc, s69, v9
	v_ldexp_f32 v10, v10, v11
	v_cndmask_b32_e32 v10, 0, v10, vcc
	v_cmp_nlt_f32_e32 vcc, s68, v9
	v_mul_f32_e32 v9, 0x3fb8aa3b, v8
	v_cndmask_b32_e32 v58, v174, v10, vcc
	v_fma_f32 v10, v8, s47, -v9
	v_rndne_f32_e32 v11, v9
	v_fmac_f32_e32 v10, 0x32a5705f, v8
	v_sub_f32_e32 v9, v9, v11
	v_add_f32_e32 v9, v9, v10
	v_exp_f32_e32 v9, v9
	v_cvt_i32_f32_e32 v10, v11
	v_cmp_ngt_f32_e32 vcc, s69, v8
	;; [unrolled: 13-line block ×5, first 2 shown]
	v_ldexp_f32 v6, v6, v7
	v_cndmask_b32_e32 v6, 0, v6, vcc
	v_cmp_nlt_f32_e32 vcc, s68, v5
	v_cndmask_b32_e32 v5, v174, v6, vcc
	v_mul_f32_e32 v6, 0x3fb8aa3b, v4
	v_fma_f32 v7, v4, s47, -v6
	v_rndne_f32_e32 v8, v6
	v_fmac_f32_e32 v7, 0x32a5705f, v4
	v_sub_f32_e32 v6, v6, v8
	v_add_f32_e32 v6, v6, v7
	v_exp_f32_e32 v6, v6
	v_cvt_i32_f32_e32 v7, v8
	v_cmp_ngt_f32_e32 vcc, s69, v4
	v_ldexp_f32 v6, v6, v7
	v_cndmask_b32_e32 v6, 0, v6, vcc
	v_cmp_nlt_f32_e32 vcc, s68, v4
	v_add_f32_e32 v4, v13, v12
	v_add_f32_e32 v4, v59, v4
	;; [unrolled: 1-line block ×4, first 2 shown]
	v_cndmask_b32_e32 v73, v174, v6, vcc
	v_add_f32_e32 v4, v60, v4
	v_add_f32_e32 v4, v73, v4
	;; [unrolled: 1-line block ×3, first 2 shown]
	v_sub_f32_e32 v4, v50, v2
	v_mul_f32_e32 v6, 0x3fb8aa3b, v4
	v_fma_f32 v7, v4, s47, -v6
	v_rndne_f32_e32 v8, v6
	v_fmac_f32_e32 v7, 0x32a5705f, v4
	v_sub_f32_e32 v6, v6, v8
	v_add_f32_e32 v6, v6, v7
	v_exp_f32_e32 v6, v6
	v_cvt_i32_f32_e32 v7, v8
	v_cmp_ngt_f32_e32 vcc, s69, v4
	v_cvt_f16_f32_e32 v12, v12
	v_cvt_f16_f32_e32 v5, v5
	v_ldexp_f32 v6, v6, v7
	v_cndmask_b32_e32 v6, 0, v6, vcc
	v_cmp_nlt_f32_e32 vcc, s68, v4
	v_cndmask_b32_e32 v6, v174, v6, vcc
	v_cmp_le_f32_e32 vcc, s53, v4
	v_cndmask_b32_e32 v4, 0, v6, vcc
	v_fmac_f32_e32 v53, v1, v4
	v_cvt_f16_f32_e32 v4, v4
	ds_bpermute_b32 v3, v3, v53
	v_pk_mul_f16 v6, v4, v64 op_sel_hi:[0,1]
	v_pk_mul_f16 v1, v4, v62 op_sel_hi:[0,1]
	;; [unrolled: 1-line block ×12, first 2 shown]
	v_cvt_f16_f32_e32 v4, v13
	v_cvt_f16_f32_e32 v13, v59
	;; [unrolled: 1-line block ×3, first 2 shown]
	v_mov_b32_e32 v57, s14
	v_pack_b32_f16 v12, v4, v12
	v_cvt_f16_f32_e32 v4, v58
	s_waitcnt lgkmcnt(0)
	v_add_f32_e32 v3, v53, v3
	v_pack_b32_f16 v13, v13, v4
	v_cvt_f16_f32_e32 v4, v60
	v_pack_b32_f16 v4, v56, v4
	v_cvt_f16_f32_e32 v56, v73
	v_pack_b32_f16 v5, v56, v5
	v_add_co_u32_e32 v56, vcc, s3, v18
	v_addc_co_u32_e32 v57, vcc, v57, v19, vcc
	v_add_co_u32_e32 v56, vcc, v56, v94
	v_addc_co_u32_e32 v57, vcc, 0, v57, vcc
	global_load_dwordx4 v[56:59], v[56:57], off offset:128
	s_waitcnt vmcnt(0)
	ds_write_b128 v41, v[56:59]
	v_add_co_u32_e32 v56, vcc, s3, v26
	v_mov_b32_e32 v57, s14
	v_addc_co_u32_e32 v57, vcc, v57, v27, vcc
	v_add_co_u32_e32 v56, vcc, v56, v95
	v_addc_co_u32_e32 v57, vcc, 0, v57, vcc
	global_load_dwordx4 v[56:59], v[56:57], off
	s_waitcnt vmcnt(0)
	ds_write_b128 v43, v[56:59]
	v_add_co_u32_e32 v56, vcc, s3, v28
	v_mov_b32_e32 v57, s14
	v_addc_co_u32_e32 v57, vcc, v57, v29, vcc
	v_add_co_u32_e32 v56, vcc, v56, v95
	v_addc_co_u32_e32 v57, vcc, 0, v57, vcc
	global_load_dwordx4 v[56:59], v[56:57], off
	s_cselect_b64 s[14:15], -1, 0
	s_xor_b64 s[76:77], s[0:1], -1
	s_or_b64 s[14:15], s[76:77], s[14:15]
	s_waitcnt vmcnt(0)
	ds_write_b128 v163, v[56:59]
	s_waitcnt lgkmcnt(0)
	s_barrier
	ds_read_u16 v60, v76 offset:208
	ds_read_u16 v61, v76 offset:416
	v_cvt_f32_f16_e32 v58, v1
	v_cvt_f32_f16_sdwa v59, v1 dst_sel:DWORD dst_unused:UNUSED_PAD src0_sel:WORD_1
	ds_read_u16 v1, v77
	ds_read_u16 v62, v77 offset:32
	v_cvt_f32_f16_e32 v56, v6
	v_cvt_f32_f16_sdwa v57, v6 dst_sel:DWORD dst_unused:UNUSED_PAD src0_sel:WORD_1
	s_waitcnt lgkmcnt(1)
	v_perm_b32 v61, v1, v61, s12
	ds_read_u16 v1, v71
	ds_read_u16 v64, v71 offset:32
	s_waitcnt lgkmcnt(1)
	v_perm_b32 v60, v60, v1, s12
	s_nop 1
	v_mfma_f32_16x16x16f16 v[56:59], v[60:61], v[12:13], v[56:59]
	ds_read_u16 v60, v71 offset:6656
	ds_read_u16 v66, v164 offset:208
	;; [unrolled: 1-line block ×4, first 2 shown]
	s_waitcnt lgkmcnt(2)
	v_perm_b32 v60, v66, v60, s12
	s_waitcnt lgkmcnt(0)
	v_perm_b32 v61, v67, v61, s12
	s_nop 2
	v_cvt_f16_f32_e32 v1, v56
	v_cvt_f16_f32_e32 v6, v57
	;; [unrolled: 1-line block ×4, first 2 shown]
	v_cvt_f32_f16_e32 v56, v1
	v_cvt_f32_f16_e32 v57, v6
	;; [unrolled: 1-line block ×4, first 2 shown]
	s_nop 1
	v_mfma_f32_16x16x16f16 v[56:59], v[60:61], v[4:5], v[56:59]
	ds_read_u16 v60, v165 offset:208
	ds_read_u16 v61, v165 offset:416
	s_waitcnt lgkmcnt(1)
	v_perm_b32 v60, v60, v64, s12
	s_waitcnt lgkmcnt(0)
	v_perm_b32 v61, v62, v61, s12
	s_nop 4
	v_cvt_f16_f32_e32 v1, v56
	v_cvt_f16_f32_e32 v6, v57
	v_cvt_f16_f32_e32 v56, v58
	v_cvt_f16_f32_e32 v57, v59
	v_cvt_f32_f16_e32 v58, v7
	v_pack_b32_f16 v6, v1, v6
	v_cvt_f32_f16_sdwa v59, v7 dst_sel:DWORD dst_unused:UNUSED_PAD src0_sel:WORD_1
	v_pack_b32_f16 v1, v56, v57
	v_cvt_f32_f16_e32 v56, v8
	v_cvt_f32_f16_sdwa v57, v8 dst_sel:DWORD dst_unused:UNUSED_PAD src0_sel:WORD_1
	s_nop 1
	v_mfma_f32_16x16x16f16 v[56:59], v[60:61], v[12:13], v[56:59]
	ds_read_u16 v60, v78 offset:6656
	ds_read_u16 v62, v79 offset:208
	ds_read_u16 v61, v79 offset:416
	ds_read_u16 v64, v80 offset:6656
	s_waitcnt lgkmcnt(2)
	v_perm_b32 v60, v62, v60, s12
	s_waitcnt lgkmcnt(0)
	v_perm_b32 v61, v64, v61, s12
	s_nop 2
	v_cvt_f16_f32_e32 v7, v56
	v_cvt_f16_f32_e32 v8, v57
	v_cvt_f16_f32_e32 v58, v58
	v_cvt_f16_f32_e32 v59, v59
	v_cvt_f32_f16_e32 v56, v7
	v_cvt_f32_f16_e32 v57, v8
	v_cvt_f32_f16_e32 v58, v58
	v_cvt_f32_f16_e32 v59, v59
	s_nop 1
	v_mfma_f32_16x16x16f16 v[56:59], v[60:61], v[4:5], v[56:59]
	ds_read_u16 v60, v71 offset:64
	ds_read_u16 v62, v166 offset:208
	ds_read_u16 v61, v166 offset:416
	ds_read_u16 v64, v77 offset:64
	s_waitcnt lgkmcnt(2)
	v_perm_b32 v60, v62, v60, s12
	s_waitcnt lgkmcnt(0)
	v_perm_b32 v61, v64, v61, s12
	s_nop 2
	v_cvt_f16_f32_e32 v7, v56
	v_cvt_f16_f32_e32 v8, v57
	v_cvt_f16_f32_e32 v56, v58
	v_cvt_f16_f32_e32 v57, v59
	v_cvt_f32_f16_e32 v58, v9
	v_pack_b32_f16 v8, v7, v8
	v_cvt_f32_f16_sdwa v59, v9 dst_sel:DWORD dst_unused:UNUSED_PAD src0_sel:WORD_1
	v_pack_b32_f16 v7, v56, v57
	v_cvt_f32_f16_e32 v56, v10
	v_cvt_f32_f16_sdwa v57, v10 dst_sel:DWORD dst_unused:UNUSED_PAD src0_sel:WORD_1
	s_nop 1
	v_mfma_f32_16x16x16f16 v[56:59], v[60:61], v[12:13], v[56:59]
	ds_read_u16 v60, v81 offset:6656
	ds_read_u16 v62, v82 offset:208
	ds_read_u16 v61, v82 offset:416
	ds_read_u16 v64, v83 offset:6656
	s_waitcnt lgkmcnt(2)
	v_perm_b32 v60, v62, v60, s12
	s_waitcnt lgkmcnt(0)
	v_perm_b32 v61, v64, v61, s12
	s_nop 2
	v_cvt_f16_f32_e32 v9, v56
	v_cvt_f16_f32_e32 v10, v57
	v_cvt_f16_f32_e32 v58, v58
	v_cvt_f16_f32_e32 v59, v59
	v_cvt_f32_f16_e32 v56, v9
	v_cvt_f32_f16_e32 v57, v10
	v_cvt_f32_f16_e32 v58, v58
	v_cvt_f32_f16_e32 v59, v59
	s_nop 1
	v_mfma_f32_16x16x16f16 v[56:59], v[60:61], v[4:5], v[56:59]
	ds_read_u16 v60, v71 offset:96
	ds_read_u16 v62, v167 offset:208
	;; [unrolled: 40-line block ×4, first 2 shown]
	ds_read_u16 v62, v169 offset:416
	ds_read_u16 v64, v77 offset:160
	s_nop 6
	v_cvt_f16_f32_e32 v15, v56
	v_cvt_f16_f32_e32 v52, v57
	;; [unrolled: 1-line block ×4, first 2 shown]
	v_cvt_f32_f16_e32 v58, v54
	v_pack_b32_f16 v52, v15, v52
	v_cvt_f32_f16_sdwa v59, v54 dst_sel:DWORD dst_unused:UNUSED_PAD src0_sel:WORD_1
	v_pack_b32_f16 v15, v56, v57
	v_cvt_f32_f16_e32 v56, v55
	v_cvt_f32_f16_sdwa v57, v55 dst_sel:DWORD dst_unused:UNUSED_PAD src0_sel:WORD_1
	s_waitcnt lgkmcnt(0)
	v_perm_b32 v55, v64, v62, s12
	v_perm_b32 v54, v61, v60, s12
	s_nop 1
	v_mfma_f32_16x16x16f16 v[54:57], v[54:55], v[12:13], v[56:59]
	s_nop 6
	ds_read_u16 v58, v90 offset:6656
	ds_read_u16 v59, v91 offset:208
	;; [unrolled: 1-line block ×4, first 2 shown]
	s_waitcnt lgkmcnt(0)
	s_barrier
	v_cvt_f16_f32_e32 v12, v54
	v_cvt_f16_f32_e32 v13, v55
	;; [unrolled: 1-line block ×4, first 2 shown]
	v_cvt_f32_f16_e32 v54, v12
	v_cvt_f32_f16_e32 v55, v13
	v_perm_b32 v13, v61, v60, s12
	v_perm_b32 v12, v59, v58, s12
	v_cvt_f32_f16_e32 v56, v56
	v_cvt_f32_f16_e32 v57, v57
	s_nop 1
	v_mfma_f32_16x16x16f16 v[54:57], v[12:13], v[4:5], v[54:57]
	s_nop 7
	s_nop 2
	v_cvt_f16_f32_e32 v4, v54
	v_cvt_f16_f32_e32 v5, v55
	;; [unrolled: 1-line block ×4, first 2 shown]
	v_pack_b32_f16 v4, v4, v5
	v_pack_b32_f16 v5, v12, v13
	ds_bpermute_b32 v12, v49, v3
	s_waitcnt lgkmcnt(0)
	v_add_f32_e32 v3, v3, v12
	s_and_saveexec_b64 s[76:77], s[14:15]
	s_xor_b64 s[14:15], exec, s[76:77]
	s_andn2_saveexec_b64 s[14:15], s[14:15]
	s_cbranch_execz .LBB14_50
; %bb.49:                               ;   in Loop: Header=BB14_14 Depth=1
	v_lshlrev_b32_e32 v12, 2, v38
	global_load_dword v13, v12, s[74:75]
	v_max_f32_e32 v53, v2, v2
	s_waitcnt vmcnt(0)
	v_max_f32_e32 v12, v13, v13
	v_max_f32_e32 v12, v53, v12
	v_sub_f32_e32 v2, v2, v12
	v_mul_f32_e32 v53, 0x3fb8aa3b, v2
	v_fma_f32 v54, v2, s47, -v53
	v_rndne_f32_e32 v55, v53
	v_fmac_f32_e32 v54, 0x32a5705f, v2
	v_sub_f32_e32 v53, v53, v55
	v_add_f32_e32 v53, v53, v54
	v_exp_f32_e32 v53, v53
	v_cvt_i32_f32_e32 v54, v55
	v_cmp_ngt_f32_e32 vcc, s69, v2
	v_sub_f32_e32 v13, v13, v12
	v_ldexp_f32 v53, v53, v54
	v_cndmask_b32_e32 v53, 0, v53, vcc
	v_cmp_nlt_f32_e32 vcc, s68, v2
	v_cndmask_b32_e32 v53, v174, v53, vcc
	v_cmp_le_f32_e32 vcc, s53, v2
	v_cndmask_b32_e32 v2, 0, v53, vcc
	v_cvt_f16_f32_e32 v53, v2
	v_cmp_ngt_f32_e32 vcc, s69, v13
	v_pk_mul_f16 v6, v53, v6 op_sel_hi:[0,1]
	v_pk_mul_f16 v1, v53, v1 op_sel_hi:[0,1]
	;; [unrolled: 1-line block ×12, first 2 shown]
	v_mul_f32_e32 v53, 0x3fb8aa3b, v13
	v_fma_f32 v54, v13, s47, -v53
	v_rndne_f32_e32 v55, v53
	v_fmac_f32_e32 v54, 0x32a5705f, v13
	v_sub_f32_e32 v53, v53, v55
	v_add_f32_e32 v53, v53, v54
	v_exp_f32_e32 v53, v53
	v_cvt_i32_f32_e32 v54, v55
	v_ldexp_f32 v53, v53, v54
	v_cndmask_b32_e32 v53, 0, v53, vcc
	v_cmp_nlt_f32_e32 vcc, s68, v13
	v_cndmask_b32_e32 v13, v174, v53, vcc
	v_fmac_f32_e32 v13, v3, v2
	v_pk_mov_b32 v[2:3], v[12:13], v[12:13] op_sel:[0,1]
.LBB14_50:                              ;   in Loop: Header=BB14_14 Depth=1
	s_or_b64 exec, exec, s[14:15]
	s_and_saveexec_b64 s[14:15], s[4:5]
	s_cbranch_execz .LBB14_52
; %bb.51:                               ;   in Loop: Header=BB14_14 Depth=1
	v_add_u32_e32 v12, 0, v109
	ds_write2_b32 v12, v2, v3 offset0:48 offset1:49
.LBB14_52:                              ;   in Loop: Header=BB14_14 Depth=1
	s_or_b64 exec, exec, s[14:15]
	s_waitcnt lgkmcnt(0)
	s_barrier
	s_mov_b64 s[14:15], exec
	v_readlane_b32 s76, v210, 17
	v_readlane_b32 s77, v210, 18
	s_and_b64 s[76:77], s[14:15], s[76:77]
	s_xor_b64 s[14:15], s[76:77], s[14:15]
	s_mov_b64 exec, s[76:77]
	s_cbranch_execz .LBB14_54
; %bb.53:                               ;   in Loop: Header=BB14_14 Depth=1
	s_barrier
	s_waitcnt lgkmcnt(0)
                                        ; implicit-def: $vgpr49
.LBB14_54:                              ;   in Loop: Header=BB14_14 Depth=1
	s_andn2_saveexec_b64 s[14:15], s[14:15]
	s_cbranch_execz .LBB14_60
; %bb.55:                               ;   in Loop: Header=BB14_14 Depth=1
	v_add_u32_e32 v3, 0, v110
	ds_read_b64 v[54:55], v3 offset:192
	s_waitcnt lgkmcnt(0)
	s_barrier
	ds_bpermute_b32 v2, v49, v54
	v_max_f32_e32 v12, v54, v54
	s_waitcnt lgkmcnt(0)
	v_max_f32_e32 v2, v2, v2
	v_max_f32_e32 v2, v12, v2
	v_sub_f32_e32 v12, v54, v2
	v_mul_f32_e32 v13, 0x3fb8aa3b, v12
	v_fma_f32 v53, v12, s47, -v13
	v_rndne_f32_e32 v54, v13
	v_fmac_f32_e32 v53, 0x32a5705f, v12
	v_sub_f32_e32 v13, v13, v54
	v_add_f32_e32 v13, v13, v53
	v_cvt_i32_f32_e32 v54, v54
	v_exp_f32_e32 v13, v13
	v_cmp_ngt_f32_e32 vcc, s69, v12
	v_ldexp_f32 v13, v13, v54
	v_cndmask_b32_e32 v13, 0, v13, vcc
	v_cmp_nlt_f32_e32 vcc, s68, v12
	v_cndmask_b32_e32 v12, v174, v13, vcc
	v_mul_f32_e32 v13, v55, v12
	ds_bpermute_b32 v13, v49, v13
	s_waitcnt lgkmcnt(0)
	v_fmac_f32_e32 v13, v55, v12
	s_mov_b64 s[76:77], exec
	v_readlane_b32 s78, v210, 19
	v_readlane_b32 s79, v210, 20
	s_and_b64 s[78:79], s[76:77], s[78:79]
	s_mov_b64 exec, s[78:79]
	s_cbranch_execz .LBB14_57
; %bb.56:                               ;   in Loop: Header=BB14_14 Depth=1
	ds_write_b64 v3, v[12:13] offset:192
.LBB14_57:                              ;   in Loop: Header=BB14_14 Depth=1
	s_or_b64 exec, exec, s[76:77]
	s_and_saveexec_b64 s[76:77], s[4:5]
	s_cbranch_execz .LBB14_59
; %bb.58:                               ;   in Loop: Header=BB14_14 Depth=1
	v_mov_b32_e32 v3, v13
	global_store_dwordx2 v[16:17], v[2:3], off
.LBB14_59:                              ;   in Loop: Header=BB14_14 Depth=1
	s_or_b64 exec, exec, s[76:77]
.LBB14_60:                              ;   in Loop: Header=BB14_14 Depth=1
	s_or_b64 exec, exec, s[14:15]
	ds_write2_b32 v111, v6, v1 offset1:1
	ds_write2_b32 v111, v8, v7 offset0:8 offset1:9
	ds_write2_b32 v111, v10, v9 offset0:16 offset1:17
	;; [unrolled: 1-line block ×5, first 2 shown]
	s_waitcnt lgkmcnt(0)
	s_barrier
	s_and_saveexec_b64 s[76:77], s[0:1]
	s_cbranch_execz .LBB14_115
; %bb.61:                               ;   in Loop: Header=BB14_14 Depth=1
	v_add_u32_e32 v2, s2, v112
	v_or_b32_e32 v1, s87, v40
	v_cmp_gt_i32_e64 s[14:15], s36, v2
	v_cmp_gt_i32_e32 vcc, s33, v1
	s_and_b64 s[14:15], s[14:15], vcc
	v_mov_b32_e32 v1, 0x47
	s_and_saveexec_b64 s[78:79], s[14:15]
	s_cbranch_execz .LBB14_63
; %bb.62:                               ;   in Loop: Header=BB14_14 Depth=1
	v_add_u32_e32 v1, 0, v113
	v_add_u32_e32 v1, 0xc0, v1
	ds_read2st64_b32 v[4:5], v1 offset1:13
	ds_read2st64_b32 v[6:7], v114 offset1:13
	v_mad_u64_u32 v[2:3], s[14:15], v2, s37, v[40:41]
	v_mad_u64_u32 v[2:3], s[14:15], v2, 48, v[24:25]
	s_waitcnt lgkmcnt(0)
	v_cvt_f32_f16_sdwa v9, v6 dst_sel:DWORD dst_unused:UNUSED_PAD src0_sel:WORD_1
	v_cvt_f32_f16_e32 v8, v6
	v_cvt_f32_f16_sdwa v11, v7 dst_sel:DWORD dst_unused:UNUSED_PAD src0_sel:WORD_1
	v_cvt_f32_f16_e32 v10, v7
	v_ashrrev_i32_e32 v3, 31, v2
	v_lshlrev_b64 v[2:3], 3, v[2:3]
	v_add_co_u32_e64 v2, s[14:15], s85, v2
	v_mov_b32_e32 v1, s86
	v_pk_fma_f32 v[8:9], v[4:5], v[8:9], 0 op_sel_hi:[0,1,0]
	v_mov_b32_e32 v4, v5
	v_addc_co_u32_e64 v3, s[14:15], v1, v3, s[14:15]
	v_pk_fma_f32 v[4:5], v[4:5], v[10:11], v[8:9] op_sel_hi:[0,1,1]
	v_mov_b32_e32 v1, 0
	global_store_dwordx2 v[2:3], v[4:5], off
.LBB14_63:                              ;   in Loop: Header=BB14_14 Depth=1
	s_or_b64 exec, exec, s[78:79]
	s_movk_i32 s3, 0x47
	v_cmp_gt_i32_e64 s[14:15], s3, v1
	s_mov_b64 s[80:81], -1
	s_and_saveexec_b64 s[78:79], s[14:15]
; %bb.64:                               ;   in Loop: Header=BB14_14 Depth=1
	v_cmp_eq_u32_e64 s[14:15], 0, v1
	s_orn2_b64 s[80:81], s[14:15], exec
; %bb.65:                               ;   in Loop: Header=BB14_14 Depth=1
	s_or_b64 exec, exec, s[78:79]
	s_and_saveexec_b64 s[78:79], s[80:81]
	s_cbranch_execz .LBB14_98
; %bb.66:                               ;   in Loop: Header=BB14_14 Depth=1
	v_add_u32_e32 v2, s2, v115
	v_cmp_gt_i32_e64 s[14:15], s36, v2
	s_and_b64 s[14:15], s[14:15], vcc
	v_mov_b32_e32 v1, 0x47
	s_and_saveexec_b64 s[80:81], s[14:15]
	s_cbranch_execz .LBB14_68
; %bb.67:                               ;   in Loop: Header=BB14_14 Depth=1
	v_add_u32_e32 v1, 0, v116
	v_add_u32_e32 v1, 0xc0, v1
	ds_read2st64_b32 v[4:5], v1 offset1:13
	ds_read2st64_b32 v[6:7], v117 offset1:13
	v_mad_u64_u32 v[2:3], s[14:15], v2, s37, v[40:41]
	v_mad_u64_u32 v[2:3], s[14:15], v2, 48, v[24:25]
	s_waitcnt lgkmcnt(0)
	v_cvt_f32_f16_sdwa v9, v6 dst_sel:DWORD dst_unused:UNUSED_PAD src0_sel:WORD_1
	v_cvt_f32_f16_e32 v8, v6
	v_cvt_f32_f16_sdwa v11, v7 dst_sel:DWORD dst_unused:UNUSED_PAD src0_sel:WORD_1
	v_cvt_f32_f16_e32 v10, v7
	v_ashrrev_i32_e32 v3, 31, v2
	v_lshlrev_b64 v[2:3], 3, v[2:3]
	v_add_co_u32_e64 v2, s[14:15], s85, v2
	v_mov_b32_e32 v1, s86
	v_pk_fma_f32 v[8:9], v[4:5], v[8:9], 0 op_sel_hi:[0,1,0]
	v_mov_b32_e32 v4, v5
	v_addc_co_u32_e64 v3, s[14:15], v1, v3, s[14:15]
	v_pk_fma_f32 v[4:5], v[4:5], v[10:11], v[8:9] op_sel_hi:[0,1,1]
	v_mov_b32_e32 v1, 0
	global_store_dwordx2 v[2:3], v[4:5], off
.LBB14_68:                              ;   in Loop: Header=BB14_14 Depth=1
	s_or_b64 exec, exec, s[80:81]
	v_cmp_gt_i32_e64 s[14:15], s3, v1
	s_mov_b64 s[80:81], -1
	s_and_saveexec_b64 s[82:83], s[14:15]
; %bb.69:                               ;   in Loop: Header=BB14_14 Depth=1
	v_cmp_eq_u32_e64 s[14:15], 0, v1
	s_orn2_b64 s[80:81], s[14:15], exec
; %bb.70:                               ;   in Loop: Header=BB14_14 Depth=1
	s_or_b64 exec, exec, s[82:83]
	s_and_b64 exec, exec, s[80:81]
	s_cbranch_execz .LBB14_98
; %bb.71:                               ;   in Loop: Header=BB14_14 Depth=1
	v_add_u32_e32 v2, s2, v118
	v_cmp_gt_i32_e64 s[14:15], s36, v2
	s_and_b64 s[14:15], s[14:15], vcc
	v_mov_b32_e32 v1, 0x47
	s_and_saveexec_b64 s[80:81], s[14:15]
	s_cbranch_execz .LBB14_73
; %bb.72:                               ;   in Loop: Header=BB14_14 Depth=1
	v_add_u32_e32 v1, 0, v119
	v_add_u32_e32 v1, 0xc0, v1
	ds_read2st64_b32 v[4:5], v1 offset1:13
	ds_read2st64_b32 v[6:7], v120 offset1:13
	v_mad_u64_u32 v[2:3], s[14:15], v2, s37, v[40:41]
	v_mad_u64_u32 v[2:3], s[14:15], v2, 48, v[24:25]
	s_waitcnt lgkmcnt(0)
	v_cvt_f32_f16_sdwa v9, v6 dst_sel:DWORD dst_unused:UNUSED_PAD src0_sel:WORD_1
	v_cvt_f32_f16_e32 v8, v6
	v_cvt_f32_f16_sdwa v11, v7 dst_sel:DWORD dst_unused:UNUSED_PAD src0_sel:WORD_1
	v_cvt_f32_f16_e32 v10, v7
	v_ashrrev_i32_e32 v3, 31, v2
	v_lshlrev_b64 v[2:3], 3, v[2:3]
	v_add_co_u32_e64 v2, s[14:15], s85, v2
	v_mov_b32_e32 v1, s86
	v_pk_fma_f32 v[8:9], v[4:5], v[8:9], 0 op_sel_hi:[0,1,0]
	v_mov_b32_e32 v4, v5
	v_addc_co_u32_e64 v3, s[14:15], v1, v3, s[14:15]
	v_pk_fma_f32 v[4:5], v[4:5], v[10:11], v[8:9] op_sel_hi:[0,1,1]
	v_mov_b32_e32 v1, 0
	global_store_dwordx2 v[2:3], v[4:5], off
.LBB14_73:                              ;   in Loop: Header=BB14_14 Depth=1
	s_or_b64 exec, exec, s[80:81]
	v_cmp_gt_i32_e64 s[14:15], s3, v1
	s_mov_b64 s[80:81], -1
	s_and_saveexec_b64 s[82:83], s[14:15]
; %bb.74:                               ;   in Loop: Header=BB14_14 Depth=1
	v_cmp_eq_u32_e64 s[14:15], 0, v1
	s_orn2_b64 s[80:81], s[14:15], exec
; %bb.75:                               ;   in Loop: Header=BB14_14 Depth=1
	s_or_b64 exec, exec, s[82:83]
	s_and_b64 exec, exec, s[80:81]
	s_cbranch_execz .LBB14_98
; %bb.76:                               ;   in Loop: Header=BB14_14 Depth=1
	v_add_u32_e32 v2, s2, v121
	v_cmp_gt_i32_e64 s[14:15], s36, v2
	s_and_b64 s[14:15], s[14:15], vcc
	v_mov_b32_e32 v1, 0x47
	s_and_saveexec_b64 s[80:81], s[14:15]
	s_cbranch_execz .LBB14_78
; %bb.77:                               ;   in Loop: Header=BB14_14 Depth=1
	v_add_u32_e32 v1, 0, v122
	v_add_u32_e32 v1, 0xc0, v1
	ds_read2st64_b32 v[4:5], v1 offset1:13
	ds_read2st64_b32 v[6:7], v123 offset1:13
	v_mad_u64_u32 v[2:3], s[14:15], v2, s37, v[40:41]
	v_mad_u64_u32 v[2:3], s[14:15], v2, 48, v[24:25]
	s_waitcnt lgkmcnt(0)
	v_cvt_f32_f16_sdwa v9, v6 dst_sel:DWORD dst_unused:UNUSED_PAD src0_sel:WORD_1
	v_cvt_f32_f16_e32 v8, v6
	v_cvt_f32_f16_sdwa v11, v7 dst_sel:DWORD dst_unused:UNUSED_PAD src0_sel:WORD_1
	v_cvt_f32_f16_e32 v10, v7
	v_ashrrev_i32_e32 v3, 31, v2
	v_lshlrev_b64 v[2:3], 3, v[2:3]
	v_add_co_u32_e64 v2, s[14:15], s85, v2
	v_mov_b32_e32 v1, s86
	v_pk_fma_f32 v[8:9], v[4:5], v[8:9], 0 op_sel_hi:[0,1,0]
	v_mov_b32_e32 v4, v5
	v_addc_co_u32_e64 v3, s[14:15], v1, v3, s[14:15]
	v_pk_fma_f32 v[4:5], v[4:5], v[10:11], v[8:9] op_sel_hi:[0,1,1]
	v_mov_b32_e32 v1, 0
	global_store_dwordx2 v[2:3], v[4:5], off
.LBB14_78:                              ;   in Loop: Header=BB14_14 Depth=1
	s_or_b64 exec, exec, s[80:81]
	v_cmp_gt_i32_e64 s[14:15], s3, v1
	s_mov_b64 s[80:81], -1
	s_and_saveexec_b64 s[82:83], s[14:15]
; %bb.79:                               ;   in Loop: Header=BB14_14 Depth=1
	v_cmp_eq_u32_e64 s[14:15], 0, v1
	s_orn2_b64 s[80:81], s[14:15], exec
; %bb.80:                               ;   in Loop: Header=BB14_14 Depth=1
	s_or_b64 exec, exec, s[82:83]
	s_and_b64 exec, exec, s[80:81]
	s_cbranch_execz .LBB14_98
; %bb.81:                               ;   in Loop: Header=BB14_14 Depth=1
	v_add_u32_e32 v2, s2, v124
	v_cmp_gt_i32_e64 s[14:15], s36, v2
	s_and_b64 s[14:15], s[14:15], vcc
	v_mov_b32_e32 v1, 0x47
	s_and_saveexec_b64 s[80:81], s[14:15]
	s_cbranch_execz .LBB14_83
; %bb.82:                               ;   in Loop: Header=BB14_14 Depth=1
	v_add_u32_e32 v1, 0, v125
	v_add_u32_e32 v1, 0xc0, v1
	ds_read2st64_b32 v[4:5], v1 offset1:13
	ds_read2st64_b32 v[6:7], v126 offset1:13
	v_mad_u64_u32 v[2:3], s[14:15], v2, s37, v[40:41]
	v_mad_u64_u32 v[2:3], s[14:15], v2, 48, v[24:25]
	s_waitcnt lgkmcnt(0)
	v_cvt_f32_f16_sdwa v9, v6 dst_sel:DWORD dst_unused:UNUSED_PAD src0_sel:WORD_1
	v_cvt_f32_f16_e32 v8, v6
	v_cvt_f32_f16_sdwa v11, v7 dst_sel:DWORD dst_unused:UNUSED_PAD src0_sel:WORD_1
	v_cvt_f32_f16_e32 v10, v7
	v_ashrrev_i32_e32 v3, 31, v2
	v_lshlrev_b64 v[2:3], 3, v[2:3]
	v_add_co_u32_e64 v2, s[14:15], s85, v2
	v_mov_b32_e32 v1, s86
	v_pk_fma_f32 v[8:9], v[4:5], v[8:9], 0 op_sel_hi:[0,1,0]
	v_mov_b32_e32 v4, v5
	v_addc_co_u32_e64 v3, s[14:15], v1, v3, s[14:15]
	v_pk_fma_f32 v[4:5], v[4:5], v[10:11], v[8:9] op_sel_hi:[0,1,1]
	v_mov_b32_e32 v1, 0
	global_store_dwordx2 v[2:3], v[4:5], off
.LBB14_83:                              ;   in Loop: Header=BB14_14 Depth=1
	s_or_b64 exec, exec, s[80:81]
	v_cmp_gt_i32_e64 s[14:15], s3, v1
	s_mov_b64 s[80:81], -1
	s_and_saveexec_b64 s[82:83], s[14:15]
; %bb.84:                               ;   in Loop: Header=BB14_14 Depth=1
	v_cmp_eq_u32_e64 s[14:15], 0, v1
	s_orn2_b64 s[80:81], s[14:15], exec
; %bb.85:                               ;   in Loop: Header=BB14_14 Depth=1
	s_or_b64 exec, exec, s[82:83]
	s_and_b64 exec, exec, s[80:81]
	s_cbranch_execz .LBB14_98
; %bb.86:                               ;   in Loop: Header=BB14_14 Depth=1
	v_add_u32_e32 v2, s2, v127
	v_cmp_gt_i32_e64 s[14:15], s36, v2
	s_and_b64 s[14:15], s[14:15], vcc
	v_mov_b32_e32 v1, 0x47
	s_and_saveexec_b64 s[80:81], s[14:15]
	s_cbranch_execz .LBB14_88
; %bb.87:                               ;   in Loop: Header=BB14_14 Depth=1
	v_add_u32_e32 v1, 0, v128
	v_add_u32_e32 v1, 0xc0, v1
	ds_read2st64_b32 v[4:5], v1 offset1:13
	ds_read2st64_b32 v[6:7], v129 offset1:13
	v_mad_u64_u32 v[2:3], s[14:15], v2, s37, v[40:41]
	v_mad_u64_u32 v[2:3], s[14:15], v2, 48, v[24:25]
	s_waitcnt lgkmcnt(0)
	v_cvt_f32_f16_sdwa v9, v6 dst_sel:DWORD dst_unused:UNUSED_PAD src0_sel:WORD_1
	v_cvt_f32_f16_e32 v8, v6
	v_cvt_f32_f16_sdwa v11, v7 dst_sel:DWORD dst_unused:UNUSED_PAD src0_sel:WORD_1
	v_cvt_f32_f16_e32 v10, v7
	v_ashrrev_i32_e32 v3, 31, v2
	v_lshlrev_b64 v[2:3], 3, v[2:3]
	v_add_co_u32_e64 v2, s[14:15], s85, v2
	v_mov_b32_e32 v1, s86
	v_pk_fma_f32 v[8:9], v[4:5], v[8:9], 0 op_sel_hi:[0,1,0]
	v_mov_b32_e32 v4, v5
	v_addc_co_u32_e64 v3, s[14:15], v1, v3, s[14:15]
	v_pk_fma_f32 v[4:5], v[4:5], v[10:11], v[8:9] op_sel_hi:[0,1,1]
	v_mov_b32_e32 v1, 0
	global_store_dwordx2 v[2:3], v[4:5], off
.LBB14_88:                              ;   in Loop: Header=BB14_14 Depth=1
	s_or_b64 exec, exec, s[80:81]
	v_cmp_gt_i32_e64 s[14:15], s3, v1
	s_mov_b64 s[80:81], -1
	s_and_saveexec_b64 s[82:83], s[14:15]
; %bb.89:                               ;   in Loop: Header=BB14_14 Depth=1
	v_cmp_eq_u32_e64 s[14:15], 0, v1
	s_orn2_b64 s[80:81], s[14:15], exec
; %bb.90:                               ;   in Loop: Header=BB14_14 Depth=1
	s_or_b64 exec, exec, s[82:83]
	s_and_b64 exec, exec, s[80:81]
	s_cbranch_execz .LBB14_98
; %bb.91:                               ;   in Loop: Header=BB14_14 Depth=1
	v_add_u32_e32 v2, s2, v130
	v_cmp_gt_i32_e64 s[14:15], s36, v2
	s_and_b64 s[14:15], s[14:15], vcc
	v_mov_b32_e32 v1, 0x47
	s_and_saveexec_b64 s[80:81], s[14:15]
	s_cbranch_execz .LBB14_93
; %bb.92:                               ;   in Loop: Header=BB14_14 Depth=1
	v_add_u32_e32 v1, 0, v131
	v_add_u32_e32 v1, 0xc0, v1
	ds_read2st64_b32 v[4:5], v1 offset1:13
	ds_read2st64_b32 v[6:7], v132 offset1:13
	v_mad_u64_u32 v[2:3], s[14:15], v2, s37, v[40:41]
	v_mad_u64_u32 v[2:3], s[14:15], v2, 48, v[24:25]
	s_waitcnt lgkmcnt(0)
	v_cvt_f32_f16_sdwa v9, v6 dst_sel:DWORD dst_unused:UNUSED_PAD src0_sel:WORD_1
	v_cvt_f32_f16_e32 v8, v6
	v_cvt_f32_f16_sdwa v11, v7 dst_sel:DWORD dst_unused:UNUSED_PAD src0_sel:WORD_1
	v_cvt_f32_f16_e32 v10, v7
	v_ashrrev_i32_e32 v3, 31, v2
	v_lshlrev_b64 v[2:3], 3, v[2:3]
	v_add_co_u32_e64 v2, s[14:15], s85, v2
	v_mov_b32_e32 v1, s86
	v_pk_fma_f32 v[8:9], v[4:5], v[8:9], 0 op_sel_hi:[0,1,0]
	v_mov_b32_e32 v4, v5
	v_addc_co_u32_e64 v3, s[14:15], v1, v3, s[14:15]
	v_pk_fma_f32 v[4:5], v[4:5], v[10:11], v[8:9] op_sel_hi:[0,1,1]
	v_mov_b32_e32 v1, 0
	global_store_dwordx2 v[2:3], v[4:5], off
.LBB14_93:                              ;   in Loop: Header=BB14_14 Depth=1
	s_or_b64 exec, exec, s[80:81]
	v_cmp_gt_i32_e64 s[14:15], s3, v1
	s_mov_b64 s[80:81], -1
	s_and_saveexec_b64 s[82:83], s[14:15]
; %bb.94:                               ;   in Loop: Header=BB14_14 Depth=1
	v_cmp_eq_u32_e64 s[14:15], 0, v1
	s_orn2_b64 s[80:81], s[14:15], exec
; %bb.95:                               ;   in Loop: Header=BB14_14 Depth=1
	s_or_b64 exec, exec, s[82:83]
	s_and_b64 exec, exec, s[80:81]
	s_cbranch_execz .LBB14_98
; %bb.96:                               ;   in Loop: Header=BB14_14 Depth=1
	v_add_u32_e32 v1, s2, v133
	v_cmp_gt_i32_e64 s[14:15], s36, v1
	s_and_b64 s[14:15], s[14:15], vcc
	s_and_b64 exec, exec, s[14:15]
	s_cbranch_execz .LBB14_98
; %bb.97:                               ;   in Loop: Header=BB14_14 Depth=1
	v_mad_u64_u32 v[2:3], s[14:15], v1, s37, v[40:41]
	v_add_u32_e32 v1, 0, v134
	v_add_u32_e32 v1, 0xc0, v1
	ds_read2st64_b32 v[4:5], v1 offset1:13
	ds_read2st64_b32 v[6:7], v135 offset1:13
	v_mad_u64_u32 v[2:3], s[14:15], v2, 48, v[24:25]
	v_ashrrev_i32_e32 v3, 31, v2
	v_lshlrev_b64 v[2:3], 3, v[2:3]
	s_waitcnt lgkmcnt(0)
	v_cvt_f32_f16_sdwa v9, v6 dst_sel:DWORD dst_unused:UNUSED_PAD src0_sel:WORD_1
	v_cvt_f32_f16_e32 v8, v6
	v_cvt_f32_f16_sdwa v11, v7 dst_sel:DWORD dst_unused:UNUSED_PAD src0_sel:WORD_1
	v_cvt_f32_f16_e32 v10, v7
	v_add_co_u32_e32 v2, vcc, s85, v2
	v_mov_b32_e32 v1, s86
	v_pk_fma_f32 v[8:9], v[4:5], v[8:9], 0 op_sel_hi:[0,1,0]
	v_mov_b32_e32 v4, v5
	v_addc_co_u32_e32 v3, vcc, v1, v3, vcc
	v_pk_fma_f32 v[4:5], v[4:5], v[10:11], v[8:9] op_sel_hi:[0,1,1]
	global_store_dwordx2 v[2:3], v[4:5], off
.LBB14_98:                              ;   in Loop: Header=BB14_14 Depth=1
	s_or_b64 exec, exec, s[78:79]
	v_add_u32_e32 v2, s2, v136
	v_cmp_gt_i32_e32 vcc, s36, v2
	s_and_b64 s[78:79], vcc, s[10:11]
	v_mov_b32_e32 v1, 0x47
	s_and_saveexec_b64 s[14:15], s[78:79]
	s_cbranch_execz .LBB14_100
; %bb.99:                               ;   in Loop: Header=BB14_14 Depth=1
	v_add_u32_e32 v4, 0x80, v138
	ds_read2st64_b32 v[4:5], v4 offset1:13
	v_mad_u64_u32 v[2:3], s[78:79], v2, s37, v[34:35]
	v_mul_lo_u32 v1, v2, 48
	v_add_u32_e32 v2, 0, v137
	v_add_u32_e32 v2, 0xc0, v2
	ds_read2st64_b32 v[2:3], v2 offset1:13
	s_waitcnt lgkmcnt(1)
	v_cvt_f32_f16_sdwa v9, v4 dst_sel:DWORD dst_unused:UNUSED_PAD src0_sel:WORD_1
	v_cvt_f32_f16_e32 v8, v4
	v_ashrrev_i32_e32 v6, 31, v1
	v_cvt_f32_f16_sdwa v11, v5 dst_sel:DWORD dst_unused:UNUSED_PAD src0_sel:WORD_1
	v_cvt_f32_f16_e32 v10, v5
	v_or_b32_e32 v7, 0, v6
	v_or_b32_e32 v6, v1, v14
	v_lshlrev_b64 v[6:7], 3, v[6:7]
	v_add_co_u32_e32 v6, vcc, s85, v6
	v_mov_b32_e32 v1, s86
	s_waitcnt lgkmcnt(0)
	v_pk_fma_f32 v[8:9], v[2:3], v[8:9], 0 op_sel_hi:[0,1,0]
	v_mov_b32_e32 v2, v3
	v_addc_co_u32_e32 v7, vcc, v1, v7, vcc
	v_pk_fma_f32 v[2:3], v[2:3], v[10:11], v[8:9] op_sel_hi:[0,1,1]
	v_mov_b32_e32 v1, 0
	global_store_dwordx2 v[6:7], v[2:3], off offset:256
.LBB14_100:                             ;   in Loop: Header=BB14_14 Depth=1
	s_or_b64 exec, exec, s[14:15]
	v_cmp_gt_i32_e32 vcc, s3, v1
	s_mov_b64 s[14:15], -1
	s_and_saveexec_b64 s[78:79], vcc
; %bb.101:                              ;   in Loop: Header=BB14_14 Depth=1
	v_cmp_eq_u32_e32 vcc, 0, v1
	s_orn2_b64 s[14:15], vcc, exec
; %bb.102:                              ;   in Loop: Header=BB14_14 Depth=1
	s_or_b64 exec, exec, s[78:79]
	s_and_b64 exec, exec, s[14:15]
	s_cbranch_execz .LBB14_115
; %bb.103:                              ;   in Loop: Header=BB14_14 Depth=1
	v_add_u32_e32 v2, s2, v139
	v_cmp_gt_i32_e32 vcc, s36, v2
	s_and_b64 s[78:79], vcc, s[10:11]
	v_mov_b32_e32 v1, 0x47
	s_and_saveexec_b64 s[14:15], s[78:79]
	s_cbranch_execz .LBB14_105
; %bb.104:                              ;   in Loop: Header=BB14_14 Depth=1
	v_add_u32_e32 v4, 0x80, v141
	ds_read2st64_b32 v[4:5], v4 offset1:13
	v_mad_u64_u32 v[2:3], s[78:79], v2, s37, v[34:35]
	v_mul_lo_u32 v1, v2, 48
	v_add_u32_e32 v2, 0, v140
	v_add_u32_e32 v2, 0xc0, v2
	ds_read2st64_b32 v[2:3], v2 offset1:13
	s_waitcnt lgkmcnt(1)
	v_cvt_f32_f16_sdwa v9, v4 dst_sel:DWORD dst_unused:UNUSED_PAD src0_sel:WORD_1
	v_cvt_f32_f16_e32 v8, v4
	v_ashrrev_i32_e32 v6, 31, v1
	v_cvt_f32_f16_sdwa v11, v5 dst_sel:DWORD dst_unused:UNUSED_PAD src0_sel:WORD_1
	v_cvt_f32_f16_e32 v10, v5
	v_or_b32_e32 v7, 0, v6
	v_or_b32_e32 v6, v1, v14
	v_lshlrev_b64 v[6:7], 3, v[6:7]
	v_add_co_u32_e32 v6, vcc, s85, v6
	v_mov_b32_e32 v1, s86
	s_waitcnt lgkmcnt(0)
	v_pk_fma_f32 v[8:9], v[2:3], v[8:9], 0 op_sel_hi:[0,1,0]
	v_mov_b32_e32 v2, v3
	v_addc_co_u32_e32 v7, vcc, v1, v7, vcc
	v_pk_fma_f32 v[2:3], v[2:3], v[10:11], v[8:9] op_sel_hi:[0,1,1]
	v_mov_b32_e32 v1, 0
	global_store_dwordx2 v[6:7], v[2:3], off offset:256
.LBB14_105:                             ;   in Loop: Header=BB14_14 Depth=1
	s_or_b64 exec, exec, s[14:15]
	v_cmp_gt_i32_e32 vcc, s3, v1
	s_mov_b64 s[14:15], -1
	s_and_saveexec_b64 s[78:79], vcc
; %bb.106:                              ;   in Loop: Header=BB14_14 Depth=1
	v_cmp_eq_u32_e32 vcc, 0, v1
	s_orn2_b64 s[14:15], vcc, exec
; %bb.107:                              ;   in Loop: Header=BB14_14 Depth=1
	s_or_b64 exec, exec, s[78:79]
	s_and_b64 exec, exec, s[14:15]
	s_cbranch_execz .LBB14_115
; %bb.108:                              ;   in Loop: Header=BB14_14 Depth=1
	v_add_u32_e32 v2, s2, v142
	v_cmp_gt_i32_e32 vcc, s36, v2
	s_and_b64 s[78:79], vcc, s[10:11]
	v_mov_b32_e32 v1, 0x47
	s_and_saveexec_b64 s[14:15], s[78:79]
	s_cbranch_execz .LBB14_110
; %bb.109:                              ;   in Loop: Header=BB14_14 Depth=1
	v_add_u32_e32 v4, 0x80, v144
	ds_read2st64_b32 v[4:5], v4 offset1:13
	v_mad_u64_u32 v[2:3], s[78:79], v2, s37, v[34:35]
	v_mul_lo_u32 v1, v2, 48
	v_add_u32_e32 v2, 0, v143
	v_add_u32_e32 v2, 0xc0, v2
	ds_read2st64_b32 v[2:3], v2 offset1:13
	s_waitcnt lgkmcnt(1)
	v_cvt_f32_f16_sdwa v9, v4 dst_sel:DWORD dst_unused:UNUSED_PAD src0_sel:WORD_1
	v_cvt_f32_f16_e32 v8, v4
	v_ashrrev_i32_e32 v6, 31, v1
	v_cvt_f32_f16_sdwa v11, v5 dst_sel:DWORD dst_unused:UNUSED_PAD src0_sel:WORD_1
	v_cvt_f32_f16_e32 v10, v5
	v_or_b32_e32 v7, 0, v6
	v_or_b32_e32 v6, v1, v14
	v_lshlrev_b64 v[6:7], 3, v[6:7]
	v_add_co_u32_e32 v6, vcc, s85, v6
	v_mov_b32_e32 v1, s86
	s_waitcnt lgkmcnt(0)
	v_pk_fma_f32 v[8:9], v[2:3], v[8:9], 0 op_sel_hi:[0,1,0]
	v_mov_b32_e32 v2, v3
	v_addc_co_u32_e32 v7, vcc, v1, v7, vcc
	v_pk_fma_f32 v[2:3], v[2:3], v[10:11], v[8:9] op_sel_hi:[0,1,1]
	v_mov_b32_e32 v1, 0
	global_store_dwordx2 v[6:7], v[2:3], off offset:256
.LBB14_110:                             ;   in Loop: Header=BB14_14 Depth=1
	s_or_b64 exec, exec, s[14:15]
	v_cmp_gt_i32_e32 vcc, s3, v1
	s_mov_b64 s[14:15], -1
	s_and_saveexec_b64 s[78:79], vcc
; %bb.111:                              ;   in Loop: Header=BB14_14 Depth=1
	v_cmp_eq_u32_e32 vcc, 0, v1
	s_orn2_b64 s[14:15], vcc, exec
; %bb.112:                              ;   in Loop: Header=BB14_14 Depth=1
	s_or_b64 exec, exec, s[78:79]
	s_and_b64 exec, exec, s[14:15]
	s_cbranch_execz .LBB14_115
; %bb.113:                              ;   in Loop: Header=BB14_14 Depth=1
	v_add_u32_e32 v1, s2, v145
	v_cmp_gt_i32_e32 vcc, s36, v1
	s_and_b64 s[2:3], vcc, s[10:11]
	s_and_b64 exec, exec, s[2:3]
	s_cbranch_execz .LBB14_115
; %bb.114:                              ;   in Loop: Header=BB14_14 Depth=1
	v_add_u32_e32 v4, 0x80, v147
	ds_read2st64_b32 v[4:5], v4 offset1:13
	v_mad_u64_u32 v[2:3], s[2:3], v1, s37, v[34:35]
	v_mul_lo_u32 v1, v2, 48
	v_add_u32_e32 v2, 0, v146
	v_add_u32_e32 v2, 0xc0, v2
	ds_read2st64_b32 v[2:3], v2 offset1:13
	s_waitcnt lgkmcnt(1)
	v_cvt_f32_f16_sdwa v9, v4 dst_sel:DWORD dst_unused:UNUSED_PAD src0_sel:WORD_1
	v_cvt_f32_f16_e32 v8, v4
	v_ashrrev_i32_e32 v6, 31, v1
	v_cvt_f32_f16_sdwa v11, v5 dst_sel:DWORD dst_unused:UNUSED_PAD src0_sel:WORD_1
	v_cvt_f32_f16_e32 v10, v5
	v_or_b32_e32 v7, 0, v6
	v_or_b32_e32 v6, v1, v14
	v_lshlrev_b64 v[6:7], 3, v[6:7]
	v_add_co_u32_e32 v6, vcc, s85, v6
	v_mov_b32_e32 v1, s86
	s_waitcnt lgkmcnt(0)
	v_pk_fma_f32 v[8:9], v[2:3], v[8:9], 0 op_sel_hi:[0,1,0]
	v_mov_b32_e32 v2, v3
	v_addc_co_u32_e32 v7, vcc, v1, v7, vcc
	v_pk_fma_f32 v[2:3], v[2:3], v[10:11], v[8:9] op_sel_hi:[0,1,1]
	global_store_dwordx2 v[6:7], v[2:3], off offset:256
.LBB14_115:                             ;   in Loop: Header=BB14_14 Depth=1
	s_or_b64 exec, exec, s[76:77]
	s_barrier
	s_branch .LBB14_13
.LBB14_116:                             ;   in Loop: Header=BB14_14 Depth=1
	s_lshl_b32 s13, s13, 4
	v_add_u32_e32 v1, s13, v100
	v_cmp_gt_i32_e64 s[10:11], s33, v25
	v_cmp_le_i32_e32 vcc, s36, v1
	s_xor_b64 s[10:11], s[10:11], -1
	s_or_b64 s[2:3], vcc, s[10:11]
	s_and_saveexec_b64 s[14:15], s[2:3]
	s_xor_b64 s[14:15], exec, s[14:15]
	s_cbranch_execz .LBB14_118
; %bb.117:                              ;   in Loop: Header=BB14_14 Depth=1
	ds_write_b32 v103, v160
                                        ; implicit-def: $vgpr1
.LBB14_118:                             ;   in Loop: Header=BB14_14 Depth=1
	s_andn2_saveexec_b64 s[14:15], s[14:15]
	s_cbranch_execz .LBB14_120
; %bb.119:                              ;   in Loop: Header=BB14_14 Depth=1
	v_mad_u64_u32 v[2:3], s[2:3], v1, s57, v[44:45]
	v_ashrrev_i32_e32 v3, 31, v2
	v_lshlrev_b64 v[2:3], 3, v[2:3]
	v_mov_b32_e32 v1, s42
	v_add_co_u32_e32 v2, vcc, s94, v2
	v_addc_co_u32_e32 v3, vcc, v1, v3, vcc
	global_load_dwordx2 v[2:3], v[2:3], off
	s_waitcnt vmcnt(0)
	v_cvt_f16_f32_e32 v1, v2
	v_cvt_f16_f32_e32 v2, v3
	v_pack_b32_f16 v1, v1, v2
	v_pk_mul_f16 v1, v35, v1
	ds_write_b32 v103, v1
.LBB14_120:                             ;   in Loop: Header=BB14_14 Depth=1
	s_or_b64 exec, exec, s[14:15]
	v_add_u32_e32 v1, s13, v171
	v_cmp_le_i32_e32 vcc, s36, v1
	s_or_b64 s[2:3], vcc, s[10:11]
	s_and_saveexec_b64 s[14:15], s[2:3]
	s_xor_b64 s[14:15], exec, s[14:15]
	s_cbranch_execz .LBB14_122
; %bb.121:                              ;   in Loop: Header=BB14_14 Depth=1
	ds_write_b32 v103, v160 offset:1664
                                        ; implicit-def: $vgpr1
.LBB14_122:                             ;   in Loop: Header=BB14_14 Depth=1
	s_andn2_saveexec_b64 s[14:15], s[14:15]
	s_cbranch_execz .LBB14_124
; %bb.123:                              ;   in Loop: Header=BB14_14 Depth=1
	v_mad_u64_u32 v[2:3], s[2:3], v1, s57, v[44:45]
	v_ashrrev_i32_e32 v3, 31, v2
	v_lshlrev_b64 v[2:3], 3, v[2:3]
	v_mov_b32_e32 v1, s42
	v_add_co_u32_e32 v2, vcc, s94, v2
	v_addc_co_u32_e32 v3, vcc, v1, v3, vcc
	global_load_dwordx2 v[2:3], v[2:3], off
	s_waitcnt vmcnt(0)
	v_cvt_f16_f32_e32 v1, v2
	v_cvt_f16_f32_e32 v2, v3
	v_pack_b32_f16 v1, v1, v2
	v_pk_mul_f16 v1, v35, v1
	ds_write_b32 v103, v1 offset:1664
.LBB14_124:                             ;   in Loop: Header=BB14_14 Depth=1
	s_or_b64 exec, exec, s[14:15]
	v_add_u32_e32 v1, s13, v104
	v_cmp_le_i32_e32 vcc, s36, v1
	s_or_b64 s[2:3], vcc, s[10:11]
	s_and_saveexec_b64 s[14:15], s[2:3]
	s_xor_b64 s[14:15], exec, s[14:15]
	s_cbranch_execz .LBB14_126
; %bb.125:                              ;   in Loop: Header=BB14_14 Depth=1
	ds_write_b32 v103, v160 offset:3328
                                        ; implicit-def: $vgpr1
.LBB14_126:                             ;   in Loop: Header=BB14_14 Depth=1
	s_andn2_saveexec_b64 s[14:15], s[14:15]
	s_cbranch_execz .LBB14_128
; %bb.127:                              ;   in Loop: Header=BB14_14 Depth=1
	v_mad_u64_u32 v[2:3], s[2:3], v1, s57, v[44:45]
	v_ashrrev_i32_e32 v3, 31, v2
	v_lshlrev_b64 v[2:3], 3, v[2:3]
	v_mov_b32_e32 v1, s42
	v_add_co_u32_e32 v2, vcc, s94, v2
	v_addc_co_u32_e32 v3, vcc, v1, v3, vcc
	global_load_dwordx2 v[2:3], v[2:3], off
	s_waitcnt vmcnt(0)
	v_cvt_f16_f32_e32 v1, v2
	v_cvt_f16_f32_e32 v2, v3
	v_pack_b32_f16 v1, v1, v2
	v_pk_mul_f16 v1, v35, v1
	ds_write_b32 v103, v1 offset:3328
.LBB14_128:                             ;   in Loop: Header=BB14_14 Depth=1
	;; [unrolled: 28-line block ×3, first 2 shown]
	s_or_b64 exec, exec, s[10:11]
	v_or_b32_e32 v1, s87, v34
	v_cmp_gt_i32_e64 s[10:11], s33, v1
	v_add_u32_e32 v1, s13, v106
	s_xor_b64 s[14:15], s[10:11], -1
	v_cmp_le_i32_e32 vcc, s36, v1
	s_or_b64 s[2:3], vcc, s[14:15]
	s_and_saveexec_b64 s[76:77], s[2:3]
	s_xor_b64 s[76:77], exec, s[76:77]
	s_cbranch_execz .LBB14_134
; %bb.133:                              ;   in Loop: Header=BB14_14 Depth=1
	ds_write_b32 v107, v160 offset:128
                                        ; implicit-def: $vgpr1
.LBB14_134:                             ;   in Loop: Header=BB14_14 Depth=1
	s_andn2_saveexec_b64 s[76:77], s[76:77]
	s_cbranch_execz .LBB14_136
; %bb.135:                              ;   in Loop: Header=BB14_14 Depth=1
	v_mad_u64_u32 v[2:3], s[2:3], v1, s57, v[36:37]
	v_ashrrev_i32_e32 v3, 31, v2
	v_lshlrev_b64 v[2:3], 3, v[2:3]
	v_mov_b32_e32 v1, s42
	v_add_co_u32_e32 v2, vcc, s94, v2
	v_addc_co_u32_e32 v3, vcc, v1, v3, vcc
	global_load_dwordx2 v[2:3], v[2:3], off
	s_waitcnt vmcnt(0)
	v_cvt_f16_f32_e32 v1, v2
	v_cvt_f16_f32_e32 v2, v3
	v_pack_b32_f16 v1, v1, v2
	v_pk_mul_f16 v1, v35, v1
	ds_write_b32 v107, v1 offset:128
.LBB14_136:                             ;   in Loop: Header=BB14_14 Depth=1
	s_or_b64 exec, exec, s[76:77]
	v_add_u32_e32 v1, s13, v108
	v_cmp_le_i32_e32 vcc, s36, v1
	s_or_b64 s[2:3], vcc, s[14:15]
	s_and_saveexec_b64 s[14:15], s[2:3]
	s_xor_b64 s[14:15], exec, s[14:15]
	s_cbranch_execz .LBB14_138
; %bb.137:                              ;   in Loop: Header=BB14_14 Depth=1
	ds_write_b32 v107, v160 offset:3456
                                        ; implicit-def: $vgpr1
.LBB14_138:                             ;   in Loop: Header=BB14_14 Depth=1
	s_andn2_saveexec_b64 s[14:15], s[14:15]
	s_cbranch_execz .LBB14_140
; %bb.139:                              ;   in Loop: Header=BB14_14 Depth=1
	v_mad_u64_u32 v[2:3], s[2:3], v1, s57, v[36:37]
	v_ashrrev_i32_e32 v3, 31, v2
	v_lshlrev_b64 v[2:3], 3, v[2:3]
	v_mov_b32_e32 v1, s42
	v_add_co_u32_e32 v2, vcc, s94, v2
	v_addc_co_u32_e32 v3, vcc, v1, v3, vcc
	global_load_dwordx2 v[2:3], v[2:3], off
	s_waitcnt vmcnt(0)
	v_cvt_f16_f32_e32 v1, v2
	v_cvt_f16_f32_e32 v2, v3
	v_pack_b32_f16 v1, v1, v2
	v_pk_mul_f16 v1, v35, v1
	ds_write_b32 v107, v1 offset:3456
.LBB14_140:                             ;   in Loop: Header=BB14_14 Depth=1
	s_or_b64 exec, exec, s[14:15]
	s_waitcnt lgkmcnt(0)
	s_barrier
	ds_read2_b64 v[10:13], v96 offset1:4
	ds_read2_b64 v[6:9], v96 offset0:8 offset1:12
	ds_read2_b64 v[2:5], v96 offset0:16 offset1:20
	s_cmp_gt_i32 s67, 1
	s_waitcnt lgkmcnt(0)
	s_barrier
	s_cbranch_scc1 .LBB14_142
; %bb.141:                              ;   in Loop: Header=BB14_14 Depth=1
	v_add_u32_e32 v1, s13, v101
	v_mul_hi_u32 v15, s44, v1
	v_add_u32_e32 v15, v1, v15
	v_lshrrev_b32_e32 v15, s45, v15
	v_mul_lo_u32 v15, v15, s36
	v_sub_u32_e32 v1, v1, v15
	v_mad_i64_i32 v[52:53], s[2:3], v1, s46, 0
	v_add_u32_e32 v1, s13, v162
	v_mul_hi_u32 v15, s44, v1
	v_add_u32_e32 v15, v1, v15
	v_lshrrev_b32_e32 v15, s45, v15
	v_mul_lo_u32 v15, v15, s36
	v_sub_u32_e32 v1, v1, v15
	v_mbcnt_hi_u32_b32 v175, -1, v172
	v_mad_i64_i32 v[54:55], s[2:3], v1, s46, 0
	v_and_b32_e32 v1, 64, v175
	s_mov_b32 s2, 0
	v_add_u32_e32 v176, 64, v1
	v_xor_b32_e32 v178, 32, v175
	v_xor_b32_e32 v177, 16, v175
	s_mov_b64 s[14:15], 0
	s_mov_b32 s3, 0xfeffffff
	s_branch .LBB14_143
.LBB14_142:                             ;   in Loop: Header=BB14_14 Depth=1
	s_mov_b64 s[14:15], -1
                                        ; implicit-def: $sgpr2
                                        ; implicit-def: $sgpr3
                                        ; implicit-def: $vgpr52_vgpr53
                                        ; implicit-def: $vgpr54_vgpr55
                                        ; implicit-def: $vgpr175
                                        ; implicit-def: $vgpr176
                                        ; implicit-def: $vgpr178
                                        ; implicit-def: $vgpr177
.LBB14_143:                             ;   in Loop: Header=BB14_14 Depth=1
	s_andn2_b64 vcc, exec, s[14:15]
	v_mov_b32_e32 v72, s2
	v_mov_b32_e32 v49, s2
	;; [unrolled: 1-line block ×14, first 2 shown]
	s_cbranch_vccnz .LBB14_146
; %bb.144:                              ;   in Loop: Header=BB14_14 Depth=1
	v_add_u32_e32 v1, s13, v101
	v_mul_hi_u32 v15, s44, v1
	v_add_u32_e32 v15, v1, v15
	v_lshrrev_b32_e32 v15, s45, v15
	v_mul_lo_u32 v15, v15, s36
	v_sub_u32_e32 v1, v1, v15
	v_add_u32_e32 v15, s13, v162
	v_mul_hi_u32 v25, s44, v15
	v_add_u32_e32 v25, v15, v25
	v_lshrrev_b32_e32 v25, s45, v25
	v_mul_lo_u32 v25, v25, s36
	v_mbcnt_hi_u32_b32 v175, -1, v172
	v_sub_u32_e32 v15, v15, v25
	v_and_b32_e32 v25, 64, v175
	v_add_u32_e32 v176, 64, v25
	v_xor_b32_e32 v178, 32, v175
	v_cmp_lt_i32_e32 vcc, v178, v176
	v_xor_b32_e32 v177, 16, v175
	v_cndmask_b32_e32 v25, v175, v178, vcc
	v_cmp_lt_i32_e32 vcc, v177, v176
	v_lshlrev_b32_e32 v189, 2, v25
	v_cndmask_b32_e32 v25, v175, v177, vcc
	s_add_i32 s2, s67, -1
	v_lshlrev_b32_e32 v190, 2, v25
	v_mov_b32_e32 v25, s23
	v_mad_i64_i32 v[52:53], s[14:15], v1, s46, 0
	v_mad_i64_i32 v[54:55], s[14:15], v15, s46, 0
	v_addc_co_u32_e64 v49, vcc, v25, v23, s[8:9]
	v_readlane_b32 s8, v210, 27
	s_add_u32 s3, s61, s7
	v_readlane_b32 s9, v210, 28
	s_mov_b32 s14, s8
	s_addc_u32 s6, s62, s6
	v_mad_i64_i32 v[56:57], s[8:9], s14, v1, v[48:49]
	v_mov_b32_e32 v1, s6
	v_add_co_u32_e32 v60, vcc, s3, v148
	v_addc_co_u32_e32 v61, vcc, v149, v1, vcc
	v_add_co_u32_e32 v62, vcc, s3, v150
	v_addc_co_u32_e32 v1, vcc, v151, v1, vcc
	v_mad_i64_i32 v[58:59], s[8:9], s14, v15, v[48:49]
	v_mov_b32_e32 v15, s6
	v_add_co_u32_e32 v64, vcc, s3, v152
	s_add_u32 s3, s55, s95
	v_addc_co_u32_e32 v15, vcc, v153, v15, vcc
	s_addc_u32 s6, s54, s58
	v_mov_b32_e32 v23, s6
	v_add_co_u32_e32 v66, vcc, s3, v154
	v_addc_co_u32_e32 v67, vcc, v155, v23, vcc
	v_add_co_u32_e32 v68, vcc, s3, v156
	v_addc_co_u32_e32 v23, vcc, v157, v23, vcc
	v_mov_b32_e32 v25, s6
	v_add_co_u32_e32 v70, vcc, s3, v158
	v_mov_b32_e32 v181, 0
	v_addc_co_u32_e32 v25, vcc, v159, v25, vcc
	v_mov_b32_e32 v49, 0
	v_mov_b32_e32 v50, 0xfeffffff
	s_mov_b32 s3, s2
	v_mov_b32_e32 v186, 0
	v_mov_b32_e32 v185, 0
	;; [unrolled: 1-line block ×11, first 2 shown]
.LBB14_145:                             ;   Parent Loop BB14_14 Depth=1
                                        ; =>  This Inner Loop Header: Depth=2
	v_add_co_u32_e32 v74, vcc, v56, v46
	v_addc_co_u32_e32 v75, vcc, 0, v57, vcc
	v_mov_b32_e32 v204, v49
	global_load_dword v49, v[74:75], off
	v_add_co_u32_e32 v74, vcc, v58, v46
	v_mov_b32_e32 v191, v50
	v_add_u32_e32 v50, v102, v161
	v_addc_co_u32_e32 v75, vcc, 0, v59, vcc
	global_load_dwordx4 v[192:195], v[66:67], off
	s_add_i32 s3, s3, -1
	s_cmp_lg_u32 s3, 0
	s_waitcnt vmcnt(1)
	ds_write_b32 v50, v49 offset:13312
	global_load_dword v49, v[74:75], off
	v_add_co_u32_e32 v74, vcc, v68, v42
	v_addc_co_u32_e32 v75, vcc, 0, v23, vcc
	s_waitcnt vmcnt(0)
	ds_write_b32 v50, v49 offset:14464
	ds_write_b128 v41, v[192:195]
	global_load_dwordx4 v[192:195], v[74:75], off
	v_add_co_u32_e32 v74, vcc, v70, v42
	v_addc_co_u32_e32 v75, vcc, 0, v25, vcc
	v_add_u32_e32 v49, v39, v97
	s_waitcnt vmcnt(0)
	ds_write_b128 v43, v[192:195]
	global_load_dwordx4 v[192:195], v[74:75], off
	s_waitcnt vmcnt(0)
	ds_write_b128 v163, v[192:195]
	s_waitcnt lgkmcnt(0)
	s_barrier
	ds_read2_b64 v[192:195], v49 offset1:4
	s_waitcnt lgkmcnt(0)
	v_mfma_f32_16x16x16f16 v[196:199], v[192:193], v[10:11], 0
	v_mfma_f32_16x16x16f16 v[192:195], v[194:195], v[12:13], v[196:199]
	s_nop 7
	s_nop 1
	ds_read2_b64 v[196:199], v49 offset0:8 offset1:12
	s_waitcnt lgkmcnt(0)
	v_mfma_f32_16x16x16f16 v[192:195], v[196:197], v[6:7], v[192:195]
	v_mfma_f32_16x16x16f16 v[192:195], v[198:199], v[8:9], v[192:195]
	ds_read2_b64 v[196:199], v49 offset0:16 offset1:20
	v_add_u32_e32 v49, 0x1800, v49
	s_waitcnt lgkmcnt(0)
	v_mfma_f32_16x16x16f16 v[192:195], v[196:197], v[2:3], v[192:195]
	v_mfma_f32_16x16x16f16 v[192:195], v[198:199], v[4:5], v[192:195]
	ds_read2_b64 v[196:199], v49 offset0:64 offset1:68
	s_waitcnt lgkmcnt(0)
	v_mfma_f32_16x16x16f16 v[200:203], v[196:197], v[10:11], 0
	v_mfma_f32_16x16x16f16 v[196:199], v[198:199], v[12:13], v[200:203]
	s_nop 7
	s_nop 1
	ds_read2_b64 v[200:203], v49 offset0:72 offset1:76
	s_waitcnt lgkmcnt(0)
	v_mfma_f32_16x16x16f16 v[196:199], v[200:201], v[6:7], v[196:199]
	v_mfma_f32_16x16x16f16 v[196:199], v[202:203], v[8:9], v[196:199]
	ds_read2_b64 v[200:203], v49 offset0:80 offset1:84
	v_add_u32_e32 v49, 0x3400, v47
	s_waitcnt lgkmcnt(0)
	s_barrier
	ds_read2_b32 v[74:75], v49 offset1:1
	ds_read_b32 v49, v98 offset:13312
	ds_read_b32 v50, v99 offset:13312
	v_mfma_f32_16x16x16f16 v[196:199], v[200:201], v[2:3], v[196:199]
	s_waitcnt lgkmcnt(2)
	v_cvt_f32_f16_e32 v200, v74
	v_cvt_f32_f16_sdwa v201, v74 dst_sel:DWORD dst_unused:UNUSED_PAD src0_sel:WORD_1
	v_pk_add_f32 v[192:193], v[192:193], v[200:201]
	v_add_f32_e32 v74, 0x40051340, v192
	v_mfma_f32_16x16x16f16 v[196:199], v[202:203], v[4:5], v[196:199]
	v_add_f32_e32 v200, 0x40051340, v193
	v_max3_f32 v202, v191, v74, v200
	s_waitcnt lgkmcnt(0)
	v_cvt_f32_f16_sdwa v201, v50 dst_sel:DWORD dst_unused:UNUSED_PAD src0_sel:WORD_1
	v_cvt_f32_f16_e32 v200, v50
	v_cvt_f32_f16_e32 v74, v75
	v_cvt_f32_f16_sdwa v75, v75 dst_sel:DWORD dst_unused:UNUSED_PAD src0_sel:WORD_1
	s_nop 3
	v_pk_add_f32 v[198:199], v[198:199], v[200:201]
	v_cvt_f32_f16_sdwa v201, v49 dst_sel:DWORD dst_unused:UNUSED_PAD src0_sel:WORD_1
	v_cvt_f32_f16_e32 v200, v49
	v_pk_add_f32 v[74:75], v[194:195], v[74:75]
	v_add_f32_e32 v194, 0x40051340, v74
	v_add_f32_e32 v195, 0x40051340, v75
	v_pk_add_f32 v[196:197], v[196:197], v[200:201]
	v_add_f32_e32 v49, 0x40051340, v196
	v_add_f32_e32 v200, 0x40051340, v197
	v_max3_f32 v194, v202, v194, v195
	v_add_f32_e32 v50, 0x40051340, v198
	v_add_f32_e32 v203, 0x40051340, v199
	v_max3_f32 v49, v194, v49, v200
	v_max3_f32 v49, v49, v50, v203
	ds_bpermute_b32 v50, v189, v49
	s_waitcnt lgkmcnt(0)
	v_max_f32_e32 v50, v50, v50
	v_max_f32_e32 v49, v49, v50
	ds_bpermute_b32 v50, v190, v49
	s_waitcnt lgkmcnt(0)
	v_max_f32_e32 v50, v50, v50
	v_max_f32_e32 v50, v49, v50
	v_pk_add_f32 v[192:193], v[192:193], v[50:51] op_sel_hi:[1,0] neg_lo:[0,1] neg_hi:[0,1]
	v_mul_f32_e32 v49, 0x3fb8aa3b, v193
	v_fma_f32 v194, v193, s47, -v49
	v_rndne_f32_e32 v195, v49
	v_fmac_f32_e32 v194, 0x32a5705f, v193
	v_sub_f32_e32 v49, v49, v195
	v_add_f32_e32 v49, v49, v194
	v_exp_f32_e32 v49, v49
	v_cvt_i32_f32_e32 v194, v195
	v_cmp_ngt_f32_e32 vcc, s69, v193
	v_pk_add_f32 v[74:75], v[74:75], v[50:51] op_sel_hi:[1,0] neg_lo:[0,1] neg_hi:[0,1]
	v_ldexp_f32 v49, v49, v194
	v_cndmask_b32_e32 v49, 0, v49, vcc
	v_cmp_nlt_f32_e32 vcc, s68, v193
	v_cndmask_b32_e32 v194, v174, v49, vcc
	v_mul_f32_e32 v49, 0x3fb8aa3b, v192
	v_fma_f32 v193, v192, s47, -v49
	v_rndne_f32_e32 v195, v49
	v_fmac_f32_e32 v193, 0x32a5705f, v192
	v_sub_f32_e32 v49, v49, v195
	v_add_f32_e32 v49, v49, v193
	v_exp_f32_e32 v49, v49
	v_cvt_i32_f32_e32 v193, v195
	v_cmp_ngt_f32_e32 vcc, s69, v192
	v_ldexp_f32 v49, v49, v193
	v_cndmask_b32_e32 v49, 0, v49, vcc
	v_cmp_nlt_f32_e32 vcc, s68, v192
	v_cndmask_b32_e32 v195, v174, v49, vcc
	v_mul_f32_e32 v49, 0x3fb8aa3b, v75
	v_fma_f32 v192, v75, s47, -v49
	v_rndne_f32_e32 v193, v49
	v_fmac_f32_e32 v192, 0x32a5705f, v75
	v_sub_f32_e32 v49, v49, v193
	v_add_f32_e32 v49, v49, v192
	v_exp_f32_e32 v49, v49
	v_cvt_i32_f32_e32 v192, v193
	v_cmp_ngt_f32_e32 vcc, s69, v75
	;; [unrolled: 13-line block ×3, first 2 shown]
	v_ldexp_f32 v49, v49, v75
	v_cndmask_b32_e32 v49, 0, v49, vcc
	v_cmp_nlt_f32_e32 vcc, s68, v74
	v_pk_add_f32 v[74:75], v[196:197], v[50:51] op_sel_hi:[1,0] neg_lo:[0,1] neg_hi:[0,1]
	v_cndmask_b32_e32 v201, v174, v49, vcc
	v_mul_f32_e32 v49, 0x3fb8aa3b, v75
	v_fma_f32 v192, v75, s47, -v49
	v_rndne_f32_e32 v193, v49
	v_fmac_f32_e32 v192, 0x32a5705f, v75
	v_sub_f32_e32 v49, v49, v193
	v_add_f32_e32 v49, v49, v192
	v_exp_f32_e32 v49, v49
	v_cvt_i32_f32_e32 v192, v193
	v_cmp_ngt_f32_e32 vcc, s69, v75
	v_ldexp_f32 v49, v49, v192
	v_cndmask_b32_e32 v49, 0, v49, vcc
	v_cmp_nlt_f32_e32 vcc, s68, v75
	v_cndmask_b32_e32 v196, v174, v49, vcc
	v_mul_f32_e32 v49, 0x3fb8aa3b, v74
	v_fma_f32 v75, v74, s47, -v49
	v_rndne_f32_e32 v192, v49
	v_fmac_f32_e32 v75, 0x32a5705f, v74
	v_sub_f32_e32 v49, v49, v192
	v_add_f32_e32 v49, v49, v75
	v_exp_f32_e32 v49, v49
	v_cvt_i32_f32_e32 v75, v192
	v_cmp_ngt_f32_e32 vcc, s69, v74
	v_ldexp_f32 v49, v49, v75
	v_cndmask_b32_e32 v49, 0, v49, vcc
	v_cmp_nlt_f32_e32 vcc, s68, v74
	v_pk_add_f32 v[74:75], v[198:199], v[50:51] op_sel_hi:[1,0] neg_lo:[0,1] neg_hi:[0,1]
	v_cndmask_b32_e32 v197, v174, v49, vcc
	v_mul_f32_e32 v49, 0x3fb8aa3b, v75
	v_fma_f32 v192, v75, s47, -v49
	v_rndne_f32_e32 v193, v49
	v_fmac_f32_e32 v192, 0x32a5705f, v75
	v_sub_f32_e32 v49, v49, v193
	v_add_f32_e32 v49, v49, v192
	v_exp_f32_e32 v49, v49
	v_cvt_i32_f32_e32 v192, v193
	v_cmp_ngt_f32_e32 vcc, s69, v75
	v_ldexp_f32 v49, v49, v192
	v_cndmask_b32_e32 v49, 0, v49, vcc
	v_cmp_nlt_f32_e32 vcc, s68, v75
	v_cndmask_b32_e32 v198, v174, v49, vcc
	v_mul_f32_e32 v49, 0x3fb8aa3b, v74
	v_fma_f32 v75, v74, s47, -v49
	v_rndne_f32_e32 v192, v49
	v_fmac_f32_e32 v75, 0x32a5705f, v74
	v_sub_f32_e32 v49, v49, v192
	v_add_f32_e32 v49, v49, v75
	v_exp_f32_e32 v49, v49
	v_cvt_i32_f32_e32 v75, v192
	v_cmp_ngt_f32_e32 vcc, s69, v74
	v_ldexp_f32 v49, v49, v75
	v_cndmask_b32_e32 v49, 0, v49, vcc
	v_cmp_nlt_f32_e32 vcc, s68, v74
	v_sub_f32_e32 v74, v191, v50
	v_mul_f32_e32 v75, 0x3fb8aa3b, v74
	v_fma_f32 v191, v74, s47, -v75
	v_rndne_f32_e32 v192, v75
	v_fmac_f32_e32 v191, 0x32a5705f, v74
	v_sub_f32_e32 v75, v75, v192
	v_add_f32_e32 v75, v75, v191
	v_exp_f32_e32 v75, v75
	v_cvt_i32_f32_e32 v191, v192
	v_cndmask_b32_e32 v199, v174, v49, vcc
	v_add_f32_e32 v49, v195, v194
	v_add_f32_e32 v49, v201, v49
	;; [unrolled: 1-line block ×4, first 2 shown]
	v_ldexp_f32 v75, v75, v191
	v_cmp_ngt_f32_e32 vcc, s69, v74
	v_add_f32_e32 v49, v196, v49
	v_cndmask_b32_e32 v75, 0, v75, vcc
	v_cmp_nlt_f32_e32 vcc, s68, v74
	v_add_f32_e32 v49, v199, v49
	v_cndmask_b32_e32 v75, v174, v75, vcc
	v_cmp_le_f32_e32 vcc, s53, v74
	v_add_f32_e32 v49, v198, v49
	v_cndmask_b32_e32 v74, 0, v75, vcc
	v_fmac_f32_e32 v49, v204, v74
	v_cvt_f16_f32_e32 v74, v74
	v_pk_mul_f16 v192, v74, v73 op_sel_hi:[0,1]
	v_pk_mul_f16 v191, v74, v72 op_sel_hi:[0,1]
	v_cvt_f16_f32_e32 v72, v195
	v_cvt_f16_f32_e32 v73, v194
	v_pk_mul_f16 v180, v74, v180 op_sel_hi:[0,1]
	v_pk_mul_f16 v179, v74, v179 op_sel_hi:[0,1]
	;; [unrolled: 1-line block ×10, first 2 shown]
	v_pack_b32_f16 v74, v72, v73
	v_cvt_f16_f32_e32 v72, v200
	v_cvt_f16_f32_e32 v73, v201
	;; [unrolled: 1-line block ×3, first 2 shown]
	v_pack_b32_f16 v75, v73, v72
	v_cvt_f16_f32_e32 v72, v196
	v_cvt_f16_f32_e32 v73, v197
	global_load_dwordx4 v[194:197], v[60:61], off
	v_pack_b32_f16 v72, v73, v72
	v_cvt_f16_f32_e32 v73, v198
	v_pack_b32_f16 v73, v186, v73
	s_waitcnt vmcnt(0)
	ds_write_b128 v41, v[194:197]
	v_add_co_u32_e32 v194, vcc, v62, v42
	v_addc_co_u32_e32 v195, vcc, 0, v1, vcc
	global_load_dwordx4 v[194:197], v[194:195], off
	s_waitcnt vmcnt(0)
	ds_write_b128 v43, v[194:197]
	v_add_co_u32_e32 v194, vcc, v64, v42
	v_addc_co_u32_e32 v195, vcc, 0, v15, vcc
	global_load_dwordx4 v[194:197], v[194:195], off
	v_add_co_u32_e32 v56, vcc, s59, v56
	v_addc_co_u32_e32 v57, vcc, 0, v57, vcc
	v_add_co_u32_e32 v58, vcc, s59, v58
	v_addc_co_u32_e32 v59, vcc, 0, v59, vcc
	v_add_co_u32_e32 v60, vcc, s70, v60
	s_waitcnt vmcnt(0)
	ds_write_b128 v163, v[194:197]
	s_waitcnt lgkmcnt(0)
	s_barrier
	ds_read_u16 v186, v76 offset:208
	ds_read_u16 v198, v76 offset:416
	v_cvt_f32_f16_e32 v196, v179
	v_cvt_f32_f16_sdwa v197, v179 dst_sel:DWORD dst_unused:UNUSED_PAD src0_sel:WORD_1
	ds_read_u16 v179, v77
	ds_read_u16 v200, v77 offset:32
	v_cvt_f32_f16_e32 v194, v180
	v_cvt_f32_f16_sdwa v195, v180 dst_sel:DWORD dst_unused:UNUSED_PAD src0_sel:WORD_1
	s_waitcnt lgkmcnt(1)
	v_perm_b32 v199, v179, v198, s12
	ds_read_u16 v179, v71
	ds_read_u16 v201, v71 offset:32
	s_waitcnt lgkmcnt(1)
	v_perm_b32 v198, v186, v179, s12
	s_nop 1
	v_mfma_f32_16x16x16f16 v[194:197], v[198:199], v[74:75], v[194:197]
	ds_read_u16 v198, v71 offset:6656
	ds_read_u16 v202, v164 offset:208
	;; [unrolled: 1-line block ×4, first 2 shown]
	s_waitcnt lgkmcnt(2)
	v_perm_b32 v198, v202, v198, s12
	s_waitcnt lgkmcnt(0)
	v_perm_b32 v199, v203, v199, s12
	s_nop 2
	v_cvt_f16_f32_e32 v179, v194
	v_cvt_f16_f32_e32 v180, v195
	;; [unrolled: 1-line block ×4, first 2 shown]
	v_cvt_f32_f16_e32 v194, v179
	v_cvt_f32_f16_e32 v195, v180
	;; [unrolled: 1-line block ×4, first 2 shown]
	s_nop 1
	v_mfma_f32_16x16x16f16 v[194:197], v[198:199], v[72:73], v[194:197]
	s_nop 7
	s_nop 2
	v_cvt_f16_f32_e32 v179, v194
	v_cvt_f16_f32_e32 v180, v195
	;; [unrolled: 1-line block ×4, first 2 shown]
	v_cvt_f32_f16_sdwa v195, v183 dst_sel:DWORD dst_unused:UNUSED_PAD src0_sel:WORD_1
	v_pack_b32_f16 v180, v179, v180
	v_cvt_f32_f16_e32 v196, v182
	v_pack_b32_f16 v179, v186, v194
	ds_read_u16 v186, v165 offset:208
	ds_read_u16 v198, v165 offset:416
	v_cvt_f32_f16_e32 v194, v183
	v_cvt_f32_f16_sdwa v197, v182 dst_sel:DWORD dst_unused:UNUSED_PAD src0_sel:WORD_1
	s_waitcnt lgkmcnt(1)
	v_perm_b32 v182, v186, v201, s12
	s_waitcnt lgkmcnt(0)
	v_perm_b32 v183, v200, v198, s12
	ds_read_u16 v198, v78 offset:6656
	ds_read_u16 v199, v79 offset:208
	;; [unrolled: 1-line block ×4, first 2 shown]
	v_mfma_f32_16x16x16f16 v[194:197], v[182:183], v[74:75], v[194:197]
	s_nop 7
	s_nop 2
	v_cvt_f16_f32_e32 v182, v194
	v_cvt_f16_f32_e32 v183, v195
	;; [unrolled: 1-line block ×4, first 2 shown]
	v_cvt_f32_f16_e32 v194, v182
	v_cvt_f32_f16_e32 v195, v183
	s_waitcnt lgkmcnt(0)
	v_perm_b32 v183, v201, v200, s12
	v_perm_b32 v182, v199, v198, s12
	v_cvt_f32_f16_e32 v196, v186
	v_cvt_f32_f16_e32 v197, v197
	s_nop 1
	v_mfma_f32_16x16x16f16 v[194:197], v[182:183], v[72:73], v[194:197]
	s_nop 7
	s_nop 2
	v_cvt_f16_f32_e32 v182, v194
	v_cvt_f16_f32_e32 v183, v195
	;; [unrolled: 1-line block ×4, first 2 shown]
	v_cvt_f32_f16_sdwa v195, v185 dst_sel:DWORD dst_unused:UNUSED_PAD src0_sel:WORD_1
	v_pack_b32_f16 v183, v182, v183
	v_cvt_f32_f16_e32 v196, v184
	v_pack_b32_f16 v182, v186, v194
	ds_read_u16 v186, v71 offset:64
	ds_read_u16 v198, v166 offset:208
	;; [unrolled: 1-line block ×4, first 2 shown]
	v_cvt_f32_f16_e32 v194, v185
	v_cvt_f32_f16_sdwa v197, v184 dst_sel:DWORD dst_unused:UNUSED_PAD src0_sel:WORD_1
	s_waitcnt lgkmcnt(2)
	v_perm_b32 v184, v198, v186, s12
	s_waitcnt lgkmcnt(0)
	v_perm_b32 v185, v200, v199, s12
	ds_read_u16 v198, v81 offset:6656
	ds_read_u16 v199, v82 offset:208
	;; [unrolled: 1-line block ×4, first 2 shown]
	v_mfma_f32_16x16x16f16 v[194:197], v[184:185], v[74:75], v[194:197]
	s_nop 7
	s_nop 2
	v_cvt_f16_f32_e32 v184, v194
	v_cvt_f16_f32_e32 v185, v195
	;; [unrolled: 1-line block ×4, first 2 shown]
	v_cvt_f32_f16_e32 v194, v184
	v_cvt_f32_f16_e32 v195, v185
	s_waitcnt lgkmcnt(0)
	v_perm_b32 v185, v201, v200, s12
	v_perm_b32 v184, v199, v198, s12
	v_cvt_f32_f16_e32 v196, v186
	v_cvt_f32_f16_e32 v197, v197
	s_nop 1
	v_mfma_f32_16x16x16f16 v[194:197], v[184:185], v[72:73], v[194:197]
	s_nop 7
	s_nop 2
	v_cvt_f16_f32_e32 v184, v194
	v_cvt_f16_f32_e32 v185, v195
	;; [unrolled: 1-line block ×4, first 2 shown]
	v_cvt_f32_f16_sdwa v195, v193 dst_sel:DWORD dst_unused:UNUSED_PAD src0_sel:WORD_1
	v_pack_b32_f16 v185, v184, v185
	v_cvt_f32_f16_e32 v196, v181
	v_pack_b32_f16 v184, v186, v194
	ds_read_u16 v186, v71 offset:96
	ds_read_u16 v198, v167 offset:208
	;; [unrolled: 1-line block ×4, first 2 shown]
	v_cvt_f32_f16_e32 v194, v193
	v_cvt_f32_f16_sdwa v197, v181 dst_sel:DWORD dst_unused:UNUSED_PAD src0_sel:WORD_1
	s_waitcnt lgkmcnt(2)
	v_perm_b32 v198, v198, v186, s12
	s_waitcnt lgkmcnt(0)
	v_perm_b32 v199, v200, v199, s12
	s_nop 1
	v_mfma_f32_16x16x16f16 v[194:197], v[198:199], v[74:75], v[194:197]
	ds_read_u16 v198, v84 offset:6656
	ds_read_u16 v200, v85 offset:208
	;; [unrolled: 1-line block ×4, first 2 shown]
	s_waitcnt lgkmcnt(2)
	v_perm_b32 v198, v200, v198, s12
	s_waitcnt lgkmcnt(0)
	v_perm_b32 v199, v201, v199, s12
	s_nop 2
	v_cvt_f16_f32_e32 v181, v194
	v_cvt_f16_f32_e32 v186, v195
	;; [unrolled: 1-line block ×4, first 2 shown]
	v_cvt_f32_f16_e32 v194, v181
	v_cvt_f32_f16_e32 v195, v186
	;; [unrolled: 1-line block ×4, first 2 shown]
	s_nop 1
	v_mfma_f32_16x16x16f16 v[194:197], v[198:199], v[72:73], v[194:197]
	s_nop 7
	s_nop 2
	v_cvt_f16_f32_e32 v181, v194
	v_cvt_f16_f32_e32 v186, v195
	;; [unrolled: 1-line block ×4, first 2 shown]
	v_cvt_f32_f16_sdwa v195, v188 dst_sel:DWORD dst_unused:UNUSED_PAD src0_sel:WORD_1
	v_pack_b32_f16 v181, v181, v186
	v_cvt_f32_f16_e32 v196, v187
	v_pack_b32_f16 v186, v193, v194
	ds_read_u16 v193, v71 offset:128
	ds_read_u16 v198, v168 offset:208
	;; [unrolled: 1-line block ×4, first 2 shown]
	v_cvt_f32_f16_e32 v194, v188
	v_cvt_f32_f16_sdwa v197, v187 dst_sel:DWORD dst_unused:UNUSED_PAD src0_sel:WORD_1
	s_waitcnt lgkmcnt(2)
	v_perm_b32 v198, v198, v193, s12
	s_waitcnt lgkmcnt(0)
	v_perm_b32 v199, v200, v199, s12
	s_nop 1
	v_mfma_f32_16x16x16f16 v[194:197], v[198:199], v[74:75], v[194:197]
	ds_read_u16 v198, v87 offset:6656
	ds_read_u16 v200, v88 offset:208
	;; [unrolled: 1-line block ×4, first 2 shown]
	s_waitcnt lgkmcnt(2)
	v_perm_b32 v198, v200, v198, s12
	s_waitcnt lgkmcnt(0)
	v_perm_b32 v199, v201, v199, s12
	s_nop 2
	v_cvt_f16_f32_e32 v187, v194
	v_cvt_f16_f32_e32 v188, v195
	;; [unrolled: 1-line block ×4, first 2 shown]
	v_cvt_f32_f16_e32 v194, v187
	v_cvt_f32_f16_e32 v195, v188
	;; [unrolled: 1-line block ×4, first 2 shown]
	s_nop 1
	v_mfma_f32_16x16x16f16 v[194:197], v[198:199], v[72:73], v[194:197]
	s_nop 7
	s_nop 2
	v_cvt_f16_f32_e32 v187, v194
	v_cvt_f16_f32_e32 v188, v195
	;; [unrolled: 1-line block ×4, first 2 shown]
	v_cvt_f32_f16_sdwa v195, v192 dst_sel:DWORD dst_unused:UNUSED_PAD src0_sel:WORD_1
	v_pack_b32_f16 v188, v187, v188
	v_cvt_f32_f16_e32 v196, v191
	v_pack_b32_f16 v187, v193, v194
	ds_read_u16 v198, v71 offset:160
	ds_read_u16 v199, v169 offset:208
	;; [unrolled: 1-line block ×4, first 2 shown]
	v_cvt_f32_f16_e32 v194, v192
	v_cvt_f32_f16_sdwa v197, v191 dst_sel:DWORD dst_unused:UNUSED_PAD src0_sel:WORD_1
	s_waitcnt lgkmcnt(2)
	v_perm_b32 v192, v199, v198, s12
	s_waitcnt lgkmcnt(0)
	v_perm_b32 v193, v200, v193, s12
	s_nop 1
	v_mfma_f32_16x16x16f16 v[192:195], v[192:193], v[74:75], v[194:197]
	s_nop 6
	ds_read_u16 v196, v90 offset:6656
	ds_read_u16 v197, v91 offset:208
	;; [unrolled: 1-line block ×4, first 2 shown]
	s_waitcnt lgkmcnt(0)
	s_barrier
	v_cvt_f16_f32_e32 v74, v192
	v_cvt_f16_f32_e32 v75, v193
	;; [unrolled: 1-line block ×4, first 2 shown]
	v_cvt_f32_f16_e32 v192, v74
	v_cvt_f32_f16_e32 v193, v75
	v_perm_b32 v75, v199, v198, s12
	v_perm_b32 v74, v197, v196, s12
	v_cvt_f32_f16_e32 v194, v191
	v_cvt_f32_f16_e32 v195, v195
	s_nop 1
	v_mfma_f32_16x16x16f16 v[72:75], v[74:75], v[72:73], v[192:195]
	s_nop 7
	s_nop 2
	v_cvt_f16_f32_e32 v72, v72
	v_cvt_f16_f32_e32 v73, v73
	;; [unrolled: 1-line block ×4, first 2 shown]
	v_pack_b32_f16 v73, v72, v73
	v_pack_b32_f16 v72, v74, v75
	v_mov_b32_e32 v74, s71
	v_addc_co_u32_e32 v61, vcc, v61, v74, vcc
	v_add_co_u32_e32 v62, vcc, s70, v62
	v_addc_co_u32_e32 v1, vcc, v1, v74, vcc
	v_add_co_u32_e32 v64, vcc, s70, v64
	;; [unrolled: 2-line block ×3, first 2 shown]
	v_mov_b32_e32 v74, s73
	v_addc_co_u32_e32 v67, vcc, v67, v74, vcc
	v_add_co_u32_e32 v68, vcc, s72, v68
	v_addc_co_u32_e32 v23, vcc, v23, v74, vcc
	v_add_co_u32_e32 v70, vcc, s72, v70
	v_addc_co_u32_e32 v25, vcc, v25, v74, vcc
	s_cbranch_scc1 .LBB14_145
.LBB14_146:                             ;   in Loop: Header=BB14_14 Depth=1
	s_lshl_b32 s62, s2, 6
	s_lshl_b64 s[2:3], s[62:63], 1
	v_add_co_u32_e32 v1, vcc, s2, v48
	v_mov_b32_e32 v15, s3
	v_addc_co_u32_e32 v15, vcc, v45, v15, vcc
	v_lshlrev_b32_e32 v23, 1, v22
	v_add_co_u32_e32 v1, vcc, v1, v23
	v_addc_co_u32_e32 v15, vcc, 0, v15, vcc
	v_lshlrev_b64 v[52:53], 1, v[52:53]
	v_add_co_u32_e32 v52, vcc, v1, v52
	v_addc_co_u32_e32 v53, vcc, v15, v53, vcc
	global_load_dword v23, v[52:53], off
	v_lshlrev_b64 v[52:53], 1, v[54:55]
	v_add_co_u32_e32 v52, vcc, v1, v52
	v_addc_co_u32_e32 v53, vcc, v15, v53, vcc
	global_load_dword v1, v[52:53], off
	s_mul_i32 s2, s39, s62
	s_mul_hi_u32 s3, s38, s62
	s_add_i32 s3, s3, s2
	s_mul_i32 s2, s38, s62
	s_lshl_b64 s[2:3], s[2:3], 2
	s_add_u32 s2, s65, s2
	v_add_u32_e32 v25, v102, v161
	s_addc_u32 s3, s66, s3
	v_mov_b32_e32 v15, s3
	s_waitcnt vmcnt(1)
	ds_write_b32 v25, v23 offset:13312
	s_waitcnt vmcnt(0)
	ds_write_b32 v25, v1 offset:14464
	v_add_co_u32_e32 v1, vcc, s2, v20
	v_addc_co_u32_e32 v15, vcc, v15, v21, vcc
	v_add_co_u32_e32 v52, vcc, v1, v94
	v_addc_co_u32_e32 v53, vcc, 0, v15, vcc
	global_load_dwordx4 v[52:55], v[52:53], off offset:128
	v_add_co_u32_e32 v1, vcc, s2, v30
	v_mov_b32_e32 v15, s3
	v_addc_co_u32_e32 v15, vcc, v15, v31, vcc
	s_waitcnt vmcnt(0)
	ds_write_b128 v41, v[52:55]
	v_add_co_u32_e32 v52, vcc, v1, v95
	v_addc_co_u32_e32 v53, vcc, 0, v15, vcc
	global_load_dwordx4 v[52:55], v[52:53], off
	v_add_co_u32_e32 v1, vcc, s2, v32
	v_mov_b32_e32 v15, s3
	v_addc_co_u32_e32 v15, vcc, v15, v33, vcc
	s_mul_i32 s2, s35, s62
	s_mul_hi_u32 s3, s34, s62
	s_add_i32 s3, s3, s2
	s_mul_i32 s2, s34, s62
	s_lshl_b64 s[2:3], s[2:3], 2
	s_add_u32 s2, s84, s2
	s_addc_u32 s3, s64, s3
	s_cmp_eq_u64 s[74:75], 0
	s_waitcnt vmcnt(0)
	ds_write_b128 v43, v[52:55]
	v_add_co_u32_e32 v52, vcc, v1, v95
	v_addc_co_u32_e32 v53, vcc, 0, v15, vcc
	global_load_dwordx4 v[52:55], v[52:53], off
	v_add_u32_e32 v1, v39, v97
	v_cmp_lt_i32_e32 vcc, v178, v176
	s_waitcnt vmcnt(0)
	ds_write_b128 v163, v[52:55]
	s_waitcnt lgkmcnt(0)
	s_barrier
	ds_read2_b64 v[52:55], v1 offset1:4
	s_waitcnt lgkmcnt(0)
	v_mfma_f32_16x16x16f16 v[56:59], v[52:53], v[10:11], 0
	v_mfma_f32_16x16x16f16 v[52:55], v[54:55], v[12:13], v[56:59]
	s_nop 7
	s_nop 1
	ds_read2_b64 v[56:59], v1 offset0:8 offset1:12
	s_waitcnt lgkmcnt(0)
	v_mfma_f32_16x16x16f16 v[52:55], v[56:57], v[6:7], v[52:55]
	v_mfma_f32_16x16x16f16 v[52:55], v[58:59], v[8:9], v[52:55]
	ds_read2_b64 v[56:59], v1 offset0:16 offset1:20
	v_add_u32_e32 v1, 0x1800, v1
	s_waitcnt lgkmcnt(0)
	v_mfma_f32_16x16x16f16 v[52:55], v[56:57], v[2:3], v[52:55]
	v_mfma_f32_16x16x16f16 v[52:55], v[58:59], v[4:5], v[52:55]
	ds_read2_b64 v[56:59], v1 offset0:64 offset1:68
	s_waitcnt lgkmcnt(0)
	v_mfma_f32_16x16x16f16 v[190:193], v[56:57], v[10:11], 0
	v_mfma_f32_16x16x16f16 v[10:13], v[58:59], v[12:13], v[190:193]
	ds_read2_b64 v[56:59], v1 offset0:72 offset1:76
	s_waitcnt lgkmcnt(0)
	v_mfma_f32_16x16x16f16 v[10:13], v[56:57], v[6:7], v[10:13]
	v_mfma_f32_16x16x16f16 v[6:9], v[58:59], v[8:9], v[10:13]
	s_nop 7
	s_nop 1
	ds_read2_b64 v[10:13], v1 offset0:80 offset1:84
	s_waitcnt lgkmcnt(0)
	v_mfma_f32_16x16x16f16 v[6:9], v[10:11], v[2:3], v[6:9]
	v_add_u32_e32 v1, 0x3400, v47
	s_barrier
	ds_read2_b32 v[10:11], v1 offset1:1
	ds_read_b32 v1, v98 offset:13312
	ds_read_b32 v2, v99 offset:13312
	v_cndmask_b32_e32 v3, v175, v178, vcc
	v_cmp_lt_i32_e32 vcc, v177, v176
	v_mfma_f32_16x16x16f16 v[6:9], v[12:13], v[4:5], v[6:9]
	v_cndmask_b32_e32 v4, v175, v177, vcc
	v_lshlrev_b32_e32 v23, 2, v4
	s_waitcnt lgkmcnt(2)
	v_cvt_f32_f16_e32 v4, v10
	v_cvt_f32_f16_sdwa v5, v10 dst_sel:DWORD dst_unused:UNUSED_PAD src0_sel:WORD_1
	v_lshlrev_b32_e32 v3, 2, v3
	v_pk_add_f32 v[12:13], v[52:53], v[4:5]
	v_add_f32_e32 v4, 0x40051340, v12
	v_add_f32_e32 v5, 0x40051340, v13
	v_max3_f32 v10, v50, v4, v5
	s_waitcnt lgkmcnt(0)
	v_cvt_f32_f16_sdwa v5, v2 dst_sel:DWORD dst_unused:UNUSED_PAD src0_sel:WORD_1
	v_cvt_f32_f16_e32 v4, v2
	v_pk_add_f32 v[4:5], v[8:9], v[4:5]
	v_cvt_f32_f16_sdwa v9, v1 dst_sel:DWORD dst_unused:UNUSED_PAD src0_sel:WORD_1
	v_cvt_f32_f16_e32 v8, v1
	v_add_f32_e32 v2, 0x40051340, v4
	v_add_f32_e32 v15, 0x40051340, v5
	v_pk_add_f32 v[6:7], v[6:7], v[8:9]
	v_cvt_f32_f16_e32 v8, v11
	v_cvt_f32_f16_sdwa v9, v11 dst_sel:DWORD dst_unused:UNUSED_PAD src0_sel:WORD_1
	v_add_f32_e32 v1, 0x40051340, v6
	v_add_f32_e32 v25, 0x40051340, v7
	v_pk_add_f32 v[8:9], v[54:55], v[8:9]
	v_add_f32_e32 v11, 0x40051340, v8
	v_add_f32_e32 v45, 0x40051340, v9
	v_max3_f32 v10, v10, v11, v45
	v_max3_f32 v1, v10, v1, v25
	;; [unrolled: 1-line block ×3, first 2 shown]
	ds_bpermute_b32 v2, v3, v1
	s_waitcnt lgkmcnt(0)
	v_max_f32_e32 v2, v2, v2
	v_max_f32_e32 v1, v1, v2
	ds_bpermute_b32 v2, v23, v1
	s_waitcnt lgkmcnt(0)
	v_max_f32_e32 v2, v2, v2
	v_max_f32_e32 v2, v1, v2
	v_pk_add_f32 v[10:11], v[12:13], v[2:3] op_sel_hi:[1,0] neg_lo:[0,1] neg_hi:[0,1]
	v_mul_f32_e32 v1, 0x3fb8aa3b, v11
	v_fma_f32 v12, v11, s47, -v1
	v_rndne_f32_e32 v13, v1
	v_fmac_f32_e32 v12, 0x32a5705f, v11
	v_sub_f32_e32 v1, v1, v13
	v_add_f32_e32 v1, v1, v12
	v_exp_f32_e32 v1, v1
	v_cvt_i32_f32_e32 v12, v13
	v_cmp_ngt_f32_e32 vcc, s69, v11
	v_pk_add_f32 v[8:9], v[8:9], v[2:3] op_sel_hi:[1,0] neg_lo:[0,1] neg_hi:[0,1]
	v_pk_add_f32 v[6:7], v[6:7], v[2:3] op_sel_hi:[1,0] neg_lo:[0,1] neg_hi:[0,1]
	v_ldexp_f32 v1, v1, v12
	v_cndmask_b32_e32 v1, 0, v1, vcc
	v_cmp_nlt_f32_e32 vcc, s68, v11
	v_cndmask_b32_e32 v11, v174, v1, vcc
	v_mul_f32_e32 v1, 0x3fb8aa3b, v10
	v_fma_f32 v12, v10, s47, -v1
	v_rndne_f32_e32 v13, v1
	v_fmac_f32_e32 v12, 0x32a5705f, v10
	v_sub_f32_e32 v1, v1, v13
	v_add_f32_e32 v1, v1, v12
	v_exp_f32_e32 v1, v1
	v_cvt_i32_f32_e32 v12, v13
	v_cmp_ngt_f32_e32 vcc, s69, v10
	v_pk_add_f32 v[4:5], v[4:5], v[2:3] op_sel_hi:[1,0] neg_lo:[0,1] neg_hi:[0,1]
	v_ldexp_f32 v1, v1, v12
	v_cndmask_b32_e32 v1, 0, v1, vcc
	v_cmp_nlt_f32_e32 vcc, s68, v10
	v_cndmask_b32_e32 v10, v174, v1, vcc
	v_mul_f32_e32 v1, 0x3fb8aa3b, v9
	v_fma_f32 v12, v9, s47, -v1
	v_rndne_f32_e32 v13, v1
	v_fmac_f32_e32 v12, 0x32a5705f, v9
	v_sub_f32_e32 v1, v1, v13
	v_add_f32_e32 v1, v1, v12
	v_exp_f32_e32 v1, v1
	v_cvt_i32_f32_e32 v12, v13
	v_cmp_ngt_f32_e32 vcc, s69, v9
	v_ldexp_f32 v1, v1, v12
	v_cndmask_b32_e32 v1, 0, v1, vcc
	v_cmp_nlt_f32_e32 vcc, s68, v9
	v_cndmask_b32_e32 v52, v174, v1, vcc
	v_mul_f32_e32 v1, 0x3fb8aa3b, v8
	v_fma_f32 v9, v8, s47, -v1
	v_rndne_f32_e32 v12, v1
	v_fmac_f32_e32 v9, 0x32a5705f, v8
	v_sub_f32_e32 v1, v1, v12
	v_add_f32_e32 v1, v1, v9
	v_exp_f32_e32 v1, v1
	v_cvt_i32_f32_e32 v9, v12
	v_cmp_ngt_f32_e32 vcc, s69, v8
	;; [unrolled: 13-line block ×6, first 2 shown]
	v_ldexp_f32 v1, v1, v6
	v_cndmask_b32_e32 v1, 0, v1, vcc
	v_cmp_nlt_f32_e32 vcc, s68, v4
	v_cndmask_b32_e32 v56, v174, v1, vcc
	v_add_f32_e32 v1, v10, v11
	v_add_f32_e32 v1, v53, v1
	;; [unrolled: 1-line block ×7, first 2 shown]
	v_sub_f32_e32 v1, v50, v2
	v_mul_f32_e32 v4, 0x3fb8aa3b, v1
	v_fma_f32 v6, v1, s47, -v4
	v_rndne_f32_e32 v7, v4
	v_fmac_f32_e32 v6, 0x32a5705f, v1
	v_sub_f32_e32 v4, v4, v7
	v_add_f32_e32 v4, v4, v6
	v_exp_f32_e32 v4, v4
	v_cvt_i32_f32_e32 v6, v7
	v_cmp_ngt_f32_e32 vcc, s69, v1
	v_cvt_f16_f32_e32 v5, v5
	v_ldexp_f32 v4, v4, v6
	v_cndmask_b32_e32 v4, 0, v4, vcc
	v_cmp_nlt_f32_e32 vcc, s68, v1
	v_cndmask_b32_e32 v4, v174, v4, vcc
	v_cmp_le_f32_e32 vcc, s53, v1
	v_cndmask_b32_e32 v1, 0, v4, vcc
	v_cvt_f16_f32_e32 v4, v1
	v_fmac_f32_e32 v25, v49, v1
	ds_bpermute_b32 v3, v3, v25
	v_pk_mul_f16 v6, v4, v180 op_sel_hi:[0,1]
	v_pk_mul_f16 v1, v4, v179 op_sel_hi:[0,1]
	;; [unrolled: 1-line block ×12, first 2 shown]
	v_cvt_f16_f32_e32 v4, v10
	v_cvt_f16_f32_e32 v10, v11
	;; [unrolled: 1-line block ×3, first 2 shown]
	v_mov_b32_e32 v53, s3
	s_waitcnt lgkmcnt(0)
	v_add_f32_e32 v3, v25, v3
	v_pack_b32_f16 v10, v4, v10
	v_cvt_f16_f32_e32 v4, v52
	v_cvt_f16_f32_e32 v52, v55
	v_pack_b32_f16 v11, v11, v4
	v_cvt_f16_f32_e32 v4, v54
	v_pack_b32_f16 v4, v52, v4
	;; [unrolled: 2-line block ×3, first 2 shown]
	v_add_co_u32_e32 v52, vcc, s2, v18
	v_addc_co_u32_e32 v53, vcc, v53, v19, vcc
	v_add_co_u32_e32 v52, vcc, v52, v94
	v_addc_co_u32_e32 v53, vcc, 0, v53, vcc
	global_load_dwordx4 v[52:55], v[52:53], off offset:128
	s_waitcnt vmcnt(0)
	ds_write_b128 v41, v[52:55]
	v_add_co_u32_e32 v52, vcc, s2, v26
	v_mov_b32_e32 v53, s3
	v_addc_co_u32_e32 v53, vcc, v53, v27, vcc
	v_add_co_u32_e32 v52, vcc, v52, v95
	v_addc_co_u32_e32 v53, vcc, 0, v53, vcc
	global_load_dwordx4 v[52:55], v[52:53], off
	s_waitcnt vmcnt(0)
	ds_write_b128 v43, v[52:55]
	v_add_co_u32_e32 v52, vcc, s2, v28
	v_mov_b32_e32 v53, s3
	v_addc_co_u32_e32 v53, vcc, v53, v29, vcc
	v_add_co_u32_e32 v52, vcc, v52, v95
	v_addc_co_u32_e32 v53, vcc, 0, v53, vcc
	global_load_dwordx4 v[52:55], v[52:53], off
	s_cselect_b64 s[2:3], -1, 0
	s_xor_b64 s[6:7], s[0:1], -1
	s_or_b64 s[2:3], s[6:7], s[2:3]
	s_waitcnt vmcnt(0)
	ds_write_b128 v163, v[52:55]
	s_waitcnt lgkmcnt(0)
	s_barrier
	ds_read_u16 v56, v76 offset:208
	ds_read_u16 v57, v76 offset:416
	v_cvt_f32_f16_e32 v54, v1
	v_cvt_f32_f16_sdwa v55, v1 dst_sel:DWORD dst_unused:UNUSED_PAD src0_sel:WORD_1
	ds_read_u16 v1, v77
	ds_read_u16 v58, v77 offset:32
	v_cvt_f32_f16_e32 v52, v6
	v_cvt_f32_f16_sdwa v53, v6 dst_sel:DWORD dst_unused:UNUSED_PAD src0_sel:WORD_1
	s_waitcnt lgkmcnt(1)
	v_perm_b32 v57, v1, v57, s12
	ds_read_u16 v1, v71
	ds_read_u16 v59, v71 offset:32
	s_waitcnt lgkmcnt(1)
	v_perm_b32 v56, v56, v1, s12
	s_nop 1
	v_mfma_f32_16x16x16f16 v[52:55], v[56:57], v[10:11], v[52:55]
	ds_read_u16 v56, v71 offset:6656
	ds_read_u16 v60, v164 offset:208
	;; [unrolled: 1-line block ×4, first 2 shown]
	s_waitcnt lgkmcnt(2)
	v_perm_b32 v56, v60, v56, s12
	s_waitcnt lgkmcnt(0)
	v_perm_b32 v57, v61, v57, s12
	s_nop 2
	v_cvt_f16_f32_e32 v1, v52
	v_cvt_f16_f32_e32 v6, v53
	;; [unrolled: 1-line block ×4, first 2 shown]
	v_cvt_f32_f16_e32 v52, v1
	v_cvt_f32_f16_e32 v53, v6
	;; [unrolled: 1-line block ×4, first 2 shown]
	s_nop 1
	v_mfma_f32_16x16x16f16 v[52:55], v[56:57], v[4:5], v[52:55]
	ds_read_u16 v56, v165 offset:208
	ds_read_u16 v57, v165 offset:416
	s_waitcnt lgkmcnt(1)
	v_perm_b32 v56, v56, v59, s12
	s_waitcnt lgkmcnt(0)
	v_perm_b32 v57, v58, v57, s12
	s_nop 4
	v_cvt_f16_f32_e32 v1, v52
	v_cvt_f16_f32_e32 v6, v53
	v_cvt_f16_f32_e32 v52, v54
	v_cvt_f16_f32_e32 v53, v55
	v_cvt_f32_f16_e32 v54, v7
	v_pack_b32_f16 v6, v1, v6
	v_cvt_f32_f16_sdwa v55, v7 dst_sel:DWORD dst_unused:UNUSED_PAD src0_sel:WORD_1
	v_pack_b32_f16 v1, v52, v53
	v_cvt_f32_f16_e32 v52, v8
	v_cvt_f32_f16_sdwa v53, v8 dst_sel:DWORD dst_unused:UNUSED_PAD src0_sel:WORD_1
	s_nop 1
	v_mfma_f32_16x16x16f16 v[52:55], v[56:57], v[10:11], v[52:55]
	ds_read_u16 v56, v78 offset:6656
	ds_read_u16 v58, v79 offset:208
	ds_read_u16 v57, v79 offset:416
	ds_read_u16 v59, v80 offset:6656
	s_waitcnt lgkmcnt(2)
	v_perm_b32 v56, v58, v56, s12
	s_waitcnt lgkmcnt(0)
	v_perm_b32 v57, v59, v57, s12
	s_nop 2
	v_cvt_f16_f32_e32 v7, v52
	v_cvt_f16_f32_e32 v8, v53
	v_cvt_f16_f32_e32 v54, v54
	v_cvt_f16_f32_e32 v55, v55
	v_cvt_f32_f16_e32 v52, v7
	v_cvt_f32_f16_e32 v53, v8
	v_cvt_f32_f16_e32 v54, v54
	v_cvt_f32_f16_e32 v55, v55
	s_nop 1
	v_mfma_f32_16x16x16f16 v[52:55], v[56:57], v[4:5], v[52:55]
	ds_read_u16 v56, v71 offset:64
	ds_read_u16 v58, v166 offset:208
	ds_read_u16 v57, v166 offset:416
	ds_read_u16 v59, v77 offset:64
	s_waitcnt lgkmcnt(2)
	v_perm_b32 v56, v58, v56, s12
	s_waitcnt lgkmcnt(0)
	v_perm_b32 v57, v59, v57, s12
	s_nop 2
	v_cvt_f16_f32_e32 v7, v52
	v_cvt_f16_f32_e32 v8, v53
	v_cvt_f16_f32_e32 v52, v54
	v_cvt_f16_f32_e32 v53, v55
	v_cvt_f32_f16_e32 v54, v9
	v_pack_b32_f16 v8, v7, v8
	v_cvt_f32_f16_sdwa v55, v9 dst_sel:DWORD dst_unused:UNUSED_PAD src0_sel:WORD_1
	v_pack_b32_f16 v7, v52, v53
	v_cvt_f32_f16_e32 v52, v12
	v_cvt_f32_f16_sdwa v53, v12 dst_sel:DWORD dst_unused:UNUSED_PAD src0_sel:WORD_1
	s_nop 1
	v_mfma_f32_16x16x16f16 v[52:55], v[56:57], v[10:11], v[52:55]
	ds_read_u16 v56, v81 offset:6656
	ds_read_u16 v58, v82 offset:208
	ds_read_u16 v57, v82 offset:416
	ds_read_u16 v59, v83 offset:6656
	s_waitcnt lgkmcnt(2)
	v_perm_b32 v56, v58, v56, s12
	s_waitcnt lgkmcnt(0)
	v_perm_b32 v57, v59, v57, s12
	s_nop 2
	v_cvt_f16_f32_e32 v9, v52
	v_cvt_f16_f32_e32 v12, v53
	v_cvt_f16_f32_e32 v54, v54
	v_cvt_f16_f32_e32 v55, v55
	v_cvt_f32_f16_e32 v52, v9
	v_cvt_f32_f16_e32 v53, v12
	v_cvt_f32_f16_e32 v54, v54
	v_cvt_f32_f16_e32 v55, v55
	s_nop 1
	v_mfma_f32_16x16x16f16 v[52:55], v[56:57], v[4:5], v[52:55]
	ds_read_u16 v56, v71 offset:96
	ds_read_u16 v58, v167 offset:208
	;; [unrolled: 40-line block ×4, first 2 shown]
	ds_read_u16 v57, v169 offset:416
	ds_read_u16 v59, v77 offset:160
	s_waitcnt lgkmcnt(2)
	v_perm_b32 v56, v58, v56, s12
	s_waitcnt lgkmcnt(0)
	v_perm_b32 v57, v59, v57, s12
	s_nop 2
	v_cvt_f16_f32_e32 v15, v52
	v_cvt_f16_f32_e32 v50, v53
	;; [unrolled: 1-line block ×4, first 2 shown]
	v_cvt_f32_f16_e32 v54, v45
	v_pack_b32_f16 v50, v15, v50
	v_cvt_f32_f16_sdwa v55, v45 dst_sel:DWORD dst_unused:UNUSED_PAD src0_sel:WORD_1
	v_pack_b32_f16 v15, v52, v53
	v_cvt_f32_f16_e32 v52, v49
	v_cvt_f32_f16_sdwa v53, v49 dst_sel:DWORD dst_unused:UNUSED_PAD src0_sel:WORD_1
	s_nop 1
	v_mfma_f32_16x16x16f16 v[52:55], v[56:57], v[10:11], v[52:55]
	ds_read_u16 v56, v90 offset:6656
	ds_read_u16 v57, v91 offset:208
	ds_read_u16 v58, v91 offset:416
	ds_read_u16 v59, v92 offset:6656
	s_waitcnt lgkmcnt(0)
	s_barrier
	s_nop 4
	v_cvt_f16_f32_e32 v10, v52
	v_cvt_f16_f32_e32 v11, v53
	v_cvt_f16_f32_e32 v45, v54
	v_cvt_f16_f32_e32 v49, v55
	v_cvt_f32_f16_e32 v52, v10
	v_cvt_f32_f16_e32 v53, v11
	v_perm_b32 v11, v59, v58, s12
	v_perm_b32 v10, v57, v56, s12
	v_cvt_f32_f16_e32 v54, v45
	v_cvt_f32_f16_e32 v55, v49
	s_nop 1
	v_mfma_f32_16x16x16f16 v[52:55], v[10:11], v[4:5], v[52:55]
	s_nop 7
	s_nop 2
	v_cvt_f16_f32_e32 v4, v52
	v_cvt_f16_f32_e32 v5, v53
	;; [unrolled: 1-line block ×4, first 2 shown]
	v_pack_b32_f16 v4, v4, v5
	v_pack_b32_f16 v5, v10, v11
	ds_bpermute_b32 v10, v23, v3
	s_waitcnt lgkmcnt(0)
	v_add_f32_e32 v3, v3, v10
	s_and_saveexec_b64 s[6:7], s[2:3]
	s_xor_b64 s[8:9], exec, s[6:7]
	s_andn2_saveexec_b64 s[8:9], s[8:9]
	s_cbranch_execz .LBB14_148
; %bb.147:                              ;   in Loop: Header=BB14_14 Depth=1
	v_lshlrev_b32_e32 v10, 2, v38
	global_load_dword v11, v10, s[74:75]
	v_max_f32_e32 v10, v2, v2
	s_waitcnt vmcnt(0)
	v_max_f32_e32 v25, v11, v11
	v_max_f32_e32 v10, v10, v25
	v_sub_f32_e32 v2, v2, v10
	v_sub_f32_e32 v11, v11, v10
	v_mul_f32_e32 v25, 0x3fb8aa3b, v2
	v_mul_f32_e32 v45, 0x3fb8aa3b, v11
	v_fma_f32 v49, v2, s47, -v25
	v_rndne_f32_e32 v52, v25
	v_fma_f32 v53, v11, s47, -v45
	v_rndne_f32_e32 v54, v45
	v_fmac_f32_e32 v49, 0x32a5705f, v2
	v_sub_f32_e32 v25, v25, v52
	v_fmac_f32_e32 v53, 0x32a5705f, v11
	v_sub_f32_e32 v45, v45, v54
	v_add_f32_e32 v25, v25, v49
	v_cvt_i32_f32_e32 v52, v52
	v_add_f32_e32 v45, v45, v53
	v_exp_f32_e32 v25, v25
	v_cvt_i32_f32_e32 v54, v54
	v_exp_f32_e32 v45, v45
	v_cmp_ngt_f32_e32 vcc, s69, v2
	v_ldexp_f32 v25, v25, v52
	v_cndmask_b32_e32 v25, 0, v25, vcc
	v_ldexp_f32 v45, v45, v54
	v_cmp_ngt_f32_e32 vcc, s69, v11
	v_cndmask_b32_e32 v45, 0, v45, vcc
	v_cmp_nlt_f32_e32 vcc, s68, v2
	v_cndmask_b32_e32 v25, v174, v25, vcc
	v_cmp_le_f32_e32 vcc, s53, v2
	v_cndmask_b32_e32 v2, 0, v25, vcc
	v_cvt_f16_f32_e32 v25, v2
	v_cmp_nlt_f32_e32 vcc, s68, v11
	v_cndmask_b32_e32 v11, v174, v45, vcc
	v_fmac_f32_e32 v11, v3, v2
	v_pk_mul_f16 v6, v25, v6 op_sel_hi:[0,1]
	v_pk_mul_f16 v1, v25, v1 op_sel_hi:[0,1]
	;; [unrolled: 1-line block ×12, first 2 shown]
	v_pk_mov_b32 v[2:3], v[10:11], v[10:11] op_sel:[0,1]
.LBB14_148:                             ;   in Loop: Header=BB14_14 Depth=1
	s_or_b64 exec, exec, s[8:9]
	s_and_saveexec_b64 s[8:9], s[4:5]
	s_cbranch_execz .LBB14_150
; %bb.149:                              ;   in Loop: Header=BB14_14 Depth=1
	v_add_u32_e32 v10, 0, v109
	ds_write2_b32 v10, v2, v3 offset0:48 offset1:49
.LBB14_150:                             ;   in Loop: Header=BB14_14 Depth=1
	s_or_b64 exec, exec, s[8:9]
	s_waitcnt lgkmcnt(0)
	s_barrier
	s_mov_b64 s[2:3], exec
	v_readlane_b32 s6, v210, 17
	v_readlane_b32 s7, v210, 18
	s_and_b64 s[6:7], s[2:3], s[6:7]
	s_xor_b64 s[8:9], s[6:7], s[2:3]
	s_mov_b64 exec, s[6:7]
	s_cbranch_execz .LBB14_152
; %bb.151:                              ;   in Loop: Header=BB14_14 Depth=1
	s_barrier
	s_waitcnt lgkmcnt(0)
                                        ; implicit-def: $vgpr23
.LBB14_152:                             ;   in Loop: Header=BB14_14 Depth=1
	s_andn2_saveexec_b64 s[8:9], s[8:9]
	s_cbranch_execz .LBB14_156
; %bb.153:                              ;   in Loop: Header=BB14_14 Depth=1
	v_add_u32_e32 v10, 0, v110
	ds_read_b64 v[2:3], v10 offset:192
	s_waitcnt lgkmcnt(0)
	s_barrier
	ds_bpermute_b32 v11, v23, v2
	v_max_f32_e32 v25, v2, v2
	s_waitcnt lgkmcnt(0)
	v_max_f32_e32 v11, v11, v11
	v_max_f32_e32 v11, v25, v11
	v_sub_f32_e32 v2, v2, v11
	v_mul_f32_e32 v11, 0x3fb8aa3b, v2
	v_fma_f32 v25, v2, s47, -v11
	v_rndne_f32_e32 v45, v11
	v_fmac_f32_e32 v25, 0x32a5705f, v2
	v_sub_f32_e32 v11, v11, v45
	v_add_f32_e32 v11, v11, v25
	v_cvt_i32_f32_e32 v45, v45
	v_exp_f32_e32 v11, v11
	v_cmp_ngt_f32_e32 vcc, s69, v2
	v_ldexp_f32 v11, v11, v45
	v_cndmask_b32_e32 v11, 0, v11, vcc
	v_cmp_nlt_f32_e32 vcc, s68, v2
	v_cndmask_b32_e32 v2, v174, v11, vcc
	v_mul_f32_e32 v3, v3, v2
	ds_bpermute_b32 v11, v23, v3
	s_mov_b64 s[14:15], exec
	v_readlane_b32 s2, v210, 19
	v_readlane_b32 s3, v210, 20
	s_and_b64 s[2:3], s[14:15], s[2:3]
	s_mov_b64 exec, s[2:3]
	s_cbranch_execz .LBB14_155
; %bb.154:                              ;   in Loop: Header=BB14_14 Depth=1
	s_waitcnt lgkmcnt(0)
	v_add_f32_e32 v3, v3, v11
	ds_write_b64 v10, v[2:3] offset:192
.LBB14_155:                             ;   in Loop: Header=BB14_14 Depth=1
	s_or_b64 exec, exec, s[14:15]
.LBB14_156:                             ;   in Loop: Header=BB14_14 Depth=1
	s_or_b64 exec, exec, s[8:9]
	ds_write2_b32 v111, v6, v1 offset1:1
	ds_write2_b32 v111, v8, v7 offset0:8 offset1:9
	ds_write2_b32 v111, v12, v9 offset0:16 offset1:17
	;; [unrolled: 1-line block ×5, first 2 shown]
	s_waitcnt lgkmcnt(0)
	s_barrier
	s_and_saveexec_b64 s[14:15], s[0:1]
	s_cbranch_execz .LBB14_12
; %bb.157:                              ;   in Loop: Header=BB14_14 Depth=1
	v_add_u32_e32 v2, s13, v112
	v_or_b32_e32 v1, s87, v40
	v_cmp_gt_i32_e32 vcc, s36, v2
	v_cmp_gt_i32_e64 s[8:9], s33, v1
	s_and_b64 s[2:3], vcc, s[8:9]
	v_mov_b32_e32 v1, 0x47
	s_and_saveexec_b64 s[74:75], s[2:3]
	s_cbranch_execz .LBB14_159
; %bb.158:                              ;   in Loop: Header=BB14_14 Depth=1
	v_add_u32_e32 v1, 0, v113
	ds_read2st64_b32 v[4:5], v114 offset1:13
	ds_read2_b32 v[6:7], v1 offset0:48 offset1:49
	ds_read_b32 v8, v1 offset:3520
	v_mad_u64_u32 v[2:3], s[2:3], v2, s37, v[40:41]
	s_waitcnt lgkmcnt(2)
	v_cvt_f32_f16_sdwa v11, v4 dst_sel:DWORD dst_unused:UNUSED_PAD src0_sel:WORD_1
	v_cvt_f32_f16_e32 v10, v4
	v_cvt_f32_f16_sdwa v13, v5 dst_sel:DWORD dst_unused:UNUSED_PAD src0_sel:WORD_1
	v_cvt_f32_f16_e32 v12, v5
	v_mad_u64_u32 v[2:3], s[2:3], v2, 48, v[24:25]
	s_waitcnt lgkmcnt(1)
	v_pk_fma_f32 v[4:5], v[6:7], v[10:11], 0 op_sel_hi:[0,1,0]
	s_waitcnt lgkmcnt(0)
	v_pk_fma_f32 v[4:5], v[8:9], v[12:13], v[4:5] op_sel_hi:[0,1,1]
	v_div_scale_f32 v6, s[2:3], v7, v7, v5
	v_rcp_f32_e32 v8, v6
	v_ashrrev_i32_e32 v3, 31, v2
	v_lshlrev_b64 v[2:3], 3, v[2:3]
	v_mov_b32_e32 v1, s86
	v_add_co_u32_e32 v2, vcc, s85, v2
	v_addc_co_u32_e32 v3, vcc, v1, v3, vcc
	v_fma_f32 v1, -v6, v8, 1.0
	v_fmac_f32_e32 v8, v1, v8
	v_div_scale_f32 v1, vcc, v5, v7, v5
	v_mul_f32_e32 v9, v1, v8
	v_fma_f32 v10, -v6, v9, v1
	v_fmac_f32_e32 v9, v10, v8
	v_fma_f32 v1, -v6, v9, v1
	v_div_scale_f32 v6, s[2:3], v7, v7, v4
	v_rcp_f32_e32 v10, v6
	v_div_fmas_f32 v1, v1, v8, v9
	v_div_fixup_f32 v5, v1, v7, v5
	v_fma_f32 v1, -v6, v10, 1.0
	v_fmac_f32_e32 v10, v1, v10
	v_div_scale_f32 v1, vcc, v4, v7, v4
	v_mul_f32_e32 v8, v1, v10
	v_fma_f32 v9, -v6, v8, v1
	v_fmac_f32_e32 v8, v9, v10
	v_fma_f32 v1, -v6, v8, v1
	v_div_fmas_f32 v1, v1, v10, v8
	v_div_fixup_f32 v4, v1, v7, v4
	v_mov_b32_e32 v1, 0
	global_store_dwordx2 v[2:3], v[4:5], off
.LBB14_159:                             ;   in Loop: Header=BB14_14 Depth=1
	s_or_b64 exec, exec, s[74:75]
	s_movk_i32 s2, 0x47
	v_cmp_gt_i32_e32 vcc, s2, v1
	s_mov_b64 s[76:77], -1
	s_and_saveexec_b64 s[74:75], vcc
; %bb.160:                              ;   in Loop: Header=BB14_14 Depth=1
	v_cmp_eq_u32_e32 vcc, 0, v1
	s_orn2_b64 s[76:77], vcc, exec
; %bb.161:                              ;   in Loop: Header=BB14_14 Depth=1
	s_or_b64 exec, exec, s[74:75]
	s_and_saveexec_b64 s[74:75], s[76:77]
	s_cbranch_execz .LBB14_194
; %bb.162:                              ;   in Loop: Header=BB14_14 Depth=1
	v_add_u32_e32 v2, s13, v115
	v_cmp_gt_i32_e32 vcc, s36, v2
	s_and_b64 s[2:3], vcc, s[8:9]
	v_mov_b32_e32 v1, 0x47
	s_and_saveexec_b64 s[76:77], s[2:3]
	s_cbranch_execz .LBB14_164
; %bb.163:                              ;   in Loop: Header=BB14_14 Depth=1
	v_add_u32_e32 v1, 0, v116
	ds_read2_b32 v[4:5], v1 offset0:48 offset1:49
	ds_read2st64_b32 v[6:7], v117 offset1:13
	ds_read_b32 v8, v1 offset:3520
	v_mad_u64_u32 v[2:3], s[2:3], v2, s37, v[40:41]
	v_mad_u64_u32 v[2:3], s[2:3], v2, 48, v[24:25]
	s_waitcnt lgkmcnt(1)
	v_cvt_f32_f16_sdwa v11, v6 dst_sel:DWORD dst_unused:UNUSED_PAD src0_sel:WORD_1
	v_cvt_f32_f16_e32 v10, v6
	v_cvt_f32_f16_sdwa v13, v7 dst_sel:DWORD dst_unused:UNUSED_PAD src0_sel:WORD_1
	v_cvt_f32_f16_e32 v12, v7
	v_ashrrev_i32_e32 v3, 31, v2
	v_lshlrev_b64 v[2:3], 3, v[2:3]
	v_pk_fma_f32 v[10:11], v[4:5], v[10:11], 0 op_sel_hi:[0,1,0]
	v_add_co_u32_e32 v2, vcc, s85, v2
	v_mov_b32_e32 v1, s86
	s_waitcnt lgkmcnt(0)
	v_pk_fma_f32 v[6:7], v[8:9], v[12:13], v[10:11] op_sel_hi:[0,1,1]
	v_addc_co_u32_e32 v3, vcc, v1, v3, vcc
	v_div_scale_f32 v1, s[2:3], v5, v5, v7
	v_rcp_f32_e32 v4, v1
	v_fma_f32 v8, -v1, v4, 1.0
	v_fmac_f32_e32 v4, v8, v4
	v_div_scale_f32 v8, vcc, v7, v5, v7
	v_mul_f32_e32 v9, v8, v4
	v_fma_f32 v10, -v1, v9, v8
	v_fmac_f32_e32 v9, v10, v4
	v_fma_f32 v1, -v1, v9, v8
	v_div_fmas_f32 v1, v1, v4, v9
	v_div_fixup_f32 v7, v1, v5, v7
	v_div_scale_f32 v1, s[2:3], v5, v5, v6
	v_rcp_f32_e32 v4, v1
	v_fma_f32 v8, -v1, v4, 1.0
	v_fmac_f32_e32 v4, v8, v4
	v_div_scale_f32 v8, vcc, v6, v5, v6
	v_mul_f32_e32 v9, v8, v4
	v_fma_f32 v10, -v1, v9, v8
	v_fmac_f32_e32 v9, v10, v4
	v_fma_f32 v1, -v1, v9, v8
	v_div_fmas_f32 v1, v1, v4, v9
	v_div_fixup_f32 v6, v1, v5, v6
	v_mov_b32_e32 v1, 0
	global_store_dwordx2 v[2:3], v[6:7], off
.LBB14_164:                             ;   in Loop: Header=BB14_14 Depth=1
	s_or_b64 exec, exec, s[76:77]
	s_movk_i32 s2, 0x47
	v_cmp_gt_i32_e32 vcc, s2, v1
	s_mov_b64 s[76:77], -1
	s_and_saveexec_b64 s[78:79], vcc
; %bb.165:                              ;   in Loop: Header=BB14_14 Depth=1
	v_cmp_eq_u32_e32 vcc, 0, v1
	s_orn2_b64 s[76:77], vcc, exec
; %bb.166:                              ;   in Loop: Header=BB14_14 Depth=1
	s_or_b64 exec, exec, s[78:79]
	s_and_b64 exec, exec, s[76:77]
	s_cbranch_execz .LBB14_194
; %bb.167:                              ;   in Loop: Header=BB14_14 Depth=1
	v_add_u32_e32 v2, s13, v118
	v_cmp_gt_i32_e32 vcc, s36, v2
	s_and_b64 s[2:3], vcc, s[8:9]
	v_mov_b32_e32 v1, 0x47
	s_and_saveexec_b64 s[76:77], s[2:3]
	s_cbranch_execz .LBB14_169
; %bb.168:                              ;   in Loop: Header=BB14_14 Depth=1
	v_add_u32_e32 v1, 0, v119
	ds_read2_b32 v[4:5], v1 offset0:48 offset1:49
	ds_read2st64_b32 v[6:7], v120 offset1:13
	ds_read_b32 v8, v1 offset:3520
	v_mad_u64_u32 v[2:3], s[2:3], v2, s37, v[40:41]
	v_mad_u64_u32 v[2:3], s[2:3], v2, 48, v[24:25]
	s_waitcnt lgkmcnt(1)
	v_cvt_f32_f16_sdwa v11, v6 dst_sel:DWORD dst_unused:UNUSED_PAD src0_sel:WORD_1
	v_cvt_f32_f16_e32 v10, v6
	v_cvt_f32_f16_sdwa v13, v7 dst_sel:DWORD dst_unused:UNUSED_PAD src0_sel:WORD_1
	v_cvt_f32_f16_e32 v12, v7
	v_ashrrev_i32_e32 v3, 31, v2
	v_lshlrev_b64 v[2:3], 3, v[2:3]
	v_pk_fma_f32 v[10:11], v[4:5], v[10:11], 0 op_sel_hi:[0,1,0]
	v_add_co_u32_e32 v2, vcc, s85, v2
	v_mov_b32_e32 v1, s86
	s_waitcnt lgkmcnt(0)
	v_pk_fma_f32 v[6:7], v[8:9], v[12:13], v[10:11] op_sel_hi:[0,1,1]
	v_addc_co_u32_e32 v3, vcc, v1, v3, vcc
	v_div_scale_f32 v1, s[2:3], v5, v5, v7
	v_rcp_f32_e32 v4, v1
	v_fma_f32 v8, -v1, v4, 1.0
	v_fmac_f32_e32 v4, v8, v4
	v_div_scale_f32 v8, vcc, v7, v5, v7
	v_mul_f32_e32 v9, v8, v4
	v_fma_f32 v10, -v1, v9, v8
	v_fmac_f32_e32 v9, v10, v4
	v_fma_f32 v1, -v1, v9, v8
	v_div_fmas_f32 v1, v1, v4, v9
	v_div_fixup_f32 v7, v1, v5, v7
	v_div_scale_f32 v1, s[2:3], v5, v5, v6
	v_rcp_f32_e32 v4, v1
	v_fma_f32 v8, -v1, v4, 1.0
	v_fmac_f32_e32 v4, v8, v4
	v_div_scale_f32 v8, vcc, v6, v5, v6
	v_mul_f32_e32 v9, v8, v4
	v_fma_f32 v10, -v1, v9, v8
	v_fmac_f32_e32 v9, v10, v4
	v_fma_f32 v1, -v1, v9, v8
	v_div_fmas_f32 v1, v1, v4, v9
	v_div_fixup_f32 v6, v1, v5, v6
	v_mov_b32_e32 v1, 0
	global_store_dwordx2 v[2:3], v[6:7], off
.LBB14_169:                             ;   in Loop: Header=BB14_14 Depth=1
	s_or_b64 exec, exec, s[76:77]
	s_movk_i32 s2, 0x47
	v_cmp_gt_i32_e32 vcc, s2, v1
	s_mov_b64 s[76:77], -1
	s_and_saveexec_b64 s[78:79], vcc
; %bb.170:                              ;   in Loop: Header=BB14_14 Depth=1
	v_cmp_eq_u32_e32 vcc, 0, v1
	s_orn2_b64 s[76:77], vcc, exec
; %bb.171:                              ;   in Loop: Header=BB14_14 Depth=1
	s_or_b64 exec, exec, s[78:79]
	s_and_b64 exec, exec, s[76:77]
	;; [unrolled: 64-line block ×6, first 2 shown]
	s_cbranch_execz .LBB14_194
; %bb.192:                              ;   in Loop: Header=BB14_14 Depth=1
	v_add_u32_e32 v1, s13, v133
	v_cmp_gt_i32_e32 vcc, s36, v1
	s_and_b64 s[2:3], vcc, s[8:9]
	s_and_b64 exec, exec, s[2:3]
	s_cbranch_execz .LBB14_194
; %bb.193:                              ;   in Loop: Header=BB14_14 Depth=1
	v_add_u32_e32 v8, 0, v134
	ds_read2st64_b32 v[4:5], v135 offset1:13
	ds_read2_b32 v[6:7], v8 offset0:48 offset1:49
	ds_read_b32 v8, v8 offset:3520
	v_mad_u64_u32 v[2:3], s[2:3], v1, s37, v[40:41]
	s_waitcnt lgkmcnt(2)
	v_cvt_f32_f16_sdwa v11, v4 dst_sel:DWORD dst_unused:UNUSED_PAD src0_sel:WORD_1
	v_cvt_f32_f16_e32 v10, v4
	v_cvt_f32_f16_sdwa v13, v5 dst_sel:DWORD dst_unused:UNUSED_PAD src0_sel:WORD_1
	v_cvt_f32_f16_e32 v12, v5
	v_mad_u64_u32 v[2:3], s[2:3], v2, 48, v[24:25]
	s_waitcnt lgkmcnt(1)
	v_pk_fma_f32 v[4:5], v[6:7], v[10:11], 0 op_sel_hi:[0,1,0]
	s_waitcnt lgkmcnt(0)
	v_pk_fma_f32 v[4:5], v[8:9], v[12:13], v[4:5] op_sel_hi:[0,1,1]
	v_div_scale_f32 v6, s[2:3], v7, v7, v5
	v_rcp_f32_e32 v8, v6
	v_ashrrev_i32_e32 v3, 31, v2
	v_lshlrev_b64 v[2:3], 3, v[2:3]
	v_mov_b32_e32 v1, s86
	v_add_co_u32_e32 v2, vcc, s85, v2
	v_addc_co_u32_e32 v3, vcc, v1, v3, vcc
	v_fma_f32 v1, -v6, v8, 1.0
	v_fmac_f32_e32 v8, v1, v8
	v_div_scale_f32 v1, vcc, v5, v7, v5
	v_mul_f32_e32 v9, v1, v8
	v_fma_f32 v10, -v6, v9, v1
	v_fmac_f32_e32 v9, v10, v8
	v_fma_f32 v1, -v6, v9, v1
	v_div_scale_f32 v6, s[2:3], v7, v7, v4
	v_rcp_f32_e32 v10, v6
	v_div_fmas_f32 v1, v1, v8, v9
	v_div_fixup_f32 v5, v1, v7, v5
	v_fma_f32 v1, -v6, v10, 1.0
	v_fmac_f32_e32 v10, v1, v10
	v_div_scale_f32 v1, vcc, v4, v7, v4
	v_mul_f32_e32 v8, v1, v10
	v_fma_f32 v9, -v6, v8, v1
	v_fmac_f32_e32 v8, v9, v10
	v_fma_f32 v1, -v6, v8, v1
	v_div_fmas_f32 v1, v1, v10, v8
	v_div_fixup_f32 v4, v1, v7, v4
	global_store_dwordx2 v[2:3], v[4:5], off
.LBB14_194:                             ;   in Loop: Header=BB14_14 Depth=1
	s_or_b64 exec, exec, s[74:75]
	v_add_u32_e32 v2, s13, v136
	v_cmp_gt_i32_e32 vcc, s36, v2
	s_and_b64 s[2:3], vcc, s[10:11]
	v_mov_b32_e32 v1, 0x47
	s_and_saveexec_b64 s[8:9], s[2:3]
	s_cbranch_execz .LBB14_196
; %bb.195:                              ;   in Loop: Header=BB14_14 Depth=1
	v_mad_u64_u32 v[2:3], s[2:3], v2, s37, v[34:35]
	v_mul_lo_u32 v7, v2, 48
	v_add_u32_e32 v2, 0x80, v138
	v_add_u32_e32 v1, 0, v137
	ds_read2st64_b32 v[2:3], v2 offset1:13
	ds_read2_b32 v[4:5], v1 offset0:48 offset1:49
	ds_read_b32 v6, v1 offset:3520
	v_ashrrev_i32_e32 v1, 31, v7
	v_or_b32_e32 v9, 0, v1
	s_waitcnt lgkmcnt(2)
	v_cvt_f32_f16_sdwa v11, v2 dst_sel:DWORD dst_unused:UNUSED_PAD src0_sel:WORD_1
	v_cvt_f32_f16_e32 v10, v2
	v_cvt_f32_f16_sdwa v13, v3 dst_sel:DWORD dst_unused:UNUSED_PAD src0_sel:WORD_1
	v_cvt_f32_f16_e32 v12, v3
	v_or_b32_e32 v8, v7, v14
	v_lshlrev_b64 v[2:3], 3, v[8:9]
	s_waitcnt lgkmcnt(1)
	v_pk_fma_f32 v[8:9], v[4:5], v[10:11], 0 op_sel_hi:[0,1,0]
	s_waitcnt lgkmcnt(0)
	v_pk_fma_f32 v[6:7], v[6:7], v[12:13], v[8:9] op_sel_hi:[0,1,1]
	v_div_scale_f32 v4, s[2:3], v5, v5, v7
	v_rcp_f32_e32 v8, v4
	v_mov_b32_e32 v1, s86
	v_add_co_u32_e32 v2, vcc, s85, v2
	v_addc_co_u32_e32 v3, vcc, v1, v3, vcc
	v_fma_f32 v1, -v4, v8, 1.0
	v_fmac_f32_e32 v8, v1, v8
	v_div_scale_f32 v1, vcc, v7, v5, v7
	v_mul_f32_e32 v9, v1, v8
	v_fma_f32 v10, -v4, v9, v1
	v_fmac_f32_e32 v9, v10, v8
	v_fma_f32 v1, -v4, v9, v1
	v_div_scale_f32 v4, s[2:3], v5, v5, v6
	v_rcp_f32_e32 v10, v4
	v_div_fmas_f32 v1, v1, v8, v9
	v_div_fixup_f32 v7, v1, v5, v7
	v_fma_f32 v1, -v4, v10, 1.0
	v_fmac_f32_e32 v10, v1, v10
	v_div_scale_f32 v1, vcc, v6, v5, v6
	v_mul_f32_e32 v8, v1, v10
	v_fma_f32 v9, -v4, v8, v1
	v_fmac_f32_e32 v8, v9, v10
	v_fma_f32 v1, -v4, v8, v1
	v_div_fmas_f32 v1, v1, v10, v8
	v_div_fixup_f32 v6, v1, v5, v6
	v_mov_b32_e32 v1, 0
	global_store_dwordx2 v[2:3], v[6:7], off offset:256
.LBB14_196:                             ;   in Loop: Header=BB14_14 Depth=1
	s_or_b64 exec, exec, s[8:9]
	s_movk_i32 s2, 0x47
	v_cmp_gt_i32_e32 vcc, s2, v1
	s_mov_b64 s[8:9], -1
	s_and_saveexec_b64 s[74:75], vcc
; %bb.197:                              ;   in Loop: Header=BB14_14 Depth=1
	v_cmp_eq_u32_e32 vcc, 0, v1
	s_orn2_b64 s[8:9], vcc, exec
; %bb.198:                              ;   in Loop: Header=BB14_14 Depth=1
	s_or_b64 exec, exec, s[74:75]
	s_and_b64 exec, exec, s[8:9]
	s_cbranch_execz .LBB14_12
; %bb.199:                              ;   in Loop: Header=BB14_14 Depth=1
	v_add_u32_e32 v2, s13, v139
	v_cmp_gt_i32_e32 vcc, s36, v2
	s_and_b64 s[2:3], vcc, s[10:11]
	v_mov_b32_e32 v1, 0x47
	s_and_saveexec_b64 s[8:9], s[2:3]
	s_cbranch_execz .LBB14_201
; %bb.200:                              ;   in Loop: Header=BB14_14 Depth=1
	v_mad_u64_u32 v[2:3], s[2:3], v2, s37, v[34:35]
	v_mul_lo_u32 v7, v2, 48
	v_add_u32_e32 v2, 0x80, v141
	v_add_u32_e32 v1, 0, v140
	ds_read2st64_b32 v[2:3], v2 offset1:13
	ds_read2_b32 v[4:5], v1 offset0:48 offset1:49
	ds_read_b32 v6, v1 offset:3520
	v_ashrrev_i32_e32 v1, 31, v7
	v_or_b32_e32 v9, 0, v1
	s_waitcnt lgkmcnt(2)
	v_cvt_f32_f16_sdwa v11, v2 dst_sel:DWORD dst_unused:UNUSED_PAD src0_sel:WORD_1
	v_cvt_f32_f16_e32 v10, v2
	v_cvt_f32_f16_sdwa v13, v3 dst_sel:DWORD dst_unused:UNUSED_PAD src0_sel:WORD_1
	v_cvt_f32_f16_e32 v12, v3
	v_or_b32_e32 v8, v7, v14
	v_lshlrev_b64 v[2:3], 3, v[8:9]
	s_waitcnt lgkmcnt(1)
	v_pk_fma_f32 v[8:9], v[4:5], v[10:11], 0 op_sel_hi:[0,1,0]
	s_waitcnt lgkmcnt(0)
	v_pk_fma_f32 v[6:7], v[6:7], v[12:13], v[8:9] op_sel_hi:[0,1,1]
	v_div_scale_f32 v4, s[2:3], v5, v5, v7
	v_rcp_f32_e32 v8, v4
	v_mov_b32_e32 v1, s86
	v_add_co_u32_e32 v2, vcc, s85, v2
	v_addc_co_u32_e32 v3, vcc, v1, v3, vcc
	v_fma_f32 v1, -v4, v8, 1.0
	v_fmac_f32_e32 v8, v1, v8
	v_div_scale_f32 v1, vcc, v7, v5, v7
	v_mul_f32_e32 v9, v1, v8
	v_fma_f32 v10, -v4, v9, v1
	v_fmac_f32_e32 v9, v10, v8
	v_fma_f32 v1, -v4, v9, v1
	v_div_scale_f32 v4, s[2:3], v5, v5, v6
	v_rcp_f32_e32 v10, v4
	v_div_fmas_f32 v1, v1, v8, v9
	v_div_fixup_f32 v7, v1, v5, v7
	v_fma_f32 v1, -v4, v10, 1.0
	v_fmac_f32_e32 v10, v1, v10
	v_div_scale_f32 v1, vcc, v6, v5, v6
	v_mul_f32_e32 v8, v1, v10
	v_fma_f32 v9, -v4, v8, v1
	v_fmac_f32_e32 v8, v9, v10
	v_fma_f32 v1, -v4, v8, v1
	v_div_fmas_f32 v1, v1, v10, v8
	v_div_fixup_f32 v6, v1, v5, v6
	v_mov_b32_e32 v1, 0
	global_store_dwordx2 v[2:3], v[6:7], off offset:256
.LBB14_201:                             ;   in Loop: Header=BB14_14 Depth=1
	s_or_b64 exec, exec, s[8:9]
	s_movk_i32 s2, 0x47
	v_cmp_gt_i32_e32 vcc, s2, v1
	s_mov_b64 s[8:9], -1
	s_and_saveexec_b64 s[74:75], vcc
; %bb.202:                              ;   in Loop: Header=BB14_14 Depth=1
	v_cmp_eq_u32_e32 vcc, 0, v1
	s_orn2_b64 s[8:9], vcc, exec
; %bb.203:                              ;   in Loop: Header=BB14_14 Depth=1
	s_or_b64 exec, exec, s[74:75]
	s_and_b64 exec, exec, s[8:9]
	s_cbranch_execz .LBB14_12
; %bb.204:                              ;   in Loop: Header=BB14_14 Depth=1
	v_add_u32_e32 v2, s13, v142
	v_cmp_gt_i32_e32 vcc, s36, v2
	s_and_b64 s[2:3], vcc, s[10:11]
	v_mov_b32_e32 v1, 0x47
	s_and_saveexec_b64 s[8:9], s[2:3]
	s_cbranch_execz .LBB14_206
; %bb.205:                              ;   in Loop: Header=BB14_14 Depth=1
	v_mad_u64_u32 v[2:3], s[2:3], v2, s37, v[34:35]
	v_mul_lo_u32 v7, v2, 48
	v_add_u32_e32 v2, 0x80, v144
	v_add_u32_e32 v1, 0, v143
	ds_read2st64_b32 v[2:3], v2 offset1:13
	ds_read2_b32 v[4:5], v1 offset0:48 offset1:49
	ds_read_b32 v6, v1 offset:3520
	v_ashrrev_i32_e32 v1, 31, v7
	v_or_b32_e32 v9, 0, v1
	s_waitcnt lgkmcnt(2)
	v_cvt_f32_f16_sdwa v11, v2 dst_sel:DWORD dst_unused:UNUSED_PAD src0_sel:WORD_1
	v_cvt_f32_f16_e32 v10, v2
	v_cvt_f32_f16_sdwa v13, v3 dst_sel:DWORD dst_unused:UNUSED_PAD src0_sel:WORD_1
	v_cvt_f32_f16_e32 v12, v3
	v_or_b32_e32 v8, v7, v14
	v_lshlrev_b64 v[2:3], 3, v[8:9]
	s_waitcnt lgkmcnt(1)
	v_pk_fma_f32 v[8:9], v[4:5], v[10:11], 0 op_sel_hi:[0,1,0]
	s_waitcnt lgkmcnt(0)
	v_pk_fma_f32 v[6:7], v[6:7], v[12:13], v[8:9] op_sel_hi:[0,1,1]
	v_div_scale_f32 v4, s[2:3], v5, v5, v7
	v_rcp_f32_e32 v8, v4
	v_mov_b32_e32 v1, s86
	v_add_co_u32_e32 v2, vcc, s85, v2
	v_addc_co_u32_e32 v3, vcc, v1, v3, vcc
	v_fma_f32 v1, -v4, v8, 1.0
	v_fmac_f32_e32 v8, v1, v8
	v_div_scale_f32 v1, vcc, v7, v5, v7
	v_mul_f32_e32 v9, v1, v8
	v_fma_f32 v10, -v4, v9, v1
	v_fmac_f32_e32 v9, v10, v8
	v_fma_f32 v1, -v4, v9, v1
	v_div_scale_f32 v4, s[2:3], v5, v5, v6
	v_rcp_f32_e32 v10, v4
	v_div_fmas_f32 v1, v1, v8, v9
	v_div_fixup_f32 v7, v1, v5, v7
	v_fma_f32 v1, -v4, v10, 1.0
	v_fmac_f32_e32 v10, v1, v10
	v_div_scale_f32 v1, vcc, v6, v5, v6
	v_mul_f32_e32 v8, v1, v10
	v_fma_f32 v9, -v4, v8, v1
	v_fmac_f32_e32 v8, v9, v10
	v_fma_f32 v1, -v4, v8, v1
	v_div_fmas_f32 v1, v1, v10, v8
	v_div_fixup_f32 v6, v1, v5, v6
	v_mov_b32_e32 v1, 0
	global_store_dwordx2 v[2:3], v[6:7], off offset:256
.LBB14_206:                             ;   in Loop: Header=BB14_14 Depth=1
	s_or_b64 exec, exec, s[8:9]
	s_movk_i32 s2, 0x47
	v_cmp_gt_i32_e32 vcc, s2, v1
	s_mov_b64 s[8:9], -1
	s_and_saveexec_b64 s[74:75], vcc
; %bb.207:                              ;   in Loop: Header=BB14_14 Depth=1
	v_cmp_eq_u32_e32 vcc, 0, v1
	s_orn2_b64 s[8:9], vcc, exec
; %bb.208:                              ;   in Loop: Header=BB14_14 Depth=1
	s_or_b64 exec, exec, s[74:75]
	s_and_b64 exec, exec, s[8:9]
	s_cbranch_execz .LBB14_12
; %bb.209:                              ;   in Loop: Header=BB14_14 Depth=1
	v_add_u32_e32 v1, s13, v145
	v_cmp_gt_i32_e32 vcc, s36, v1
	s_and_b64 s[2:3], vcc, s[10:11]
	s_and_b64 exec, exec, s[2:3]
	s_cbranch_execz .LBB14_12
; %bb.210:                              ;   in Loop: Header=BB14_14 Depth=1
	v_mad_u64_u32 v[2:3], s[2:3], v1, s37, v[34:35]
	v_add_u32_e32 v6, 0, v146
	v_mul_lo_u32 v1, v2, 48
	v_add_u32_e32 v2, 0x80, v147
	ds_read2st64_b32 v[2:3], v2 offset1:13
	ds_read2_b32 v[4:5], v6 offset0:48 offset1:49
	ds_read_b32 v6, v6 offset:3520
	v_ashrrev_i32_e32 v7, 31, v1
	v_or_b32_e32 v9, 0, v7
	s_waitcnt lgkmcnt(2)
	v_cvt_f32_f16_sdwa v11, v2 dst_sel:DWORD dst_unused:UNUSED_PAD src0_sel:WORD_1
	v_cvt_f32_f16_e32 v10, v2
	v_cvt_f32_f16_sdwa v13, v3 dst_sel:DWORD dst_unused:UNUSED_PAD src0_sel:WORD_1
	v_cvt_f32_f16_e32 v12, v3
	v_or_b32_e32 v8, v1, v14
	v_lshlrev_b64 v[2:3], 3, v[8:9]
	s_waitcnt lgkmcnt(1)
	v_pk_fma_f32 v[8:9], v[4:5], v[10:11], 0 op_sel_hi:[0,1,0]
	s_waitcnt lgkmcnt(0)
	v_pk_fma_f32 v[6:7], v[6:7], v[12:13], v[8:9] op_sel_hi:[0,1,1]
	v_div_scale_f32 v4, s[2:3], v5, v5, v7
	v_rcp_f32_e32 v8, v4
	v_mov_b32_e32 v1, s86
	v_add_co_u32_e32 v2, vcc, s85, v2
	v_addc_co_u32_e32 v3, vcc, v1, v3, vcc
	v_fma_f32 v1, -v4, v8, 1.0
	v_fmac_f32_e32 v8, v1, v8
	v_div_scale_f32 v1, vcc, v7, v5, v7
	v_mul_f32_e32 v9, v1, v8
	v_fma_f32 v10, -v4, v9, v1
	v_fmac_f32_e32 v9, v10, v8
	v_fma_f32 v1, -v4, v9, v1
	v_div_scale_f32 v4, s[2:3], v5, v5, v6
	v_rcp_f32_e32 v10, v4
	v_div_fmas_f32 v1, v1, v8, v9
	v_div_fixup_f32 v7, v1, v5, v7
	v_fma_f32 v1, -v4, v10, 1.0
	v_fmac_f32_e32 v10, v1, v10
	v_div_scale_f32 v1, vcc, v6, v5, v6
	v_mul_f32_e32 v8, v1, v10
	v_fma_f32 v9, -v4, v8, v1
	v_fmac_f32_e32 v8, v9, v10
	v_fma_f32 v1, -v4, v8, v1
	v_div_fmas_f32 v1, v1, v10, v8
	v_div_fixup_f32 v6, v1, v5, v6
	global_store_dwordx2 v[2:3], v[6:7], off offset:256
	s_branch .LBB14_12
.LBB14_211:
	v_readlane_b32 s53, v210, 14
	v_readlane_b32 s47, v210, 9
	;; [unrolled: 1-line block ×5, first 2 shown]
	s_andn2_b64 vcc, exec, s[8:9]
	s_cbranch_vccnz .LBB14_10
.LBB14_212:
	v_readlane_b32 s6, v210, 3
	s_abs_i32 s0, s6
	v_cvt_f32_u32_e32 v1, s0
	s_sub_i32 s3, 0, s0
	s_abs_i32 s2, s56
	s_xor_b32 s1, s56, s6
	v_rcp_iflag_f32_e32 v1, v1
	s_ashr_i32 s1, s1, 31
	v_readlane_b32 s8, v210, 2
	v_readlane_b32 s9, v210, 1
	v_mul_f32_e32 v1, 0x4f7ffffe, v1
	v_cvt_u32_f32_e32 v1, v1
	v_mov_b32_e32 v12, s67
	v_readfirstlane_b32 s4, v1
	s_mul_i32 s3, s3, s4
	s_mul_hi_u32 s3, s4, s3
	s_add_i32 s4, s4, s3
	s_mul_hi_u32 s3, s2, s4
	s_mul_i32 s4, s3, s0
	s_sub_i32 s2, s2, s4
	s_add_i32 s5, s3, 1
	s_sub_i32 s4, s2, s0
	s_cmp_ge_u32 s2, s0
	s_cselect_b32 s3, s5, s3
	s_cselect_b32 s2, s4, s2
	s_add_i32 s4, s3, 1
	s_cmp_ge_u32 s2, s0
	s_cselect_b32 s0, s4, s3
	s_abs_i32 s2, s8
	v_cvt_f32_u32_e32 v1, s2
	s_xor_b32 s0, s0, s1
	s_sub_i32 s5, s0, s1
	s_sub_i32 s3, 0, s2
	v_rcp_iflag_f32_e32 v1, v1
	s_mul_i32 s0, s5, s6
	s_sub_i32 s0, s56, s0
	s_abs_i32 s4, s0
	v_mul_f32_e32 v1, 0x4f7ffffe, v1
	v_cvt_u32_f32_e32 v1, v1
	s_xor_b32 s1, s0, s8
	s_ashr_i32 s1, s1, 31
	v_readfirstlane_b32 s6, v1
	s_mul_i32 s3, s3, s6
	s_mul_hi_u32 s3, s6, s3
	s_add_i32 s6, s6, s3
	s_mul_hi_u32 s3, s4, s6
	s_mul_i32 s6, s3, s2
	s_sub_i32 s4, s4, s6
	s_add_i32 s7, s3, 1
	s_sub_i32 s6, s4, s2
	s_cmp_ge_u32 s4, s2
	s_cselect_b32 s3, s7, s3
	s_cselect_b32 s4, s6, s4
	s_add_i32 s6, s3, 1
	s_cmp_ge_u32 s4, s2
	s_cselect_b32 s2, s6, s3
	s_abs_i32 s3, s9
	v_cvt_f32_u32_e32 v1, s3
	s_xor_b32 s2, s2, s1
	s_sub_i32 s4, 0, s3
	s_sub_i32 s6, s2, s1
	v_rcp_iflag_f32_e32 v1, v1
	s_mul_i32 s1, s6, s8
	s_sub_i32 s1, s0, s1
	s_abs_i32 s2, s1
	v_mul_f32_e32 v1, 0x4f7ffffe, v1
	v_cvt_u32_f32_e32 v1, v1
	s_xor_b32 s0, s1, s9
	s_ashr_i32 s0, s0, 31
	v_readfirstlane_b32 s7, v1
	s_mul_i32 s4, s4, s7
	s_mul_hi_u32 s4, s7, s4
	s_add_i32 s7, s7, s4
	s_mul_hi_u32 s4, s2, s7
	s_mul_i32 s7, s4, s3
	s_sub_i32 s2, s2, s7
	s_add_i32 s8, s4, 1
	s_sub_i32 s7, s2, s3
	s_cmp_ge_u32 s2, s3
	s_cselect_b32 s4, s8, s4
	s_cselect_b32 s2, s7, s2
	s_add_i32 s7, s4, 1
	s_cmp_ge_u32 s2, s3
	s_cselect_b32 s2, s7, s4
	s_xor_b32 s2, s2, s0
	s_sub_i32 s0, s2, s0
	s_mul_i32 s2, s0, s9
	s_sub_i32 s1, s1, s2
	s_ashr_i32 s2, s1, 31
	v_readlane_b32 s3, v210, 8
	s_abs_i32 s1, s1
	s_xor_b32 s2, s2, s3
	s_mul_hi_u32 s3, s1, s52
	s_mul_i32 s4, s3, s89
	s_sub_i32 s1, s1, s4
	s_add_i32 s4, s3, 1
	s_sub_i32 s7, s1, s89
	s_cmp_ge_u32 s1, s89
	s_cselect_b32 s3, s4, s3
	s_cselect_b32 s1, s7, s1
	s_add_i32 s4, s3, 1
	s_cmp_ge_u32 s1, s89
	s_cselect_b32 s1, s4, s3
	s_abs_i32 s7, s12
	v_cvt_f32_u32_e32 v1, s7
	s_xor_b32 s1, s1, s2
	s_sub_i32 s1, s1, s2
	s_cmp_eq_u64 s[26:27], 0
	v_rcp_iflag_f32_e32 v1, v1
	v_mul_f32_e32 v1, 0x4f7ffffe, v1
	v_cvt_u32_f32_e32 v1, v1
	v_readfirstlane_b32 s10, v1
	s_cbranch_scc1 .LBB14_214
; %bb.213:
	v_readlane_b32 s2, v210, 0
	s_mul_i32 s2, s5, s2
	s_add_i32 s2, s1, s2
	s_ashr_i32 s3, s2, 31
	s_lshl_b64 s[2:3], s[2:3], 2
	s_add_u32 s2, s26, s2
	s_addc_u32 s3, s27, s3
	v_mov_b32_e32 v1, 0
	global_load_dword v1, v1, s[2:3]
	s_waitcnt vmcnt(0)
	v_ashrrev_i32_e32 v2, 31, v1
	v_lshrrev_b32_e32 v2, 26, v2
	v_add_u32_e32 v1, v1, v2
	v_ashrrev_i32_e32 v1, 6, v1
	v_min_i32_e32 v12, s67, v1
.LBB14_214:
	v_readlane_b32 s8, v210, 4
	s_mul_i32 s2, s6, s33
	s_lshl_b32 s11, s0, 1
	v_readlane_b32 s9, v210, 5
	s_add_i32 s0, s11, s2
	s_mul_i32 s2, s5, s9
	s_ashr_i32 s3, s2, 31
	s_add_u32 s2, s16, s2
	s_mul_i32 s0, s0, s8
	v_and_b32_e32 v53, 0x3ff, v0
	s_addc_u32 s3, s17, s3
	s_ashr_i32 s4, s0, 31
	v_lshrrev_b32_e32 v52, 5, v53
	s_add_u32 s8, s2, s0
	v_bfe_u32 v0, v53, 5, 1
	v_add_u16_e32 v1, v52, v51
	s_addc_u32 s9, s3, s4
	s_lshl_b32 s4, s1, 4
	v_lshrrev_b16_e32 v1, 1, v1
	v_or_b32_e32 v2, s11, v0
	v_add_u32_e32 v1, s4, v1
	v_cmp_gt_i32_e64 s[0:1], s33, v2
	v_cmp_le_i32_e32 vcc, s36, v1
	s_xor_b64 s[0:1], s[0:1], -1
	v_and_b32_e32 v49, 31, v53
	v_add_u32_e32 v34, v52, v51
	s_or_b64 s[2:3], vcc, s[0:1]
	s_and_saveexec_b64 s[12:13], s[2:3]
	s_xor_b64 s[2:3], exec, s[12:13]
	s_cbranch_execz .LBB14_216
; %bb.215:
	v_mad_u32_u24 v1, v34, 52, v49
	v_lshl_add_u32 v1, v1, 2, 0
	v_mov_b32_e32 v2, 0
	ds_write_b32 v1, v2
                                        ; implicit-def: $vgpr1
.LBB14_216:
	s_andn2_saveexec_b64 s[2:3], s[2:3]
	s_cbranch_execz .LBB14_218
; %bb.217:
	v_mul_lo_u32 v1, v1, s57
	v_mul_lo_u32 v2, v0, s35
	v_add3_u32 v2, v2, v49, v1
	v_ashrrev_i32_e32 v3, 31, v2
	v_lshlrev_b64 v[2:3], 3, v[2:3]
	v_mov_b32_e32 v1, s9
	v_add_co_u32_e32 v2, vcc, s8, v2
	v_addc_co_u32_e32 v3, vcc, v1, v3, vcc
	global_load_dwordx2 v[2:3], v[2:3], off
	s_waitcnt vmcnt(0)
	v_cvt_f16_f32_e32 v1, v2
	v_cvt_f16_f32_e32 v2, v3
	v_mad_u32_u24 v3, v34, 52, v49
	v_pack_b32_f16 v1, v1, v2
	v_pk_mul_f16 v1, v35, v1
	v_lshl_add_u32 v2, v3, 2, 0
	ds_write_b32 v2, v1
.LBB14_218:
	s_or_b64 exec, exec, s[2:3]
	v_add_u32_e32 v36, 8, v34
	v_lshrrev_b32_e32 v1, 1, v36
	v_add_u32_e32 v1, s4, v1
	v_cmp_le_i32_e32 vcc, s36, v1
	s_or_b64 s[2:3], vcc, s[0:1]
	s_and_saveexec_b64 s[12:13], s[2:3]
	s_xor_b64 s[2:3], exec, s[12:13]
	s_cbranch_execz .LBB14_220
; %bb.219:
	v_mad_u32_u24 v1, v36, 52, v49
	v_lshl_add_u32 v1, v1, 2, 0
	v_mov_b32_e32 v2, 0
	ds_write_b32 v1, v2
                                        ; implicit-def: $vgpr1
.LBB14_220:
	s_andn2_saveexec_b64 s[2:3], s[2:3]
	s_cbranch_execz .LBB14_222
; %bb.221:
	v_mul_lo_u32 v1, v1, s57
	v_mul_lo_u32 v2, v0, s35
	v_add3_u32 v2, v2, v49, v1
	v_ashrrev_i32_e32 v3, 31, v2
	v_lshlrev_b64 v[2:3], 3, v[2:3]
	v_mov_b32_e32 v1, s9
	v_add_co_u32_e32 v2, vcc, s8, v2
	v_addc_co_u32_e32 v3, vcc, v1, v3, vcc
	global_load_dwordx2 v[2:3], v[2:3], off
	s_waitcnt vmcnt(0)
	v_cvt_f16_f32_e32 v1, v2
	v_cvt_f16_f32_e32 v2, v3
	v_mad_u32_u24 v3, v36, 52, v49
	v_pack_b32_f16 v1, v1, v2
	v_pk_mul_f16 v1, v35, v1
	v_lshl_add_u32 v2, v3, 2, 0
	ds_write_b32 v2, v1
.LBB14_222:
	s_or_b64 exec, exec, s[2:3]
	v_add_u32_e32 v1, 16, v34
	v_lshrrev_b32_e32 v2, 1, v1
	v_add_u32_e32 v2, s4, v2
	v_cmp_le_i32_e32 vcc, s36, v2
	s_or_b64 s[2:3], vcc, s[0:1]
	s_and_saveexec_b64 s[12:13], s[2:3]
	s_xor_b64 s[2:3], exec, s[12:13]
	s_cbranch_execz .LBB14_224
; %bb.223:
	v_mad_u32_u24 v1, v1, 52, v49
	v_lshl_add_u32 v1, v1, 2, 0
	v_mov_b32_e32 v2, 0
	ds_write_b32 v1, v2
                                        ; implicit-def: $vgpr2
                                        ; implicit-def: $vgpr1
.LBB14_224:
	s_andn2_saveexec_b64 s[2:3], s[2:3]
	s_cbranch_execz .LBB14_226
; %bb.225:
	v_mul_lo_u32 v2, v2, s57
	v_mul_lo_u32 v3, v0, s35
	v_add3_u32 v2, v3, v49, v2
	v_ashrrev_i32_e32 v3, 31, v2
	v_lshlrev_b64 v[2:3], 3, v[2:3]
	v_mov_b32_e32 v4, s9
	v_add_co_u32_e32 v2, vcc, s8, v2
	v_addc_co_u32_e32 v3, vcc, v4, v3, vcc
	global_load_dwordx2 v[2:3], v[2:3], off
	v_mad_u32_u24 v1, v1, 52, v49
	v_lshl_add_u32 v1, v1, 2, 0
	s_waitcnt vmcnt(0)
	v_cvt_f16_f32_e32 v2, v2
	v_cvt_f16_f32_e32 v3, v3
	v_pack_b32_f16 v2, v2, v3
	v_pk_mul_f16 v2, v35, v2
	ds_write_b32 v1, v2
.LBB14_226:
	s_or_b64 exec, exec, s[2:3]
	v_add_u32_e32 v1, 24, v34
	v_lshrrev_b32_e32 v2, 1, v1
	v_add_u32_e32 v2, s4, v2
	v_cmp_le_i32_e32 vcc, s36, v2
	s_sub_i32 s2, 0, s7
	s_or_b64 s[0:1], vcc, s[0:1]
	s_and_saveexec_b64 s[12:13], s[0:1]
	s_xor_b64 s[0:1], exec, s[12:13]
	s_cbranch_execz .LBB14_228
; %bb.227:
	v_mad_u32_u24 v0, v1, 52, v49
	v_lshl_add_u32 v0, v0, 2, 0
	v_mov_b32_e32 v1, 0
	ds_write_b32 v0, v1
                                        ; implicit-def: $vgpr2
                                        ; implicit-def: $vgpr0
                                        ; implicit-def: $vgpr1
.LBB14_228:
	s_or_saveexec_b64 s[0:1], s[0:1]
	s_mul_i32 s2, s2, s10
	s_xor_b64 exec, exec, s[0:1]
	s_cbranch_execz .LBB14_230
; %bb.229:
	v_mul_lo_u32 v2, v2, s57
	v_mul_lo_u32 v0, v0, s35
	v_add3_u32 v2, v0, v49, v2
	v_ashrrev_i32_e32 v3, 31, v2
	v_lshlrev_b64 v[2:3], 3, v[2:3]
	v_mov_b32_e32 v0, s9
	v_add_co_u32_e32 v2, vcc, s8, v2
	v_addc_co_u32_e32 v3, vcc, v0, v3, vcc
	global_load_dwordx2 v[2:3], v[2:3], off
	v_mad_u32_u24 v1, v1, 52, v49
	v_lshl_add_u32 v1, v1, 2, 0
	s_waitcnt vmcnt(0)
	v_cvt_f16_f32_e32 v0, v2
	v_cvt_f16_f32_e32 v2, v3
	v_pack_b32_f16 v0, v0, v2
	v_pk_mul_f16 v0, v35, v0
	ds_write_b32 v1, v0
.LBB14_230:
	s_or_b64 exec, exec, s[0:1]
	v_bfe_u32 v0, v53, 4, 1
	v_lshrrev_b32_e32 v50, 4, v53
	v_or_b32_e32 v2, s11, v0
	v_cmp_gt_i32_e32 vcc, s33, v2
	v_add_u16_e32 v2, v50, v37
	v_lshrrev_b16_e32 v2, 1, v2
	v_add_u32_e32 v2, s4, v2
	s_xor_b64 s[0:1], vcc, -1
	v_cmp_le_i32_e32 vcc, s36, v2
	s_mul_hi_u32 s12, s10, s2
	v_and_b32_e32 v48, 15, v53
	v_add_u32_e32 v1, v50, v37
	v_mul_lo_u32 v0, s35, v0
	s_or_b64 s[2:3], vcc, s[0:1]
	s_and_saveexec_b64 s[14:15], s[2:3]
	s_xor_b64 s[2:3], exec, s[14:15]
	s_cbranch_execz .LBB14_232
; %bb.231:
	v_mad_u32_u24 v2, v1, 52, v48
	v_lshl_add_u32 v2, v2, 2, 0
	v_mov_b32_e32 v3, 0
	ds_write_b32 v2, v3 offset:128
                                        ; implicit-def: $vgpr2
.LBB14_232:
	s_or_saveexec_b64 s[2:3], s[2:3]
	s_abs_i32 s11, s5
	s_add_i32 s10, s10, s12
	v_add3_u32 v0, v0, v48, 32
	s_xor_b64 exec, exec, s[2:3]
	s_cbranch_execz .LBB14_234
; %bb.233:
	v_mad_u64_u32 v[2:3], s[12:13], v2, s57, v[0:1]
	v_ashrrev_i32_e32 v3, 31, v2
	v_lshlrev_b64 v[2:3], 3, v[2:3]
	v_mov_b32_e32 v4, s9
	v_add_co_u32_e32 v2, vcc, s8, v2
	v_addc_co_u32_e32 v3, vcc, v4, v3, vcc
	global_load_dwordx2 v[2:3], v[2:3], off
	v_mad_u32_u24 v4, v1, 52, v48
	s_waitcnt vmcnt(0)
	v_cvt_f16_f32_e32 v2, v2
	v_cvt_f16_f32_e32 v3, v3
	v_pack_b32_f16 v2, v2, v3
	v_pk_mul_f16 v2, v35, v2
	v_lshl_add_u32 v3, v4, 2, 0
	ds_write_b32 v3, v2 offset:128
.LBB14_234:
	s_or_b64 exec, exec, s[2:3]
	v_add_u32_e32 v1, 16, v1
	v_lshrrev_b32_e32 v2, 1, v1
	v_add_u32_e32 v2, s4, v2
	v_cmp_le_i32_e32 vcc, s36, v2
	s_mul_hi_u32 s2, s11, s10
	s_or_b64 s[0:1], vcc, s[0:1]
	s_and_saveexec_b64 s[12:13], s[0:1]
	s_xor_b64 s[0:1], exec, s[12:13]
	s_cbranch_execz .LBB14_236
; %bb.235:
	v_mad_u32_u24 v0, v1, 52, v48
	v_lshl_add_u32 v0, v0, 2, 0
	v_mov_b32_e32 v1, 0
	ds_write_b32 v0, v1 offset:128
                                        ; implicit-def: $vgpr0
                                        ; implicit-def: $vgpr2
                                        ; implicit-def: $vgpr35
                                        ; implicit-def: $vgpr1
.LBB14_236:
	s_or_saveexec_b64 s[0:1], s[0:1]
	s_ashr_i32 s3, s5, 31
	s_xor_b64 exec, exec, s[0:1]
	s_cbranch_execz .LBB14_238
; %bb.237:
	v_mad_u64_u32 v[2:3], s[12:13], v2, s57, v[0:1]
	v_ashrrev_i32_e32 v3, 31, v2
	v_lshlrev_b64 v[2:3], 3, v[2:3]
	v_mov_b32_e32 v0, s9
	v_add_co_u32_e32 v2, vcc, s8, v2
	v_addc_co_u32_e32 v3, vcc, v0, v3, vcc
	global_load_dwordx2 v[2:3], v[2:3], off
	v_mad_u32_u24 v1, v1, 52, v48
	v_lshl_add_u32 v1, v1, 2, 0
	s_waitcnt vmcnt(0)
	v_cvt_f16_f32_e32 v0, v2
	v_cvt_f16_f32_e32 v2, v3
	v_pack_b32_f16 v0, v0, v2
	v_pk_mul_f16 v0, v35, v0
	ds_write_b32 v1, v0 offset:128
.LBB14_238:
	s_or_b64 exec, exec, s[0:1]
	s_mul_i32 s0, s5, s41
	s_mul_hi_u32 s1, s5, s40
	s_add_i32 s0, s1, s0
	s_mul_i32 s1, s3, s40
	v_readlane_b32 s8, v210, 6
	s_add_i32 s0, s0, s1
	s_mul_i32 s1, s5, s40
	v_readlane_b32 s9, v210, 7
	s_add_u32 s1, s18, s1
	s_mul_i32 s8, s6, s9
	s_addc_u32 s0, s19, s0
	s_ashr_i32 s9, s8, 31
	s_add_u32 s26, s1, s8
	s_mul_i32 s2, s2, s7
	s_addc_u32 s27, s0, s9
	s_sub_i32 s0, s11, s2
	s_sub_i32 s1, s0, s7
	s_cmp_ge_u32 s0, s7
	s_cselect_b32 s0, s1, s0
	s_sub_i32 s1, s0, s7
	s_cmp_ge_u32 s0, s7
	s_cselect_b32 s0, s1, s0
	s_xor_b32 s0, s0, s3
	s_sub_i32 s0, s0, s3
	s_ashr_i32 s1, s0, 31
	s_mul_i32 s2, s0, s51
	s_mul_hi_u32 s7, s0, s50
	s_add_i32 s2, s7, s2
	s_mul_i32 s1, s1, s50
	s_add_i32 s2, s2, s1
	s_mul_i32 s0, s0, s50
	s_add_u32 s28, s22, s0
	s_mul_i32 s0, s5, s49
	s_mul_hi_u32 s1, s5, s48
	s_addc_u32 s29, s23, s2
	s_add_i32 s0, s1, s0
	s_mul_i32 s3, s3, s48
	s_add_i32 s0, s0, s3
	s_mul_i32 s5, s5, s48
	s_add_u32 s1, s20, s5
	s_mul_i32 s6, s6, s43
	s_addc_u32 s0, s21, s0
	s_ashr_i32 s2, s6, 31
	s_add_u32 s6, s1, s6
	v_lshrrev_b32_e32 v37, 3, v53
	s_addc_u32 s7, s0, s2
	v_and_b32_e32 v35, 0x1ff0, v65
	s_movk_i32 s0, 0xd0
	v_and_b32_e32 v54, 0x7e, v37
	v_mad_u32_u24 v0, v35, s0, 0
	v_mul_u32_u24_e32 v76, 0xd0, v48
	v_lshlrev_b32_e32 v75, 2, v54
	v_add3_u32 v0, v0, v76, v75
	s_waitcnt lgkmcnt(0)
	s_barrier
	ds_read2_b64 v[8:11], v0 offset1:4
	ds_read2_b64 v[4:7], v0 offset0:8 offset1:12
	ds_read2_b64 v[0:3], v0 offset0:16 offset1:20
	v_add_u32_e32 v95, -1, v12
	v_cmp_lt_i32_e32 vcc, s78, v95
	v_lshlrev_b32_e32 v12, 1, v53
	s_mov_b32 s2, 0
	v_and_b32_e32 v38, 62, v12
	s_waitcnt lgkmcnt(0)
	s_barrier
	s_cbranch_vccnz .LBB14_241
; %bb.239:
	v_add_u32_e32 v12, s4, v34
	v_mul_hi_u32 v13, s44, v12
	v_add_u32_e32 v13, v12, v13
	v_lshrrev_b32_e32 v13, s45, v13
	v_mul_lo_u32 v13, v13, s36
	v_sub_u32_e32 v12, v12, v13
	v_mad_i64_i32 v[20:21], s[8:9], v12, s46, 0
	v_add_u32_e32 v12, s4, v36
	v_mul_hi_u32 v13, s44, v12
	v_add_u32_e32 v13, v12, v13
	v_lshrrev_b32_e32 v13, s45, v13
	v_mul_lo_u32 v13, v13, s36
	s_movk_i32 s1, 0x90
	v_sub_u32_e32 v12, v12, v13
	v_mov_b32_e32 v13, 0x480
	v_mad_u32_u24 v78, v34, s1, v13
	v_lshlrev_b32_e32 v55, 4, v63
	v_lshrrev_b32_e32 v32, 2, v53
	v_lshlrev_b32_e32 v13, 2, v53
	v_and_or_b32 v18, v13, 12, 32
	v_and_b32_e32 v22, 28, v13
	v_and_b32_e32 v13, 16, v55
	;; [unrolled: 1-line block ×3, first 2 shown]
	v_mul_u32_u24_e32 v93, 0xd0, v13
	v_add_u32_e32 v14, v39, v13
	v_add_u16_e32 v13, v39, v13
	v_lshrrev_b16_e32 v86, 1, v13
	v_add_u32_e32 v13, 32, v14
	v_lshrrev_b32_e32 v88, 1, v13
	v_add_u32_e32 v13, 34, v14
	v_add_u32_e32 v16, v37, v65
	v_mov_b32_e32 v33, 0x1a00
	v_lshrrev_b32_e32 v89, 1, v13
	v_mbcnt_lo_u32_b32 v13, -1, 0
	v_mad_i64_i32 v[24:25], s[8:9], v12, s46, 0
	v_add_u32_e32 v12, v55, v32
	v_mul_u32_u24_e32 v83, 0xd0, v16
	v_mul_lo_u32 v28, s38, v16
	v_mad_u32_u24 v85, v16, s0, v33
	v_and_or_b32 v15, v53, 14, v35
	v_mbcnt_hi_u32_b32 v80, -1, v13
	v_mul_lo_u32 v16, s34, v16
	v_mul_u32_u24_e32 v41, 0x68, v39
	v_mul_u32_u24_e32 v79, 0xd0, v12
	v_mul_lo_u32 v26, s38, v12
	v_mov_b32_e32 v19, 0
	v_lshl_add_u32 v30, s38, 5, v28
	v_lshrrev_b32_e32 v15, 1, v15
	v_and_b32_e32 v13, 64, v80
	v_mul_lo_u32 v14, s34, v12
	v_lshl_add_u32 v12, s34, 5, v16
	v_and_b32_e32 v40, 8, v65
	v_or_b32_e32 v67, v41, v48
	v_or_b32_e32 v32, 3, v32
	s_movk_i32 s0, 0x1a0
	v_mul_u32_u24_e32 v77, 0x90, v34
	s_ashr_i32 s23, s38, 31
	v_ashrrev_i32_e32 v27, 31, v26
	v_mov_b32_e32 v23, v19
	v_ashrrev_i32_e32 v29, 31, v28
	v_ashrrev_i32_e32 v31, 31, v30
	v_mul_u32_u24_e32 v84, 0x90, v15
	v_or_b32_e32 v87, 1, v86
	v_add_u32_e32 v81, 64, v13
	v_xor_b32_e32 v92, 32, v80
	v_xor_b32_e32 v82, 16, v80
	s_ashr_i32 s21, s34, 31
	v_ashrrev_i32_e32 v15, 31, v14
	v_ashrrev_i32_e32 v17, 31, v16
	;; [unrolled: 1-line block ×3, first 2 shown]
	v_mul_u32_u24_e32 v57, 0xd0, v39
	v_add_u32_e32 v70, 0xd0, v67
	v_mul_u32_u24_e32 v58, 0xd0, v32
	v_mul_u32_u24_e32 v71, 0x1a0, v40
	v_mad_u32_u24 v59, v40, s0, v33
	s_mov_b64 s[0:1], 0
	s_mov_b32 s3, 0xfeffffff
	s_branch .LBB14_242
.LBB14_240:
                                        ; implicit-def: $sgpr60_sgpr61
	s_load_dwordx2 s[44:45], s[4:5], 0x5c
	s_branch .LBB14_7
.LBB14_241:
	s_mov_b64 s[0:1], -1
                                        ; implicit-def: $sgpr2
                                        ; implicit-def: $sgpr3
                                        ; implicit-def: $vgpr77
                                        ; implicit-def: $vgpr20_vgpr21
                                        ; implicit-def: $vgpr78
                                        ; implicit-def: $vgpr24_vgpr25
                                        ; implicit-def: $vgpr55
                                        ; implicit-def: $vgpr79
                                        ; implicit-def: $vgpr26_vgpr27
                                        ; implicit-def: $vgpr18
                                        ; implicit-def: $vgpr83
                                        ; implicit-def: $vgpr22
                                        ; implicit-def: $vgpr28_vgpr29
                                        ; implicit-def: $vgpr85
                                        ; implicit-def: $vgpr30_vgpr31
                                        ; implicit-def: $vgpr93
                                        ; implicit-def: $vgpr84
                                        ; implicit-def: $vgpr86
                                        ; implicit-def: $vgpr87
                                        ; implicit-def: $vgpr88
                                        ; implicit-def: $vgpr89
                                        ; implicit-def: $vgpr80
                                        ; implicit-def: $vgpr81
                                        ; implicit-def: $vgpr92
                                        ; implicit-def: $vgpr82
                                        ; implicit-def: $vgpr14_vgpr15
                                        ; implicit-def: $vgpr16_vgpr17
                                        ; implicit-def: $vgpr12_vgpr13
                                        ; implicit-def: $vgpr67
                                        ; implicit-def: $vgpr57
                                        ; implicit-def: $vgpr70
                                        ; implicit-def: $vgpr58
                                        ; implicit-def: $vgpr71
                                        ; implicit-def: $vgpr59
                                        ; implicit-def: $sgpr22_sgpr23
                                        ; implicit-def: $sgpr20_sgpr21
.LBB14_242:
	s_andn2_b64 vcc, exec, s[0:1]
	v_mov_b32_e32 v60, s2
	v_mov_b32_e32 v33, s2
	;; [unrolled: 1-line block ×3, first 2 shown]
	v_lshlrev_b32_e32 v96, 1, v38
	v_lshlrev_b32_e32 v56, 1, v48
	v_mov_b32_e32 v61, s2
	v_mov_b32_e32 v62, s2
	;; [unrolled: 1-line block ×11, first 2 shown]
	s_cbranch_vccnz .LBB14_245
; %bb.243:
	v_mov_b32_e32 v12, s29
	v_add_co_u32_e32 v97, vcc, s28, v96
	v_addc_co_u32_e32 v98, vcc, 0, v12, vcc
	v_add_u32_e32 v12, s4, v34
	v_mul_hi_u32 v13, s44, v12
	v_add_u32_e32 v13, v12, v13
	v_lshrrev_b32_e32 v13, s45, v13
	v_mul_lo_u32 v13, v13, s36
	v_sub_u32_e32 v12, v12, v13
	v_mad_i64_i32 v[20:21], s[0:1], v12, s46, 0
	v_add_u32_e32 v12, s4, v36
	v_mul_hi_u32 v13, s44, v12
	v_add_u32_e32 v13, v12, v13
	v_lshrrev_b32_e32 v13, s45, v13
	v_mul_lo_u32 v13, v13, s36
	v_sub_u32_e32 v12, v12, v13
	s_movk_i32 s2, 0x90
	v_mov_b32_e32 v13, 0x480
	v_mad_i64_i32 v[24:25], s[0:1], v12, s46, 0
	v_lshlrev_b32_e32 v55, 4, v63
	v_lshrrev_b32_e32 v32, 2, v53
	v_lshlrev_b32_e32 v14, 2, v53
	v_mul_u32_u24_e32 v77, 0x90, v34
	v_mad_u32_u24 v78, v34, s2, v13
	v_add_u32_e32 v12, v55, v32
	s_movk_i32 s0, 0xd0
	v_and_b32_e32 v34, 12, v14
	v_mad_u32_u24 v13, v12, s0, 0
	v_lshlrev_b32_e32 v15, 2, v34
	s_movk_i32 s1, 0x80
	v_add3_u32 v99, v13, v15, s1
	v_add_u32_e32 v13, v37, v65
	v_and_b32_e32 v22, 28, v14
	v_mul_u32_u24_e32 v83, 0xd0, v13
	v_lshlrev_b32_e32 v14, 2, v22
	v_and_b32_e32 v38, 0xfc, v32
	v_and_or_b32 v16, v53, 14, v35
	v_add3_u32 v100, 0, v83, v14
	v_and_b32_e32 v14, 16, v55
	v_lshrrev_b32_e32 v16, 1, v16
	v_mul_u32_u24_e32 v40, 0x68, v38
	v_mul_u32_u24_e32 v93, 0xd0, v14
	v_add_u32_e32 v15, v38, v14
	v_mul_u32_u24_e32 v84, 0x90, v16
	v_mad_u32_u24 v16, v16, s2, 0
	v_add_u16_e32 v14, v38, v14
	v_and_b32_e32 v39, 8, v65
	v_or_b32_e32 v67, v40, v48
	v_or_b32_e32 v32, 3, v32
	s_movk_i32 s2, 0x1a0
	v_lshrrev_b16_e32 v86, 1, v14
	v_add_u32_e32 v14, 32, v15
	v_mul_u32_u24_e32 v57, 0xd0, v38
	v_mul_u32_u24_e32 v58, 0xd0, v32
	v_mul_u32_u24_e32 v71, 0x1a0, v39
	v_mad_u32_u24 v32, v39, s2, 0
	v_lshlrev_b32_e32 v40, 1, v67
	v_mov_b32_e32 v36, 0x1a00
	v_lshrrev_b32_e32 v88, 1, v14
	v_lshl_add_u32 v102, v14, 1, v16
	v_add_u32_e32 v14, 34, v15
	v_add_u32_e32 v106, v32, v40
	v_add3_u32 v107, v32, v57, v56
	v_add3_u32 v108, v32, v58, v56
	;; [unrolled: 1-line block ×3, first 2 shown]
	s_movk_i32 s1, 0x1a00
	v_mad_u32_u24 v85, v13, s0, v36
	v_lshrrev_b32_e32 v89, 1, v14
	v_lshl_add_u32 v103, v14, 1, v16
	v_mbcnt_lo_u32_b32 v14, -1, 0
	v_mad_u32_u24 v59, v39, s2, v36
	v_add_u32_e32 v111, v32, v40
	v_mad_u32_u24 v36, v38, s0, v32
	v_add3_u32 v113, v32, v58, v56
	v_add3_u32 v32, 0, 64, v71
	s_add_i32 s3, 0, 0x60
	v_mbcnt_hi_u32_b32 v80, -1, v14
	v_add3_u32 v112, v36, v56, s1
	v_add_u32_e32 v115, v32, v40
	v_mad_u32_u24 v36, v38, s0, v32
	v_add3_u32 v117, v32, v58, v56
	v_mov_b32_e32 v32, s3
	v_and_b32_e32 v14, 64, v80
	v_mad_u32_u24 v32, v39, s2, v32
	s_add_i32 s3, 0, 0x80
	v_add_u32_e32 v81, 64, v14
	v_xor_b32_e32 v92, 32, v80
	v_add3_u32 v116, v36, v56, s1
	v_add_u32_e32 v119, v32, v40
	v_mad_u32_u24 v36, v38, s0, v32
	v_add3_u32 v121, v32, v58, v56
	v_mov_b32_e32 v32, s3
	v_cmp_lt_i32_e32 vcc, v92, v81
	v_xor_b32_e32 v82, 16, v80
	v_mad_u32_u24 v32, v39, s2, v32
	s_add_i32 s3, 0, 0xa0
	v_cndmask_b32_e32 v14, v80, v92, vcc
	v_cmp_lt_i32_e32 vcc, v82, v81
	v_add3_u32 v120, v36, v56, s1
	v_add_u32_e32 v123, v32, v40
	v_mad_u32_u24 v36, v38, s0, v32
	v_add3_u32 v125, v32, v58, v56
	v_mov_b32_e32 v32, s3
	v_mul_lo_u32 v28, s38, v13
	v_lshl_add_u32 v35, v86, 2, v16
	v_lshlrev_b32_e32 v104, 2, v14
	v_cndmask_b32_e32 v14, v80, v82, vcc
	v_mul_lo_u32 v16, s34, v13
	v_mad_u32_u24 v32, v39, s2, v32
	v_add_u32_e32 v33, 0, v96
	v_mov_b32_e32 v19, 0
	v_mul_u32_u24_e32 v79, 0xd0, v12
	v_mul_lo_u32 v26, s38, v12
	v_lshl_add_u32 v30, s38, 5, v28
	v_add3_u32 v37, 0, v76, v75
	v_lshlrev_b32_e32 v105, 2, v14
	v_mul_lo_u32 v14, s34, v12
	v_lshl_add_u32 v12, s34, 5, v16
	v_add3_u32 v124, v36, v56, s1
	v_mad_u32_u24 v36, v38, s0, v32
	s_ashr_i32 s23, s38, 31
	v_ashrrev_i32_e32 v27, 31, v26
	v_or_b32_e32 v18, 32, v34
	v_mov_b32_e32 v23, v19
	v_ashrrev_i32_e32 v29, 31, v28
	v_add_u32_e32 v101, 0x1a00, v100
	v_ashrrev_i32_e32 v31, 31, v30
	v_or_b32_e32 v87, 1, v86
	s_ashr_i32 s21, s34, 31
	v_ashrrev_i32_e32 v15, 31, v14
	v_ashrrev_i32_e32 v17, 31, v16
	;; [unrolled: 1-line block ×3, first 2 shown]
	v_add_u32_e32 v70, 0xd0, v67
	v_add_u32_e32 v109, 0x1a00, v107
	;; [unrolled: 1-line block ×8, first 2 shown]
	v_add3_u32 v128, v36, v56, s1
	v_add3_u32 v129, v32, v58, v56
	s_lshl_b32 s24, s78, 6
	v_mov_b32_e32 v32, 0xfeffffff
	v_add_u32_e32 v130, v33, v77
	v_lshlrev_b32_e32 v131, 2, v34
	v_lshlrev_b32_e32 v132, 2, v22
	v_add_u32_e32 v133, v37, v93
	v_add_u32_e32 v134, 0x3400, v35
	s_mov_b32 s20, 0x3fb8aa3b
	s_mov_b32 s22, 0xc2ce8ed0
	;; [unrolled: 1-line block ×5, first 2 shown]
	v_mov_b32_e32 v135, 0x7f800000
	v_mov_b32_e32 v33, v19
	v_mov_b32_e32 v68, v19
	v_mov_b32_e32 v66, v19
	v_mov_b32_e32 v73, v19
	v_mov_b32_e32 v72, v19
	v_mov_b32_e32 v90, v19
	v_mov_b32_e32 v74, v19
	v_mov_b32_e32 v94, v19
	v_mov_b32_e32 v91, v19
	v_mov_b32_e32 v64, v19
	v_mov_b32_e32 v62, v19
	v_mov_b32_e32 v61, v19
	v_mov_b32_e32 v60, v19
.LBB14_244:                             ; =>This Inner Loop Header: Depth=1
	s_ashr_i32 s25, s24, 31
	s_mul_hi_i32 s1, s24, s38
	s_mul_i32 s0, s24, s38
	s_lshl_b64 s[4:5], s[24:25], 1
	s_lshl_b64 s[0:1], s[0:1], 2
	v_mov_b32_e32 v139, s5
	v_add_co_u32_e32 v140, vcc, s4, v97
	v_lshlrev_b64 v[38:39], 1, v[20:21]
	v_lshlrev_b64 v[40:41], 1, v[24:25]
	s_add_u32 s8, s26, s0
	v_addc_co_u32_e32 v139, vcc, v98, v139, vcc
	v_add_co_u32_e32 v40, vcc, v140, v40
	s_addc_u32 s9, s27, s1
	v_add_co_u32_e64 v38, s[0:1], v140, v38
	v_lshlrev_b64 v[42:43], 2, v[26:27]
	v_lshlrev_b64 v[44:45], 2, v[28:29]
	v_addc_co_u32_e64 v39, s[0:1], v139, v39, s[0:1]
	v_addc_co_u32_e32 v41, vcc, v139, v41, vcc
	v_lshlrev_b64 v[46:47], 2, v[30:31]
	s_mul_hi_i32 s3, s24, s34
	s_mul_i32 s2, s24, s34
	v_mov_b32_e32 v139, s9
	v_add_co_u32_e32 v42, vcc, s8, v42
	v_mov_b32_e32 v140, s9
	v_add_co_u32_e64 v44, s[0:1], s8, v44
	s_lshl_b64 s[4:5], s[2:3], 2
	v_mov_b32_e32 v141, s9
	v_add_co_u32_e64 v46, s[2:3], s8, v46
	global_load_dword v144, v[38:39], off
	global_load_dword v145, v[40:41], off
	v_addc_co_u32_e32 v39, vcc, v139, v43, vcc
	v_addc_co_u32_e64 v41, vcc, v140, v45, s[0:1]
	v_add_co_u32_e32 v38, vcc, v44, v132
	v_addc_co_u32_e64 v44, s[0:1], v141, v47, s[2:3]
	v_add_co_u32_e64 v40, s[0:1], v46, v132
	v_add_co_u32_e64 v42, s[2:3], v42, v131
	v_addc_co_u32_e64 v43, s[2:3], 0, v39, s[2:3]
	v_addc_co_u32_e32 v39, vcc, 0, v41, vcc
	v_addc_co_u32_e64 v41, vcc, 0, v44, s[0:1]
	global_load_dwordx4 v[42:45], v[42:43], off offset:128
	s_nop 0
	global_load_dwordx4 v[140:143], v[38:39], off
	s_nop 0
	global_load_dwordx4 v[38:41], v[40:41], off
	v_add_u32_e32 v138, 0x1800, v133
	s_add_u32 s4, s6, s4
	v_mov_b32_e32 v137, v32
	v_mov_b32_e32 v136, v33
	v_lshlrev_b64 v[32:33], 2, v[14:15]
	v_lshlrev_b64 v[34:35], 2, v[16:17]
	;; [unrolled: 1-line block ×3, first 2 shown]
	s_addc_u32 s5, s7, s5
	v_mov_b32_e32 v46, s5
	v_mov_b32_e32 v47, s5
	v_add_co_u32_e32 v139, vcc, s4, v34
	v_mov_b32_e32 v148, s5
	v_add_co_u32_e64 v36, s[0:1], s4, v36
	v_add_co_u32_e64 v149, s[4:5], s4, v32
	v_addc_co_u32_e64 v46, s[4:5], v46, v33, s[4:5]
	v_addc_co_u32_e32 v47, vcc, v47, v35, vcc
	s_add_i32 s78, s78, 1
	v_cmp_lt_i32_e64 s[2:3], s78, v95
	s_add_i32 s24, s24, 64
	s_waitcnt vmcnt(4)
	ds_write_b32 v130, v144 offset:13312
	s_waitcnt vmcnt(3)
	ds_write_b32 v130, v145 offset:14464
	s_waitcnt vmcnt(2)
	ds_write_b128 v99, v[42:45]
	s_waitcnt vmcnt(1)
	ds_write_b128 v100, v[140:143]
	;; [unrolled: 2-line block ×3, first 2 shown]
	s_waitcnt lgkmcnt(0)
	s_barrier
	ds_read2_b64 v[38:41], v133 offset1:4
	s_waitcnt lgkmcnt(0)
	v_mfma_f32_16x16x16f16 v[42:45], v[38:39], v[8:9], 0
	ds_read2_b64 v[140:143], v138 offset0:64 offset1:68
	v_mfma_f32_16x16x16f16 v[38:41], v[40:41], v[10:11], v[42:45]
	s_nop 7
	s_nop 0
	ds_read2_b64 v[42:45], v133 offset0:8 offset1:12
	s_waitcnt lgkmcnt(1)
	v_mfma_f32_16x16x16f16 v[144:147], v[140:141], v[8:9], 0
	v_mfma_f32_16x16x16f16 v[32:35], v[142:143], v[10:11], v[144:147]
	ds_read2_b64 v[140:143], v138 offset0:72 offset1:76
	s_waitcnt lgkmcnt(1)
	v_mfma_f32_16x16x16f16 v[38:41], v[42:43], v[4:5], v[38:41]
	v_addc_co_u32_e64 v42, vcc, v148, v37, s[0:1]
	s_nop 5
	v_add_co_u32_e64 v146, s[0:1], v36, v132
	v_addc_co_u32_e64 v147, s[0:1], 0, v42, s[0:1]
	v_add_co_u32_e64 v144, s[4:5], v139, v132
	v_mfma_f32_16x16x16f16 v[36:39], v[44:45], v[6:7], v[38:41]
	s_and_b64 vcc, exec, s[2:3]
	s_nop 5
	ds_read2_b64 v[40:43], v133 offset0:16 offset1:20
	s_waitcnt lgkmcnt(1)
	v_mfma_f32_16x16x16f16 v[32:35], v[140:141], v[4:5], v[32:35]
	v_add_co_u32_e64 v140, s[2:3], v149, v131
	v_addc_co_u32_e64 v141, s[2:3], 0, v46, s[2:3]
	v_addc_co_u32_e64 v145, s[2:3], 0, v47, s[4:5]
	ds_read2_b64 v[44:47], v138 offset0:80 offset1:84
	v_mfma_f32_16x16x16f16 v[32:35], v[142:143], v[6:7], v[32:35]
	s_waitcnt lgkmcnt(0)
	s_barrier
	v_mfma_f32_16x16x16f16 v[36:39], v[40:41], v[0:1], v[36:39]
	ds_read_b32 v150, v102 offset:13312
	ds_read2_b32 v[40:41], v134 offset1:1
	ds_read_b32 v151, v103 offset:13312
	global_load_dwordx4 v[138:141], v[140:141], off offset:128
	s_nop 0
	global_load_dwordx4 v[142:145], v[144:145], off
	s_nop 0
	global_load_dwordx4 v[146:149], v[146:147], off
	s_waitcnt vmcnt(2)
	ds_write_b128 v99, v[138:141]
	s_waitcnt vmcnt(1)
	ds_write_b128 v100, v[142:145]
	;; [unrolled: 2-line block ×3, first 2 shown]
	v_mfma_f32_16x16x16f16 v[32:35], v[44:45], v[0:1], v[32:35]
	s_waitcnt lgkmcnt(4)
	v_cvt_f32_f16_e32 v44, v40
	v_cvt_f32_f16_sdwa v45, v40 dst_sel:DWORD dst_unused:UNUSED_PAD src0_sel:WORD_1
	v_cvt_f32_f16_e32 v40, v41
	v_cvt_f32_f16_sdwa v41, v41 dst_sel:DWORD dst_unused:UNUSED_PAD src0_sel:WORD_1
	s_waitcnt lgkmcnt(0)
	s_barrier
	v_mfma_f32_16x16x16f16 v[36:39], v[42:43], v[2:3], v[36:39]
	v_cvt_f32_f16_sdwa v43, v151 dst_sel:DWORD dst_unused:UNUSED_PAD src0_sel:WORD_1
	v_cvt_f32_f16_e32 v42, v151
	v_cvt_f32_f16_sdwa v151, v150 dst_sel:DWORD dst_unused:UNUSED_PAD src0_sel:WORD_1
	v_cvt_f32_f16_e32 v150, v150
	v_mfma_f32_16x16x16f16 v[32:35], v[46:47], v[2:3], v[32:35]
	s_nop 5
	v_pk_add_f32 v[36:37], v[36:37], v[44:45]
	v_pk_add_f32 v[38:39], v[38:39], v[40:41]
	v_add_f32_e32 v46, 0x40051340, v38
	v_add_f32_e32 v47, 0x40051340, v39
	s_nop 0
	v_pk_add_f32 v[34:35], v[34:35], v[42:43]
	v_pk_add_f32 v[42:43], v[32:33], v[150:151]
	v_add_f32_e32 v32, 0x40051340, v36
	v_add_f32_e32 v33, 0x40051340, v37
	v_max3_f32 v32, v137, v32, v33
	v_add_f32_e32 v44, 0x40051340, v42
	v_add_f32_e32 v45, 0x40051340, v43
	v_max3_f32 v32, v32, v46, v47
	;; [unrolled: 3-line block ×3, first 2 shown]
	v_max3_f32 v32, v32, v40, v41
	ds_bpermute_b32 v33, v104, v32
	s_waitcnt lgkmcnt(0)
	v_max_f32_e32 v33, v33, v33
	v_max_f32_e32 v32, v32, v33
	ds_bpermute_b32 v33, v105, v32
	s_waitcnt lgkmcnt(0)
	v_max_f32_e32 v33, v33, v33
	v_max_f32_e32 v32, v32, v33
	v_pk_add_f32 v[36:37], v[36:37], v[32:33] op_sel_hi:[1,0] neg_lo:[0,1] neg_hi:[0,1]
	v_pk_add_f32 v[38:39], v[38:39], v[32:33] op_sel_hi:[1,0] neg_lo:[0,1] neg_hi:[0,1]
	;; [unrolled: 1-line block ×4, first 2 shown]
	v_sub_f32_e32 v33, v137, v32
	v_mul_f32_e32 v42, 0x3fb8aa3b, v37
	v_mul_f32_e32 v43, 0x3fb8aa3b, v36
	;; [unrolled: 1-line block ×9, first 2 shown]
	v_fma_f32 v152, v37, s20, -v42
	v_rndne_f32_e32 v153, v42
	v_fma_f32 v154, v36, s20, -v43
	v_rndne_f32_e32 v155, v43
	;; [unrolled: 2-line block ×9, first 2 shown]
	v_fmac_f32_e32 v152, 0x32a5705f, v37
	v_sub_f32_e32 v42, v42, v153
	v_fmac_f32_e32 v154, 0x32a5705f, v36
	v_sub_f32_e32 v43, v43, v155
	;; [unrolled: 2-line block ×9, first 2 shown]
	v_add_f32_e32 v42, v42, v152
	v_add_f32_e32 v43, v43, v154
	;; [unrolled: 1-line block ×9, first 2 shown]
	v_cvt_i32_f32_e32 v170, v153
	v_cvt_i32_f32_e32 v171, v155
	;; [unrolled: 1-line block ×9, first 2 shown]
	v_exp_f32_e32 v162, v42
	v_exp_f32_e32 v164, v43
	;; [unrolled: 1-line block ×9, first 2 shown]
	ds_read_u16 v138, v109 offset:208
	ds_read_u16 v139, v109 offset:416
	;; [unrolled: 1-line block ×16, first 2 shown]
	ds_read_u16 v161, v106
	ds_read_u16 v175, v106 offset:32
	ds_read_u16 v176, v106 offset:64
	;; [unrolled: 1-line block ×5, first 2 shown]
	ds_read_u16 v180, v108
	ds_read_u16 v181, v108 offset:32
	ds_read_u16 v182, v108 offset:64
	;; [unrolled: 1-line block ×25, first 2 shown]
	s_waitcnt lgkmcnt(14)
	v_perm_b32 v45, v181, v141, s36
	v_perm_b32 v44, v140, v175, s36
	;; [unrolled: 1-line block ×4, first 2 shown]
	v_ldexp_f32 v140, v162, v170
	v_ldexp_f32 v141, v164, v171
	v_cmp_ngt_f32_e64 s[0:1], s22, v36
	v_ldexp_f32 v144, v166, v172
	v_cmp_ngt_f32_e64 s[2:3], s22, v39
	;; [unrolled: 2-line block ×8, first 2 shown]
	v_cmp_ngt_f32_e64 s[18:19], s22, v37
	v_cndmask_b32_e64 v140, 0, v140, s[18:19]
	v_cndmask_b32_e64 v141, 0, v141, s[0:1]
	v_cmp_nlt_f32_e64 s[0:1], s33, v36
	v_cndmask_b32_e64 v36, 0, v144, s[2:3]
	v_cmp_nlt_f32_e64 s[2:3], s33, v39
	;; [unrolled: 2-line block ×8, first 2 shown]
	v_cmp_nlt_f32_e64 s[18:19], s33, v37
	v_cndmask_b32_e64 v37, v135, v140, s[18:19]
	v_cndmask_b32_e64 v137, v135, v141, s[0:1]
	;; [unrolled: 1-line block ×3, first 2 shown]
	v_cmp_le_f32_e64 s[0:1], s35, v33
	v_cndmask_b32_e64 v36, v135, v36, s[2:3]
	v_cndmask_b32_e64 v39, v135, v39, s[4:5]
	v_add_f32_e32 v33, v137, v37
	v_cndmask_b32_e64 v167, 0, v34, s[0:1]
	v_cndmask_b32_e64 v166, v135, v40, s[12:13]
	v_cvt_f16_f32_e32 v34, v137
	v_cvt_f16_f32_e32 v37, v37
	v_cvt_f16_f32_e32 v40, v36
	v_cvt_f16_f32_e32 v137, v39
	v_add_f32_e32 v33, v39, v33
	v_cvt_f16_f32_e32 v39, v167
	v_cndmask_b32_e64 v41, v135, v41, s[10:11]
	v_add_f32_e32 v33, v36, v33
	v_cndmask_b32_e64 v38, v135, v38, s[8:9]
	v_add_f32_e32 v33, v41, v33
	;; [unrolled: 2-line block ×3, first 2 shown]
	v_perm_b32 v43, v180, v179, s36
	s_waitcnt lgkmcnt(12)
	v_perm_b32 v42, v193, v161, s36
	v_cvt_f16_f32_e32 v141, v41
	v_cvt_f16_f32_e32 v145, v35
	v_pack_b32_f16 v162, v34, v37
	v_pack_b32_f16 v163, v137, v40
	v_add_f32_e32 v33, v35, v33
	v_pk_mul_f16 v35, v39, v94 op_sel_hi:[0,1]
	v_pk_mul_f16 v37, v39, v91 op_sel_hi:[0,1]
	;; [unrolled: 1-line block ×4, first 2 shown]
	v_cvt_f16_f32_e32 v140, v38
	v_pk_mul_f16 v73, v39, v73 op_sel_hi:[0,1]
	v_pk_mul_f16 v72, v39, v72 op_sel_hi:[0,1]
	;; [unrolled: 1-line block ×8, first 2 shown]
	v_cvt_f32_f16_e32 v34, v35
	v_cvt_f32_f16_sdwa v35, v35 dst_sel:DWORD dst_unused:UNUSED_PAD src0_sel:WORD_1
	v_cvt_f32_f16_e32 v36, v37
	v_cvt_f32_f16_sdwa v37, v37 dst_sel:DWORD dst_unused:UNUSED_PAD src0_sel:WORD_1
	;; [unrolled: 2-line block ×4, first 2 shown]
	s_waitcnt lgkmcnt(9)
	v_perm_b32 v47, v196, v139, s36
	v_perm_b32 v46, v138, v194, s36
	;; [unrolled: 1-line block ×4, first 2 shown]
	v_mfma_f32_16x16x16f16 v[34:37], v[42:43], v[162:163], v[34:37]
	v_cvt_f32_f16_e32 v42, v73
	v_cvt_f32_f16_sdwa v43, v73 dst_sel:DWORD dst_unused:UNUSED_PAD src0_sel:WORD_1
	v_perm_b32 v150, v143, v142, s36
	v_perm_b32 v143, v183, v159, s36
	;; [unrolled: 1-line block ×3, first 2 shown]
	v_cvt_f16_f32_e32 v144, v166
	v_pack_b32_f16 v164, v141, v140
	v_mfma_f32_16x16x16f16 v[38:41], v[44:45], v[162:163], v[38:41]
	v_cvt_f32_f16_e32 v44, v72
	v_cvt_f32_f16_sdwa v45, v72 dst_sel:DWORD dst_unused:UNUSED_PAD src0_sel:WORD_1
	v_cvt_f32_f16_e32 v140, v66
	v_cvt_f32_f16_sdwa v141, v66 dst_sel:DWORD dst_unused:UNUSED_PAD src0_sel:WORD_1
	v_perm_b32 v147, v184, v190, s36
	v_perm_b32 v146, v189, v178, s36
	v_pack_b32_f16 v165, v145, v144
	v_mfma_f32_16x16x16f16 v[42:45], v[138:139], v[162:163], v[42:45]
	v_cvt_f32_f16_e32 v138, v68
	v_cvt_f32_f16_sdwa v139, v68 dst_sel:DWORD dst_unused:UNUSED_PAD src0_sel:WORD_1
	v_cvt_f32_f16_e32 v144, v62
	v_cvt_f32_f16_sdwa v145, v62 dst_sel:DWORD dst_unused:UNUSED_PAD src0_sel:WORD_1
	s_waitcnt lgkmcnt(4)
	v_perm_b32 v159, v197, v201, s36
	v_perm_b32 v158, v200, v195, s36
	v_cvt_f32_f16_e32 v148, v60
	v_mfma_f32_16x16x16f16 v[138:141], v[142:143], v[162:163], v[138:141]
	v_cvt_f32_f16_e32 v142, v64
	v_cvt_f32_f16_sdwa v143, v64 dst_sel:DWORD dst_unused:UNUSED_PAD src0_sel:WORD_1
	v_cvt_f32_f16_sdwa v149, v60 dst_sel:DWORD dst_unused:UNUSED_PAD src0_sel:WORD_1
	v_cvt_f16_f32_e32 v34, v34
	v_cvt_f16_f32_e32 v35, v35
	;; [unrolled: 1-line block ×4, first 2 shown]
	v_mfma_f32_16x16x16f16 v[142:145], v[146:147], v[162:163], v[142:145]
	v_cvt_f32_f16_e32 v146, v61
	v_cvt_f32_f16_sdwa v147, v61 dst_sel:DWORD dst_unused:UNUSED_PAD src0_sel:WORD_1
	v_cvt_f16_f32_e32 v38, v38
	v_cvt_f16_f32_e32 v39, v39
	;; [unrolled: 1-line block ×5, first 2 shown]
	v_mfma_f32_16x16x16f16 v[146:149], v[158:159], v[162:163], v[146:149]
	v_cvt_f16_f32_e32 v43, v43
	v_cvt_f16_f32_e32 v44, v44
	;; [unrolled: 1-line block ×15, first 2 shown]
	v_perm_b32 v153, v155, v153, s36
	v_perm_b32 v155, v188, v187, s36
	;; [unrolled: 1-line block ×5, first 2 shown]
	s_waitcnt lgkmcnt(0)
	v_perm_b32 v161, v205, v204, s36
	v_perm_b32 v160, v203, v202, s36
	v_add_f32_e32 v33, v166, v33
	v_fmac_f32_e32 v33, v136, v167
	v_cvt_f32_f16_e32 v34, v34
	v_cvt_f32_f16_e32 v35, v35
	;; [unrolled: 1-line block ×24, first 2 shown]
	v_mfma_f32_16x16x16f16 v[34:37], v[46:47], v[164:165], v[34:37]
	s_barrier
	v_mfma_f32_16x16x16f16 v[38:41], v[150:151], v[164:165], v[38:41]
	s_nop 7
	s_nop 0
	v_cvt_f16_f32_e32 v34, v34
	v_cvt_f16_f32_e32 v35, v35
	;; [unrolled: 1-line block ×4, first 2 shown]
	v_pack_b32_f16 v94, v34, v35
	v_cvt_f16_f32_e32 v38, v38
	v_mfma_f32_16x16x16f16 v[42:45], v[152:153], v[164:165], v[42:45]
	v_cvt_f16_f32_e32 v39, v39
	v_cvt_f16_f32_e32 v40, v40
	;; [unrolled: 1-line block ×3, first 2 shown]
	v_pack_b32_f16 v91, v36, v37
	v_pack_b32_f16 v90, v38, v39
	;; [unrolled: 1-line block ×3, first 2 shown]
	v_mfma_f32_16x16x16f16 v[136:139], v[154:155], v[164:165], v[136:139]
	s_nop 3
	v_cvt_f16_f32_e32 v42, v42
	v_cvt_f16_f32_e32 v43, v43
	;; [unrolled: 1-line block ×4, first 2 shown]
	v_pack_b32_f16 v73, v42, v43
	s_nop 1
	v_cvt_f16_f32_e32 v46, v136
	v_mfma_f32_16x16x16f16 v[140:143], v[156:157], v[164:165], v[140:143]
	v_cvt_f16_f32_e32 v47, v137
	v_cvt_f16_f32_e32 v60, v138
	;; [unrolled: 1-line block ×3, first 2 shown]
	v_pack_b32_f16 v72, v44, v45
	v_pack_b32_f16 v68, v46, v47
	;; [unrolled: 1-line block ×3, first 2 shown]
	v_mfma_f32_16x16x16f16 v[144:147], v[160:161], v[164:165], v[144:147]
	s_nop 3
	v_cvt_f16_f32_e32 v62, v140
	v_cvt_f16_f32_e32 v64, v141
	v_cvt_f16_f32_e32 v136, v142
	v_cvt_f16_f32_e32 v137, v143
	v_pack_b32_f16 v64, v62, v64
	s_nop 1
	v_cvt_f16_f32_e32 v138, v144
	v_cvt_f16_f32_e32 v139, v145
	;; [unrolled: 1-line block ×4, first 2 shown]
	v_pack_b32_f16 v62, v136, v137
	v_pack_b32_f16 v61, v138, v139
	v_pack_b32_f16 v60, v140, v141
	s_cbranch_vccnz .LBB14_244
.LBB14_245:
	s_lshl_b32 s0, s78, 6
	s_ashr_i32 s1, s0, 31
	s_lshl_b64 s[2:3], s[0:1], 1
	s_add_u32 s2, s28, s2
	s_addc_u32 s3, s29, s3
	v_mov_b32_e32 v34, s3
	v_add_co_u32_e32 v35, vcc, s2, v96
	s_mul_i32 s2, s38, s1
	s_mul_hi_u32 s3, s38, s0
	v_addc_co_u32_e32 v34, vcc, 0, v34, vcc
	v_lshlrev_b64 v[20:21], 1, v[20:21]
	s_add_i32 s2, s3, s2
	s_mul_i32 s3, s23, s0
	v_add_co_u32_e32 v20, vcc, v35, v20
	s_add_i32 s3, s2, s3
	s_mul_i32 s2, s38, s0
	v_addc_co_u32_e32 v21, vcc, v34, v21, vcc
	v_lshlrev_b64 v[24:25], 1, v[24:25]
	s_lshl_b64 s[2:3], s[2:3], 2
	v_add_co_u32_e32 v24, vcc, v35, v24
	s_add_u32 s2, s26, s2
	v_addc_co_u32_e32 v25, vcc, v34, v25, vcc
	global_load_dword v42, v[20:21], off
	global_load_dword v43, v[24:25], off
	s_addc_u32 s3, s27, s3
	v_lshlrev_b64 v[20:21], 2, v[26:27]
	v_mov_b32_e32 v24, s3
	v_add_co_u32_e32 v20, vcc, s2, v20
	v_addc_co_u32_e32 v21, vcc, v24, v21, vcc
	v_lshlrev_b64 v[26:27], 2, v[18:19]
	v_add_co_u32_e32 v24, vcc, v20, v26
	v_addc_co_u32_e32 v25, vcc, v21, v27, vcc
	v_lshlrev_b64 v[20:21], 2, v[28:29]
	v_mov_b32_e32 v19, s3
	v_add_co_u32_e32 v28, vcc, s2, v20
	v_addc_co_u32_e32 v19, vcc, v19, v21, vcc
	v_lshlrev_b64 v[20:21], 2, v[22:23]
	v_add_co_u32_e32 v28, vcc, v28, v20
	v_addc_co_u32_e32 v29, vcc, v19, v21, vcc
	global_load_dwordx4 v[34:37], v[24:25], off
	global_load_dwordx4 v[38:41], v[28:29], off
	v_lshlrev_b64 v[24:25], 2, v[30:31]
	v_mov_b32_e32 v19, s3
	v_add_co_u32_e32 v23, vcc, s2, v24
	v_addc_co_u32_e32 v19, vcc, v19, v25, vcc
	v_add_co_u32_e32 v24, vcc, v23, v20
	v_addc_co_u32_e32 v25, vcc, v19, v21, vcc
	global_load_dwordx4 v[28:31], v[24:25], off
	v_add_u32_e32 v19, 0, v96
	v_lshlrev_b32_e32 v18, 2, v18
	v_add_u32_e32 v23, 0, v76
	v_lshlrev_b32_e32 v22, 2, v22
	v_add_u32_e32 v24, v19, v77
	v_add_u32_e32 v19, v19, v78
	v_add3_u32 v44, 0, v79, v18
	v_add3_u32 v18, v23, v75, v93
	;; [unrolled: 1-line block ×4, first 2 shown]
	v_cmp_lt_i32_e32 vcc, v92, v81
	s_mov_b32 s4, 0x3fb8aa3b
	s_mov_b32 s2, 0xc2ce8ed0
	;; [unrolled: 1-line block ×3, first 2 shown]
	s_mul_i32 s1, s34, s1
	s_mul_hi_u32 s5, s34, s0
	s_add_i32 s1, s5, s1
	s_mul_i32 s5, s21, s0
	s_add_i32 s1, s1, s5
	s_mul_i32 s0, s34, s0
	s_lshl_b64 s[0:1], s[0:1], 2
	s_add_u32 s0, s6, s0
	s_addc_u32 s1, s7, s1
	s_waitcnt vmcnt(4)
	ds_write_b32 v24, v42 offset:13312
	s_waitcnt vmcnt(3)
	ds_write_b32 v19, v43 offset:13312
	s_waitcnt vmcnt(2)
	ds_write_b128 v44, v[34:37]
	s_waitcnt vmcnt(1)
	ds_write_b128 v45, v[38:41]
	;; [unrolled: 2-line block ×3, first 2 shown]
	v_add_u32_e32 v19, 0x1800, v18
	s_waitcnt lgkmcnt(0)
	s_barrier
	ds_read2_b64 v[22:25], v18 offset1:4
	ds_read2_b64 v[34:37], v19 offset0:64 offset1:68
	s_waitcnt lgkmcnt(1)
	v_mfma_f32_16x16x16f16 v[28:31], v[22:23], v[8:9], 0
	s_waitcnt lgkmcnt(0)
	v_mfma_f32_16x16x16f16 v[38:41], v[34:35], v[8:9], 0
	v_mfma_f32_16x16x16f16 v[22:25], v[24:25], v[10:11], v[28:31]
	;; [unrolled: 1-line block ×3, first 2 shown]
	s_nop 6
	ds_read2_b64 v[28:31], v18 offset0:8 offset1:12
	ds_read2_b64 v[34:37], v19 offset0:72 offset1:76
	s_waitcnt lgkmcnt(1)
	v_mfma_f32_16x16x16f16 v[22:25], v[28:29], v[4:5], v[22:25]
	s_waitcnt lgkmcnt(0)
	v_mfma_f32_16x16x16f16 v[8:11], v[34:35], v[4:5], v[8:11]
	v_mfma_f32_16x16x16f16 v[22:25], v[30:31], v[6:7], v[22:25]
	ds_read2_b64 v[28:31], v19 offset0:80 offset1:84
	v_mfma_f32_16x16x16f16 v[4:7], v[36:37], v[6:7], v[8:11]
	s_nop 7
	ds_read2_b64 v[8:11], v18 offset0:16 offset1:20
	s_waitcnt lgkmcnt(0)
	v_mfma_f32_16x16x16f16 v[34:37], v[8:9], v[0:1], v[22:25]
	v_add_u32_e32 v18, 0, v84
	v_lshl_add_u32 v38, v86, 2, v18
	v_lshl_add_u32 v8, v87, 2, v18
	;; [unrolled: 1-line block ×4, first 2 shown]
	s_barrier
	v_mfma_f32_16x16x16f16 v[4:7], v[28:29], v[0:1], v[4:7]
	ds_read_b32 v18, v18 offset:13312
	ds_read_b32 v23, v38 offset:13312
	;; [unrolled: 1-line block ×4, first 2 shown]
	v_cndmask_b32_e32 v0, v80, v92, vcc
	v_lshlrev_b32_e32 v22, 2, v0
	s_waitcnt lgkmcnt(2)
	v_cvt_f32_f16_e32 v28, v23
	v_cvt_f32_f16_sdwa v29, v23 dst_sel:DWORD dst_unused:UNUSED_PAD src0_sel:WORD_1
	v_mfma_f32_16x16x16f16 v[8:11], v[10:11], v[2:3], v[34:37]
	v_cvt_f32_f16_e32 v0, v18
	v_cvt_f32_f16_sdwa v1, v18 dst_sel:DWORD dst_unused:UNUSED_PAD src0_sel:WORD_1
	s_waitcnt lgkmcnt(1)
	v_cvt_f32_f16_e32 v24, v25
	v_cvt_f32_f16_sdwa v25, v25 dst_sel:DWORD dst_unused:UNUSED_PAD src0_sel:WORD_1
	s_waitcnt lgkmcnt(0)
	v_cvt_f32_f16_e32 v18, v19
	v_cvt_f32_f16_sdwa v19, v19 dst_sel:DWORD dst_unused:UNUSED_PAD src0_sel:WORD_1
	v_cmp_lt_i32_e32 vcc, v82, v81
	v_mfma_f32_16x16x16f16 v[2:5], v[30:31], v[2:3], v[4:7]
	v_mov_b32_e32 v34, 0x7f800000
	s_nop 5
	v_pk_add_f32 v[6:7], v[8:9], v[28:29]
	s_nop 2
	v_pk_add_f32 v[0:1], v[4:5], v[0:1]
	v_pk_add_f32 v[4:5], v[10:11], v[24:25]
	v_add_f32_e32 v23, 0x40051340, v6
	v_add_f32_e32 v24, 0x40051340, v7
	v_pk_add_f32 v[2:3], v[2:3], v[18:19]
	v_add_f32_e32 v18, 0x40051340, v4
	v_add_f32_e32 v19, 0x40051340, v5
	v_max3_f32 v23, v32, v23, v24
	v_add_f32_e32 v10, 0x40051340, v2
	v_add_f32_e32 v11, 0x40051340, v3
	v_max3_f32 v18, v23, v18, v19
	;; [unrolled: 3-line block ×3, first 2 shown]
	v_max3_f32 v8, v10, v8, v9
	ds_bpermute_b32 v9, v22, v8
	v_cndmask_b32_e32 v10, v80, v82, vcc
	v_lshlrev_b32_e32 v25, 2, v10
	s_waitcnt lgkmcnt(0)
	v_max_f32_e32 v9, v9, v9
	v_max_f32_e32 v8, v8, v9
	ds_bpermute_b32 v9, v25, v8
	s_waitcnt lgkmcnt(0)
	v_max_f32_e32 v9, v9, v9
	v_max_f32_e32 v24, v8, v9
	v_pk_add_f32 v[6:7], v[6:7], v[24:25] op_sel_hi:[1,0] neg_lo:[0,1] neg_hi:[0,1]
	v_pk_add_f32 v[28:29], v[4:5], v[24:25] op_sel_hi:[1,0] neg_lo:[0,1] neg_hi:[0,1]
	v_mul_f32_e32 v4, 0x3fb8aa3b, v7
	v_fma_f32 v8, v7, s4, -v4
	v_rndne_f32_e32 v9, v4
	v_fmac_f32_e32 v8, 0x32a5705f, v7
	v_sub_f32_e32 v4, v4, v9
	v_add_f32_e32 v4, v4, v8
	v_cvt_i32_f32_e32 v9, v9
	v_exp_f32_e32 v4, v4
	v_mul_f32_e32 v5, 0x3fb8aa3b, v6
	v_fma_f32 v10, v6, s4, -v5
	v_rndne_f32_e32 v11, v5
	v_ldexp_f32 v4, v4, v9
	v_cmp_ngt_f32_e32 vcc, s2, v7
	v_fmac_f32_e32 v10, 0x32a5705f, v6
	v_sub_f32_e32 v5, v5, v11
	v_mul_f32_e32 v8, 0x3fb8aa3b, v29
	v_cndmask_b32_e32 v4, 0, v4, vcc
	v_cmp_nlt_f32_e32 vcc, s3, v7
	v_add_f32_e32 v5, v5, v10
	v_fma_f32 v10, v29, s4, -v8
	v_cndmask_b32_e32 v18, v34, v4, vcc
	v_rndne_f32_e32 v4, v8
	v_cvt_i32_f32_e32 v11, v11
	v_exp_f32_e32 v5, v5
	v_fmac_f32_e32 v10, 0x32a5705f, v29
	v_sub_f32_e32 v7, v8, v4
	v_add_f32_e32 v7, v7, v10
	v_exp_f32_e32 v7, v7
	v_cvt_i32_f32_e32 v4, v4
	v_ldexp_f32 v5, v5, v11
	v_cmp_ngt_f32_e32 vcc, s2, v6
	v_cndmask_b32_e32 v5, 0, v5, vcc
	v_cmp_nlt_f32_e32 vcc, s3, v6
	v_cndmask_b32_e32 v19, v34, v5, vcc
	v_ldexp_f32 v4, v7, v4
	v_cmp_ngt_f32_e32 vcc, s2, v29
	v_pk_add_f32 v[30:31], v[2:3], v[24:25] op_sel_hi:[1,0] neg_lo:[0,1] neg_hi:[0,1]
	v_cndmask_b32_e32 v4, 0, v4, vcc
	v_cmp_nlt_f32_e32 vcc, s3, v29
	v_mul_f32_e32 v2, 0x3fb8aa3b, v31
	v_cndmask_b32_e32 v23, v34, v4, vcc
	v_fma_f32 v3, v31, s4, -v2
	v_rndne_f32_e32 v4, v2
	v_fmac_f32_e32 v3, 0x32a5705f, v31
	v_sub_f32_e32 v2, v2, v4
	v_add_f32_e32 v2, v2, v3
	v_mul_f32_e32 v5, 0x3fb8aa3b, v28
	v_exp_f32_e32 v35, v2
	v_lshlrev_b64 v[2:3], 2, v[14:15]
	v_fma_f32 v6, v28, s4, -v5
	v_rndne_f32_e32 v7, v5
	v_cvt_i32_f32_e32 v36, v4
	v_mov_b32_e32 v4, s1
	v_add_co_u32_e32 v2, vcc, s0, v2
	v_fmac_f32_e32 v6, 0x32a5705f, v28
	v_sub_f32_e32 v5, v5, v7
	v_addc_co_u32_e32 v3, vcc, v4, v3, vcc
	v_add_f32_e32 v5, v5, v6
	v_add_co_u32_e32 v10, vcc, v2, v26
	v_exp_f32_e32 v5, v5
	v_cvt_i32_f32_e32 v6, v7
	v_addc_co_u32_e32 v11, vcc, v3, v27, vcc
	v_lshlrev_b64 v[2:3], 2, v[16:17]
	v_add_co_u32_e32 v2, vcc, s0, v2
	v_addc_co_u32_e32 v3, vcc, v4, v3, vcc
	v_add_co_u32_e32 v14, vcc, v2, v20
	v_ldexp_f32 v29, v5, v6
	v_addc_co_u32_e32 v15, vcc, v3, v21, vcc
	global_load_dwordx4 v[2:5], v[10:11], off
	global_load_dwordx4 v[6:9], v[14:15], off
	v_lshlrev_b64 v[10:11], 2, v[12:13]
	v_mov_b32_e32 v12, s1
	v_add_co_u32_e32 v10, vcc, s0, v10
	v_addc_co_u32_e32 v11, vcc, v12, v11, vcc
	v_add_co_u32_e32 v10, vcc, v10, v20
	v_addc_co_u32_e32 v11, vcc, v11, v21, vcc
	global_load_dwordx4 v[10:13], v[10:11], off
	v_mul_f32_e32 v15, 0x3fb8aa3b, v30
	v_fma_f32 v16, v30, s4, -v15
	v_rndne_f32_e32 v17, v15
	v_fmac_f32_e32 v16, 0x32a5705f, v30
	v_sub_f32_e32 v15, v15, v17
	v_add_f32_e32 v15, v15, v16
	v_cmp_ngt_f32_e32 vcc, s2, v28
	v_exp_f32_e32 v15, v15
	v_cvt_i32_f32_e32 v16, v17
	v_cndmask_b32_e32 v14, 0, v29, vcc
	v_cmp_nlt_f32_e32 vcc, s3, v28
	v_cndmask_b32_e32 v28, v34, v14, vcc
	v_ldexp_f32 v14, v35, v36
	v_cmp_ngt_f32_e32 vcc, s2, v31
	v_cndmask_b32_e32 v14, 0, v14, vcc
	v_cmp_nlt_f32_e32 vcc, s3, v31
	v_pk_add_f32 v[0:1], v[0:1], v[24:25] op_sel_hi:[1,0] neg_lo:[0,1] neg_hi:[0,1]
	v_cndmask_b32_e32 v29, v34, v14, vcc
	v_ldexp_f32 v14, v15, v16
	v_mul_f32_e32 v15, 0x3fb8aa3b, v1
	v_fma_f32 v16, v1, s4, -v15
	v_rndne_f32_e32 v17, v15
	v_fmac_f32_e32 v16, 0x32a5705f, v1
	v_sub_f32_e32 v15, v15, v17
	v_add_f32_e32 v15, v15, v16
	v_exp_f32_e32 v15, v15
	v_cvt_i32_f32_e32 v16, v17
	v_cmp_ngt_f32_e32 vcc, s2, v30
	v_cndmask_b32_e32 v14, 0, v14, vcc
	v_cmp_nlt_f32_e32 vcc, s3, v30
	v_cndmask_b32_e32 v35, v34, v14, vcc
	v_ldexp_f32 v14, v15, v16
	v_mul_f32_e32 v15, 0x3fb8aa3b, v0
	v_fma_f32 v16, v0, s4, -v15
	v_rndne_f32_e32 v17, v15
	v_fmac_f32_e32 v16, 0x32a5705f, v0
	v_sub_f32_e32 v15, v15, v17
	v_add_f32_e32 v15, v15, v16
	v_cvt_i32_f32_e32 v16, v17
	v_sub_f32_e32 v17, v32, v24
	v_mul_f32_e32 v20, 0x3fb8aa3b, v17
	v_fma_f32 v21, v17, s4, -v20
	v_rndne_f32_e32 v26, v20
	v_fmac_f32_e32 v21, 0x32a5705f, v17
	v_sub_f32_e32 v20, v20, v26
	v_add_f32_e32 v20, v20, v21
	v_exp_f32_e32 v20, v20
	v_cvt_i32_f32_e32 v21, v26
	v_cmp_ngt_f32_e32 vcc, s2, v1
	v_cndmask_b32_e32 v14, 0, v14, vcc
	v_exp_f32_e32 v15, v15
	v_cmp_nlt_f32_e32 vcc, s3, v1
	v_cndmask_b32_e32 v32, v34, v14, vcc
	v_ldexp_f32 v14, v20, v21
	v_cmp_ngt_f32_e32 vcc, s2, v17
	v_cndmask_b32_e32 v14, 0, v14, vcc
	v_cmp_nlt_f32_e32 vcc, s3, v17
	s_mov_b32 s0, 0xc1a00000
	v_cndmask_b32_e32 v14, v34, v14, vcc
	v_cmp_le_f32_e32 vcc, s0, v17
	v_ldexp_f32 v1, v15, v16
	v_cndmask_b32_e32 v36, 0, v14, vcc
	v_cmp_ngt_f32_e32 vcc, s2, v0
	v_cndmask_b32_e32 v1, 0, v1, vcc
	v_cmp_nlt_f32_e32 vcc, s3, v0
	v_cvt_f16_f32_e32 v0, v18
	v_cvt_f16_f32_e32 v14, v19
	;; [unrolled: 1-line block ×5, first 2 shown]
	v_pack_b32_f16 v20, v14, v0
	s_waitcnt vmcnt(2)
	ds_write_b128 v44, v[2:5]
	s_waitcnt vmcnt(1)
	ds_write_b128 v45, v[6:9]
	;; [unrolled: 2-line block ×3, first 2 shown]
	v_add_u32_e32 v0, 0, v71
	v_lshlrev_b32_e32 v7, 1, v70
	v_add_u32_e32 v27, v0, v7
	v_cndmask_b32_e32 v38, v34, v1, vcc
	v_pack_b32_f16 v21, v16, v15
	s_waitcnt lgkmcnt(0)
	s_barrier
	v_lshlrev_b32_e32 v6, 1, v67
	v_add3_u32 v10, v0, v57, v56
	v_add3_u32 v4, v0, v58, v56
	s_mov_b32 s0, 0x5040100
	ds_read_u16 v8, v27 offset:32
	ds_read_u16 v11, v27 offset:64
	;; [unrolled: 1-line block ×3, first 2 shown]
	ds_read_u16 v5, v27
	ds_read_u16 v34, v10 offset:368
	ds_read_u16 v9, v4
	ds_read_u16 v12, v4 offset:32
	ds_read_u16 v13, v4 offset:64
	ds_read_u16 v16, v4 offset:96
	ds_read_u16 v39, v4 offset:128
	ds_read_u16 v40, v4 offset:160
	ds_read_u16 v41, v27 offset:160
	v_add_u32_e32 v3, v0, v6
	s_waitcnt lgkmcnt(6)
	v_perm_b32 v5, v9, v5, s0
	ds_read_u16 v4, v10 offset:208
	ds_read_u16 v42, v10 offset:240
	ds_read_u16 v9, v3
	ds_read_u16 v43, v3 offset:32
	ds_read_u16 v44, v3 offset:64
	ds_read_u16 v45, v3 offset:96
	ds_read_u16 v46, v3 offset:128
	ds_read_u16 v47, v3 offset:160
	v_pk_mul_f16 v1, v37, v94 op_sel_hi:[0,1]
	v_pk_mul_f16 v17, v37, v91 op_sel_hi:[0,1]
	s_waitcnt lgkmcnt(5)
	v_perm_b32 v4, v4, v9, s0
	v_cvt_f32_f16_e32 v0, v1
	v_cvt_f32_f16_sdwa v1, v1 dst_sel:DWORD dst_unused:UNUSED_PAD src0_sel:WORD_1
	v_cvt_f32_f16_e32 v2, v17
	v_cvt_f32_f16_sdwa v3, v17 dst_sel:DWORD dst_unused:UNUSED_PAD src0_sel:WORD_1
	v_cvt_f16_f32_e32 v14, v29
	v_cvt_f16_f32_e32 v9, v35
	v_mfma_f32_16x16x16f16 v[0:3], v[4:5], v[20:21], v[0:3]
	v_add_u32_e32 v4, 0, v59
	v_add_u32_e32 v59, v4, v7
	;; [unrolled: 1-line block ×3, first 2 shown]
	v_add3_u32 v57, v4, v57, v56
	v_add3_u32 v4, v4, v58, v56
	ds_read_u16 v56, v59 offset:32
	ds_read_u16 v58, v59 offset:64
	;; [unrolled: 1-line block ×3, first 2 shown]
	ds_read_u16 v5, v59
	ds_read_u16 v70, v57 offset:368
	ds_read_u16 v7, v4
	ds_read_u16 v71, v4 offset:32
	ds_read_u16 v75, v4 offset:64
	;; [unrolled: 1-line block ×6, first 2 shown]
	s_waitcnt lgkmcnt(6)
	v_perm_b32 v5, v7, v5, s0
	v_cvt_f16_f32_e32 v0, v0
	v_cvt_f16_f32_e32 v1, v1
	v_cvt_f16_f32_e32 v2, v2
	v_cvt_f16_f32_e32 v3, v3
	ds_read_u16 v4, v57 offset:208
	ds_read_u16 v80, v57 offset:240
	ds_read_u16 v7, v6
	ds_read_u16 v81, v6 offset:32
	ds_read_u16 v82, v6 offset:64
	;; [unrolled: 1-line block ×5, first 2 shown]
	v_cvt_f16_f32_e32 v17, v32
	v_cvt_f16_f32_e32 v31, v38
	s_waitcnt lgkmcnt(5)
	v_perm_b32 v4, v4, v7, s0
	v_cvt_f32_f16_e32 v0, v0
	v_cvt_f32_f16_e32 v1, v1
	;; [unrolled: 1-line block ×4, first 2 shown]
	v_pk_mul_f16 v26, v37, v90 op_sel_hi:[0,1]
	v_pk_mul_f16 v7, v37, v74 op_sel_hi:[0,1]
	v_pack_b32_f16 v30, v9, v14
	v_pack_b32_f16 v31, v31, v17
	v_perm_b32 v9, v12, v8, s0
	v_perm_b32 v8, v42, v43, s0
	v_mfma_f32_16x16x16f16 v[0:3], v[4:5], v[30:31], v[0:3]
	v_cvt_f32_f16_e32 v4, v26
	v_cvt_f32_f16_sdwa v5, v26 dst_sel:DWORD dst_unused:UNUSED_PAD src0_sel:WORD_1
	v_cvt_f32_f16_e32 v6, v7
	v_cvt_f32_f16_sdwa v7, v7 dst_sel:DWORD dst_unused:UNUSED_PAD src0_sel:WORD_1
	ds_read_u16 v12, v10 offset:272
	ds_read_u16 v26, v10 offset:304
	;; [unrolled: 1-line block ×3, first 2 shown]
	v_pk_mul_f16 v10, v37, v73 op_sel_hi:[0,1]
	v_pk_mul_f16 v14, v37, v72 op_sel_hi:[0,1]
	v_mfma_f32_16x16x16f16 v[4:7], v[8:9], v[20:21], v[4:7]
	v_perm_b32 v9, v71, v56, s0
	s_waitcnt lgkmcnt(7)
	v_perm_b32 v8, v80, v81, s0
	v_perm_b32 v13, v13, v11, s0
	s_waitcnt lgkmcnt(2)
	v_perm_b32 v12, v12, v44, s0
	v_cvt_f32_f16_sdwa v11, v14 dst_sel:DWORD dst_unused:UNUSED_PAD src0_sel:WORD_1
	v_pk_mul_f16 v56, v37, v66 op_sel_hi:[0,1]
	v_perm_b32 v17, v16, v15, s0
	s_nop 1
	v_cvt_f16_f32_e32 v4, v4
	v_cvt_f16_f32_e32 v5, v5
	;; [unrolled: 1-line block ×4, first 2 shown]
	v_cvt_f32_f16_e32 v4, v4
	v_cvt_f32_f16_e32 v5, v5
	;; [unrolled: 1-line block ×4, first 2 shown]
	s_waitcnt lgkmcnt(1)
	v_perm_b32 v16, v26, v45, s0
	v_cvt_f32_f16_sdwa v15, v56 dst_sel:DWORD dst_unused:UNUSED_PAD src0_sel:WORD_1
	v_mfma_f32_16x16x16f16 v[4:7], v[8:9], v[30:31], v[4:7]
	v_cvt_f32_f16_e32 v8, v10
	v_cvt_f32_f16_sdwa v9, v10 dst_sel:DWORD dst_unused:UNUSED_PAD src0_sel:WORD_1
	v_cvt_f32_f16_e32 v10, v14
	ds_read_u16 v14, v57 offset:272
	ds_read_u16 v43, v57 offset:304
	;; [unrolled: 1-line block ×5, first 2 shown]
	v_perm_b32 v34, v34, v47, s0
	s_waitcnt lgkmcnt(0)
	v_mfma_f32_16x16x16f16 v[8:11], v[12:13], v[20:21], v[8:11]
	v_perm_b32 v13, v75, v58, s0
	v_perm_b32 v12, v14, v82, s0
	v_pk_mul_f16 v14, v37, v68 op_sel_hi:[0,1]
	v_perm_b32 v27, v39, v26, s0
	v_perm_b32 v26, v42, v46, s0
	s_barrier
	s_nop 4
	v_cvt_f16_f32_e32 v8, v8
	v_cvt_f16_f32_e32 v9, v9
	;; [unrolled: 1-line block ×4, first 2 shown]
	v_cvt_f32_f16_e32 v8, v8
	v_cvt_f32_f16_e32 v9, v9
	;; [unrolled: 1-line block ×4, first 2 shown]
	s_nop 1
	v_mfma_f32_16x16x16f16 v[8:11], v[12:13], v[30:31], v[8:11]
	v_cvt_f32_f16_e32 v12, v14
	v_cvt_f32_f16_sdwa v13, v14 dst_sel:DWORD dst_unused:UNUSED_PAD src0_sel:WORD_1
	v_cvt_f32_f16_e32 v14, v56
	s_nop 1
	v_mfma_f32_16x16x16f16 v[12:15], v[16:17], v[20:21], v[12:15]
	v_perm_b32 v17, v76, v67, s0
	v_perm_b32 v16, v43, v83, s0
	v_add_f32_e32 v43, v19, v18
	v_pk_mul_f16 v18, v37, v64 op_sel_hi:[0,1]
	v_pk_mul_f16 v19, v37, v62 op_sel_hi:[0,1]
	v_add_f32_e32 v28, v28, v43
	v_add_f32_e32 v23, v23, v28
	s_nop 3
	v_cvt_f16_f32_e32 v12, v12
	v_cvt_f16_f32_e32 v13, v13
	;; [unrolled: 1-line block ×4, first 2 shown]
	v_cvt_f32_f16_e32 v12, v12
	v_cvt_f32_f16_e32 v13, v13
	;; [unrolled: 1-line block ×4, first 2 shown]
	v_add_f32_e32 v23, v35, v23
	v_add_f32_e32 v23, v29, v23
	v_mfma_f32_16x16x16f16 v[12:15], v[16:17], v[30:31], v[12:15]
	v_cvt_f32_f16_e32 v16, v18
	v_cvt_f32_f16_sdwa v17, v18 dst_sel:DWORD dst_unused:UNUSED_PAD src0_sel:WORD_1
	v_cvt_f32_f16_e32 v18, v19
	v_cvt_f32_f16_sdwa v19, v19 dst_sel:DWORD dst_unused:UNUSED_PAD src0_sel:WORD_1
	v_pk_mul_f16 v28, v37, v61 op_sel_hi:[0,1]
	v_pk_mul_f16 v29, v37, v60 op_sel_hi:[0,1]
	v_perm_b32 v35, v40, v41, s0
	v_mfma_f32_16x16x16f16 v[16:19], v[26:27], v[20:21], v[16:19]
	v_perm_b32 v27, v77, v45, s0
	v_perm_b32 v26, v44, v84, s0
	v_add_f32_e32 v23, v38, v23
	v_add_f32_e32 v32, v32, v23
	v_fmac_f32_e32 v32, v33, v36
	ds_bpermute_b32 v33, v22, v32
	s_nop 4
	v_cvt_f16_f32_e32 v16, v16
	v_cvt_f16_f32_e32 v17, v17
	;; [unrolled: 1-line block ×4, first 2 shown]
	v_cvt_f32_f16_e32 v16, v16
	v_cvt_f32_f16_e32 v17, v17
	;; [unrolled: 1-line block ×4, first 2 shown]
	s_nop 1
	v_mfma_f32_16x16x16f16 v[16:19], v[26:27], v[30:31], v[16:19]
	v_cvt_f32_f16_e32 v26, v28
	v_cvt_f32_f16_sdwa v27, v28 dst_sel:DWORD dst_unused:UNUSED_PAD src0_sel:WORD_1
	v_cvt_f32_f16_e32 v28, v29
	v_cvt_f32_f16_sdwa v29, v29 dst_sel:DWORD dst_unused:UNUSED_PAD src0_sel:WORD_1
	s_nop 1
	v_mfma_f32_16x16x16f16 v[26:29], v[34:35], v[20:21], v[26:29]
	s_nop 7
	s_nop 2
	v_cvt_f16_f32_e32 v20, v26
	v_cvt_f16_f32_e32 v21, v27
	;; [unrolled: 1-line block ×4, first 2 shown]
	v_cvt_f32_f16_e32 v26, v20
	v_cvt_f32_f16_e32 v27, v21
	v_perm_b32 v21, v78, v79, s0
	v_perm_b32 v20, v70, v85, s0
	v_cvt_f32_f16_e32 v28, v23
	v_cvt_f32_f16_e32 v29, v29
	v_cmp_gt_u32_e64 s[0:1], 16, v53
	s_nop 0
	v_mfma_f32_16x16x16f16 v[20:23], v[20:21], v[30:31], v[26:29]
	s_waitcnt lgkmcnt(0)
	s_nop 5
	v_add_f32_e32 v26, v32, v33
	ds_bpermute_b32 v27, v25, v26
	s_and_saveexec_b64 s[2:3], s[0:1]
	s_cbranch_execz .LBB14_247
; %bb.246:
	s_waitcnt lgkmcnt(0)
	v_add_f32_e32 v26, v26, v27
	v_or_b32_e32 v27, v55, v53
	s_movk_i32 s4, 0xd0
	v_mad_i32_i24 v27, v27, s4, 0
	ds_write2_b32 v27, v24, v26 offset0:48 offset1:49
.LBB14_247:
	s_or_b64 exec, exec, s[2:3]
	v_cmp_eq_u32_e32 vcc, 0, v69
	v_cmp_eq_u32_e64 s[2:3], 1, v69
	s_waitcnt lgkmcnt(0)
	s_barrier
	s_and_saveexec_b64 s[4:5], s[2:3]
	s_xor_b64 s[2:3], exec, s[4:5]
	s_cbranch_execz .LBB14_249
; %bb.248:
	s_barrier
	s_waitcnt lgkmcnt(0)
                                        ; implicit-def: $vgpr65
                                        ; implicit-def: $vgpr53
                                        ; implicit-def: $vgpr25
.LBB14_249:
	s_andn2_saveexec_b64 s[4:5], s[2:3]
	s_cbranch_execz .LBB14_255
; %bb.250:
	v_add_u32_e32 v28, v55, v49
	s_movk_i32 s2, 0xd0
	v_mad_i32_i24 v24, v28, s2, 0
	ds_read_b64 v[30:31], v24 offset:192
	s_mov_b32 s2, 0x3fb8aa3b
	s_mov_b32 s6, 0x42b17218
	s_waitcnt lgkmcnt(0)
	s_barrier
	ds_bpermute_b32 v24, v25, v30
	v_max_f32_e32 v26, v30, v30
	s_waitcnt lgkmcnt(0)
	v_max_f32_e32 v24, v24, v24
	v_max_f32_e32 v24, v26, v24
	v_sub_f32_e32 v26, v30, v24
	v_mul_f32_e32 v27, 0x3fb8aa3b, v26
	v_fma_f32 v29, v26, s2, -v27
	v_rndne_f32_e32 v30, v27
	v_fmac_f32_e32 v29, 0x32a5705f, v26
	v_sub_f32_e32 v27, v27, v30
	v_add_f32_e32 v27, v27, v29
	v_cvt_i32_f32_e32 v30, v30
	v_exp_f32_e32 v27, v27
	s_mov_b32 s2, 0xc2ce8ed0
	v_cmp_ngt_f32_e64 s[2:3], s2, v26
	v_mov_b32_e32 v29, 0x7f800000
	v_ldexp_f32 v27, v27, v30
	v_cndmask_b32_e64 v27, 0, v27, s[2:3]
	v_cmp_nlt_f32_e64 s[2:3], s6, v26
	v_cndmask_b32_e64 v26, v29, v27, s[2:3]
	v_mul_f32_e32 v27, v31, v26
	ds_bpermute_b32 v27, v25, v27
	v_cmp_gt_u32_e64 s[2:3], 32, v53
	s_waitcnt lgkmcnt(0)
	v_fmac_f32_e32 v27, v31, v26
	s_and_saveexec_b64 s[8:9], s[2:3]
	s_cbranch_execz .LBB14_252
; %bb.251:
	v_mul_i32_i24_e32 v25, 0xd0, v28
	v_add_u32_e32 v25, 0, v25
	ds_write_b64 v25, v[26:27] offset:192
.LBB14_252:
	s_or_b64 exec, exec, s[8:9]
	s_and_saveexec_b64 s[2:3], s[0:1]
	s_cbranch_execz .LBB14_254
; %bb.253:
	s_add_i32 s0, s47, s53
	s_lshl_b32 s0, s0, 5
	s_mov_b32 s1, 0
	s_lshl_b64 s[0:1], s[0:1], 3
	s_add_u32 s0, s30, s0
	v_or_b32_e32 v25, v65, v53
	s_addc_u32 s1, s31, s1
	v_lshlrev_b32_e32 v26, 3, v25
	v_mov_b32_e32 v25, v27
	global_store_dwordx2 v26, v[24:25], s[0:1]
.LBB14_254:
	s_or_b64 exec, exec, s[2:3]
.LBB14_255:
	s_or_b64 exec, exec, s[4:5]
	v_cvt_f16_f32_e32 v0, v0
	v_cvt_f16_f32_e32 v1, v1
	;; [unrolled: 1-line block ×8, first 2 shown]
	v_pack_b32_f16 v2, v2, v3
	v_pack_b32_f16 v0, v0, v1
	;; [unrolled: 1-line block ×4, first 2 shown]
	v_cvt_f16_f32_e32 v4, v8
	v_cvt_f16_f32_e32 v5, v9
	;; [unrolled: 1-line block ×8, first 2 shown]
	v_pack_b32_f16 v6, v6, v7
	v_pack_b32_f16 v4, v4, v5
	;; [unrolled: 1-line block ×4, first 2 shown]
	v_cvt_f16_f32_e32 v10, v18
	v_cvt_f16_f32_e32 v11, v19
	;; [unrolled: 1-line block ×8, first 2 shown]
	v_pack_b32_f16 v10, v10, v11
	v_pack_b32_f16 v11, v12, v15
	v_or_b32_e32 v12, v55, v48
	v_mad_i32_i24 v12, v12, 52, v54
	s_mov_b32 s3, 0
	v_lshl_add_u32 v12, v12, 2, 0
	v_pack_b32_f16 v8, v8, v9
	v_pack_b32_f16 v9, v13, v14
	ds_write2_b32 v12, v0, v2 offset1:1
	ds_write2_b32 v12, v3, v1 offset0:8 offset1:9
	ds_write2_b32 v12, v4, v6 offset0:16 offset1:17
	;; [unrolled: 1-line block ×5, first 2 shown]
	s_waitcnt lgkmcnt(0)
	s_barrier
	s_and_saveexec_b64 s[0:1], vcc
	s_cbranch_execz .LBB14_257
; %bb.256:
	s_mul_i32 s2, s53, 0x600
	v_add_u32_e32 v12, v52, v63
	s_lshl_b64 s[4:5], s[2:3], 3
	v_lshlrev_b32_e32 v13, 1, v12
	v_and_b32_e32 v14, 15, v12
	s_movk_i32 s2, 0xfe0
	s_add_u32 s6, s30, s4
	v_and_or_b32 v0, v13, s2, v14
	s_movk_i32 s4, 0xd0
	v_mad_u32_u24 v2, v0, s4, 0
	v_lshlrev_b32_e32 v15, 2, v49
	v_add_u32_e32 v0, v2, v15
	ds_read2st64_b32 v[0:1], v0 offset1:13
	v_add_u32_e32 v2, 0xc0, v2
	ds_read2st64_b32 v[2:3], v2 offset1:13
	s_addc_u32 s5, s31, s5
	s_lshl_b32 s2, s47, 6
	s_waitcnt lgkmcnt(1)
	v_cvt_f32_f16_e32 v4, v0
	v_cvt_f32_f16_sdwa v5, v0 dst_sel:DWORD dst_unused:UNUSED_PAD src0_sel:WORD_1
	s_lshl_b64 s[2:3], s[2:3], 3
	s_add_u32 s2, s6, s2
	s_addc_u32 s3, s5, s3
	s_waitcnt lgkmcnt(0)
	v_pk_fma_f32 v[4:5], v[2:3], v[4:5], 0 op_sel_hi:[0,1,0]
	v_add_u32_e32 v2, 4, v12
	v_lshlrev_b32_e32 v6, 1, v2
	v_and_b32_e32 v2, 15, v2
	s_movk_i32 s5, 0x1fe0
	v_and_or_b32 v2, v6, s5, v2
	v_mad_u32_u24 v8, v2, s4, 0
	v_add_u32_e32 v2, v8, v15
	ds_read2st64_b32 v[6:7], v2 offset1:13
	v_cvt_f32_f16_e32 v0, v1
	v_cvt_f32_f16_sdwa v1, v1 dst_sel:DWORD dst_unused:UNUSED_PAD src0_sel:WORD_1
	v_mov_b32_e32 v2, v3
	v_add_u32_e32 v3, 0xc0, v8
	ds_read2st64_b32 v[8:9], v3 offset1:13
	s_waitcnt lgkmcnt(1)
	v_cvt_f32_f16_e32 v10, v6
	v_cvt_f32_f16_sdwa v11, v6 dst_sel:DWORD dst_unused:UNUSED_PAD src0_sel:WORD_1
	v_pk_fma_f32 v[0:1], v[2:3], v[0:1], v[4:5] op_sel_hi:[0,1,1]
	v_add_u32_e32 v3, 8, v12
	v_mul_u32_u24_e32 v16, 48, v12
	v_lshlrev_b32_e32 v4, 1, v3
	v_and_b32_e32 v3, 15, v3
	v_add_lshl_u32 v16, v16, v49, 3
	v_and_or_b32 v3, v4, s5, v3
	global_store_dwordx2 v16, v[0:1], s[2:3]
	s_waitcnt lgkmcnt(0)
	v_pk_fma_f32 v[0:1], v[8:9], v[10:11], 0 op_sel_hi:[0,1,0]
	v_mad_u32_u24 v8, v3, s4, 0
	v_add_u32_e32 v3, v8, v15
	ds_read2st64_b32 v[4:5], v3 offset1:13
	v_cvt_f32_f16_e32 v2, v7
	v_cvt_f32_f16_sdwa v3, v7 dst_sel:DWORD dst_unused:UNUSED_PAD src0_sel:WORD_1
	v_add_u32_e32 v7, 0xc0, v8
	v_mov_b32_e32 v6, v9
	ds_read2st64_b32 v[8:9], v7 offset1:13
	s_waitcnt lgkmcnt(1)
	v_cvt_f32_f16_e32 v10, v4
	v_cvt_f32_f16_sdwa v11, v4 dst_sel:DWORD dst_unused:UNUSED_PAD src0_sel:WORD_1
	v_pk_fma_f32 v[0:1], v[6:7], v[2:3], v[0:1] op_sel_hi:[0,1,1]
	v_add_u32_e32 v3, 12, v12
	v_lshlrev_b32_e32 v4, 1, v3
	v_and_b32_e32 v3, 15, v3
	v_and_or_b32 v3, v4, s5, v3
	global_store_dwordx2 v16, v[0:1], s[2:3] offset:1536
	s_waitcnt lgkmcnt(0)
	v_pk_fma_f32 v[0:1], v[8:9], v[10:11], 0 op_sel_hi:[0,1,0]
	v_mad_u32_u24 v8, v3, s4, 0
	v_add_u32_e32 v3, v8, v15
	ds_read2st64_b32 v[6:7], v3 offset1:13
	v_cvt_f32_f16_e32 v2, v5
	v_cvt_f32_f16_sdwa v3, v5 dst_sel:DWORD dst_unused:UNUSED_PAD src0_sel:WORD_1
	v_add_u32_e32 v5, 0xc0, v8
	v_mov_b32_e32 v4, v9
	ds_read2st64_b32 v[8:9], v5 offset1:13
	s_waitcnt lgkmcnt(1)
	v_cvt_f32_f16_e32 v10, v6
	v_cvt_f32_f16_sdwa v11, v6 dst_sel:DWORD dst_unused:UNUSED_PAD src0_sel:WORD_1
	v_pk_fma_f32 v[0:1], v[4:5], v[2:3], v[0:1] op_sel_hi:[0,1,1]
	v_add_u32_e32 v3, 32, v13
	v_add_u32_e32 v17, 0xc00, v16
	v_and_or_b32 v3, v3, s5, v14
	global_store_dwordx2 v17, v[0:1], s[2:3]
	s_waitcnt lgkmcnt(0)
	v_pk_fma_f32 v[0:1], v[8:9], v[10:11], 0 op_sel_hi:[0,1,0]
	v_mad_u32_u24 v8, v3, s4, 0
	v_add_u32_e32 v3, v8, v15
	ds_read2st64_b32 v[4:5], v3 offset1:13
	v_cvt_f32_f16_e32 v2, v7
	v_cvt_f32_f16_sdwa v3, v7 dst_sel:DWORD dst_unused:UNUSED_PAD src0_sel:WORD_1
	v_add_u32_e32 v7, 0xc0, v8
	v_mov_b32_e32 v6, v9
	ds_read2st64_b32 v[8:9], v7 offset1:13
	s_waitcnt lgkmcnt(1)
	v_cvt_f32_f16_e32 v10, v4
	v_cvt_f32_f16_sdwa v11, v4 dst_sel:DWORD dst_unused:UNUSED_PAD src0_sel:WORD_1
	v_pk_fma_f32 v[0:1], v[6:7], v[2:3], v[0:1] op_sel_hi:[0,1,1]
	v_add_u32_e32 v3, 20, v12
	v_lshlrev_b32_e32 v4, 1, v3
	v_and_b32_e32 v3, 15, v3
	v_add_u32_e32 v17, 0x1200, v16
	v_and_or_b32 v3, v4, s5, v3
	global_store_dwordx2 v17, v[0:1], s[2:3]
	s_waitcnt lgkmcnt(0)
	v_pk_fma_f32 v[0:1], v[8:9], v[10:11], 0 op_sel_hi:[0,1,0]
	v_mad_u32_u24 v8, v3, s4, 0
	v_add_u32_e32 v3, v8, v15
	ds_read2st64_b32 v[6:7], v3 offset1:13
	v_cvt_f32_f16_e32 v2, v5
	v_cvt_f32_f16_sdwa v3, v5 dst_sel:DWORD dst_unused:UNUSED_PAD src0_sel:WORD_1
	v_add_u32_e32 v5, 0xc0, v8
	v_mov_b32_e32 v4, v9
	ds_read2st64_b32 v[8:9], v5 offset1:13
	s_waitcnt lgkmcnt(1)
	v_cvt_f32_f16_e32 v10, v6
	v_cvt_f32_f16_sdwa v11, v6 dst_sel:DWORD dst_unused:UNUSED_PAD src0_sel:WORD_1
	v_pk_fma_f32 v[0:1], v[4:5], v[2:3], v[0:1] op_sel_hi:[0,1,1]
	v_add_u32_e32 v3, 24, v12
	v_lshlrev_b32_e32 v4, 1, v3
	v_and_b32_e32 v3, 15, v3
	;; [unrolled: 20-line block ×3, first 2 shown]
	v_add_u32_e32 v13, 0x1e00, v16
	v_and_or_b32 v3, v4, s5, v3
	global_store_dwordx2 v13, v[0:1], s[2:3]
	s_waitcnt lgkmcnt(0)
	v_pk_fma_f32 v[0:1], v[8:9], v[10:11], 0 op_sel_hi:[0,1,0]
	v_mad_u32_u24 v8, v3, s4, 0
	v_add_u32_e32 v3, v8, v15
	ds_read2st64_b32 v[6:7], v3 offset1:13
	v_cvt_f32_f16_e32 v2, v5
	v_cvt_f32_f16_sdwa v3, v5 dst_sel:DWORD dst_unused:UNUSED_PAD src0_sel:WORD_1
	v_add_u32_e32 v5, 0xc0, v8
	v_mov_b32_e32 v4, v9
	ds_read2st64_b32 v[8:9], v5 offset1:13
	s_waitcnt lgkmcnt(1)
	v_cvt_f32_f16_e32 v10, v6
	v_cvt_f32_f16_sdwa v11, v6 dst_sel:DWORD dst_unused:UNUSED_PAD src0_sel:WORD_1
	v_add_u32_e32 v13, 0x2400, v16
	v_pk_fma_f32 v[0:1], v[4:5], v[2:3], v[0:1] op_sel_hi:[0,1,1]
	v_add_u32_e32 v12, v50, v51
	global_store_dwordx2 v13, v[0:1], s[2:3]
	v_lshlrev_b32_e32 v13, 1, v12
	v_and_b32_e32 v14, 15, v12
	v_and_or_b32 v6, v13, s5, v14
	s_waitcnt lgkmcnt(0)
	v_pk_fma_f32 v[0:1], v[8:9], v[10:11], 0 op_sel_hi:[0,1,0]
	v_mad_u32_u24 v8, v6, s4, 0
	v_lshlrev_b32_e32 v15, 2, v48
	v_cvt_f32_f16_e32 v2, v7
	v_cvt_f32_f16_sdwa v3, v7 dst_sel:DWORD dst_unused:UNUSED_PAD src0_sel:WORD_1
	v_add_u32_e32 v6, v8, v15
	v_add_u32_e32 v6, 0x80, v6
	ds_read2st64_b32 v[6:7], v6 offset1:13
	v_add_u32_e32 v5, 0x2a00, v16
	v_mov_b32_e32 v4, v9
	v_pk_fma_f32 v[0:1], v[4:5], v[2:3], v[0:1] op_sel_hi:[0,1,1]
	global_store_dwordx2 v5, v[0:1], s[2:3]
	v_add_u32_e32 v0, 0xc0, v8
	ds_read2st64_b32 v[0:1], v0 offset1:13
	s_waitcnt lgkmcnt(1)
	v_cvt_f32_f16_e32 v2, v6
	v_cvt_f32_f16_sdwa v3, v6 dst_sel:DWORD dst_unused:UNUSED_PAD src0_sel:WORD_1
	s_movk_i32 s5, 0x3fe0
	v_mul_u32_u24_e32 v4, 48, v12
	v_or_b32_e32 v4, v4, v48
	s_waitcnt lgkmcnt(0)
	v_pk_fma_f32 v[2:3], v[0:1], v[2:3], 0 op_sel_hi:[0,1,0]
	v_add_u32_e32 v0, 8, v12
	v_lshlrev_b32_e32 v5, 1, v0
	v_and_b32_e32 v0, 15, v0
	v_and_or_b32 v0, v5, s5, v0
	v_mad_u32_u24 v6, v0, s4, 0
	v_add_u32_e32 v0, v6, v15
	v_lshlrev_b32_e32 v16, 3, v4
	v_cvt_f32_f16_e32 v4, v7
	v_add_u32_e32 v0, 0x80, v0
	v_cvt_f32_f16_sdwa v5, v7 dst_sel:DWORD dst_unused:UNUSED_PAD src0_sel:WORD_1
	ds_read2st64_b32 v[8:9], v0 offset1:13
	v_mov_b32_e32 v0, v1
	v_add_u32_e32 v1, 0xc0, v6
	ds_read2st64_b32 v[6:7], v1 offset1:13
	v_pk_fma_f32 v[0:1], v[0:1], v[4:5], v[2:3] op_sel_hi:[0,1,1]
	v_add_u32_e32 v3, 32, v13
	v_and_or_b32 v3, v3, s5, v14
	s_waitcnt lgkmcnt(1)
	v_cvt_f32_f16_e32 v10, v8
	v_cvt_f32_f16_sdwa v11, v8 dst_sel:DWORD dst_unused:UNUSED_PAD src0_sel:WORD_1
	v_mad_u32_u24 v8, v3, s4, 0
	v_add_u32_e32 v3, v8, v15
	v_add_u32_e32 v3, 0x80, v3
	ds_read2st64_b32 v[4:5], v3 offset1:13
	v_cvt_f32_f16_e32 v2, v9
	v_cvt_f32_f16_sdwa v3, v9 dst_sel:DWORD dst_unused:UNUSED_PAD src0_sel:WORD_1
	global_store_dwordx2 v16, v[0:1], s[2:3] offset:256
	s_waitcnt lgkmcnt(1)
	v_pk_fma_f32 v[0:1], v[6:7], v[10:11], 0 op_sel_hi:[0,1,0]
	v_mov_b32_e32 v6, v7
	v_add_u32_e32 v7, 0xc0, v8
	v_pk_fma_f32 v[0:1], v[6:7], v[2:3], v[0:1] op_sel_hi:[0,1,1]
	s_waitcnt lgkmcnt(0)
	v_cvt_f32_f16_e32 v2, v5
	v_cvt_f32_f16_sdwa v3, v5 dst_sel:DWORD dst_unused:UNUSED_PAD src0_sel:WORD_1
	v_add_u32_e32 v5, 24, v12
	v_lshlrev_b32_e32 v6, 1, v5
	v_and_b32_e32 v5, 15, v5
	ds_read2st64_b32 v[8:9], v7 offset1:13
	v_and_or_b32 v5, v6, s5, v5
	v_cvt_f32_f16_e32 v10, v4
	v_cvt_f32_f16_sdwa v11, v4 dst_sel:DWORD dst_unused:UNUSED_PAD src0_sel:WORD_1
	v_mad_u32_u24 v5, v5, s4, 0
	v_add_u32_e32 v6, v5, v15
	v_add_u32_e32 v6, 0x80, v6
	;; [unrolled: 1-line block ×3, first 2 shown]
	ds_read2st64_b32 v[6:7], v6 offset1:13
	global_store_dwordx2 v17, v[0:1], s[2:3] offset:256
	s_waitcnt lgkmcnt(1)
	v_pk_fma_f32 v[0:1], v[8:9], v[10:11], 0 op_sel_hi:[0,1,0]
	v_mov_b32_e32 v4, v9
	v_add_u32_e32 v13, 0x1800, v16
	v_pk_fma_f32 v[0:1], v[4:5], v[2:3], v[0:1] op_sel_hi:[0,1,1]
	global_store_dwordx2 v13, v[0:1], s[2:3] offset:256
	v_add_u32_e32 v0, 0xc0, v5
	ds_read2st64_b32 v[0:1], v0 offset1:13
	s_waitcnt lgkmcnt(1)
	v_cvt_f32_f16_e32 v2, v6
	v_cvt_f32_f16_sdwa v3, v6 dst_sel:DWORD dst_unused:UNUSED_PAD src0_sel:WORD_1
	v_cvt_f32_f16_e32 v4, v7
	v_cvt_f32_f16_sdwa v5, v7 dst_sel:DWORD dst_unused:UNUSED_PAD src0_sel:WORD_1
	v_add_u32_e32 v6, 0x2400, v16
	s_waitcnt lgkmcnt(0)
	v_pk_fma_f32 v[2:3], v[0:1], v[2:3], 0 op_sel_hi:[0,1,0]
	v_mov_b32_e32 v0, v1
	v_pk_fma_f32 v[0:1], v[0:1], v[4:5], v[2:3] op_sel_hi:[0,1,1]
	global_store_dwordx2 v6, v[0:1], s[2:3] offset:256
.LBB14_257:
	s_or_b64 exec, exec, s[0:1]
	s_barrier
	s_endpgm
	.section	.rodata,"a",@progbits
	.p2align	6, 0x0
	.amdhsa_kernel _ZL18flash_attn_ext_f16ILi96ELi96ELi16ELi2ELb0ELb0EEvPKcS1_S1_S1_S1_PKiPfP15HIP_vector_typeIfLj2EEffffjfiS5_IjLj3EEiiiiiiiiiiiliiliiiiil
		.amdhsa_group_segment_fixed_size 0
		.amdhsa_private_segment_fixed_size 0
		.amdhsa_kernarg_size 464
		.amdhsa_user_sgpr_count 6
		.amdhsa_user_sgpr_private_segment_buffer 1
		.amdhsa_user_sgpr_dispatch_ptr 0
		.amdhsa_user_sgpr_queue_ptr 0
		.amdhsa_user_sgpr_kernarg_segment_ptr 1
		.amdhsa_user_sgpr_dispatch_id 0
		.amdhsa_user_sgpr_flat_scratch_init 0
		.amdhsa_user_sgpr_kernarg_preload_length 0
		.amdhsa_user_sgpr_kernarg_preload_offset 0
		.amdhsa_user_sgpr_private_segment_size 0
		.amdhsa_uses_dynamic_stack 0
		.amdhsa_system_sgpr_private_segment_wavefront_offset 0
		.amdhsa_system_sgpr_workgroup_id_x 1
		.amdhsa_system_sgpr_workgroup_id_y 0
		.amdhsa_system_sgpr_workgroup_id_z 0
		.amdhsa_system_sgpr_workgroup_info 0
		.amdhsa_system_vgpr_workitem_id 1
		.amdhsa_next_free_vgpr 211
		.amdhsa_next_free_sgpr 96
		.amdhsa_accum_offset 212
		.amdhsa_reserve_vcc 1
		.amdhsa_reserve_flat_scratch 0
		.amdhsa_float_round_mode_32 0
		.amdhsa_float_round_mode_16_64 0
		.amdhsa_float_denorm_mode_32 3
		.amdhsa_float_denorm_mode_16_64 3
		.amdhsa_dx10_clamp 1
		.amdhsa_ieee_mode 1
		.amdhsa_fp16_overflow 0
		.amdhsa_tg_split 0
		.amdhsa_exception_fp_ieee_invalid_op 0
		.amdhsa_exception_fp_denorm_src 0
		.amdhsa_exception_fp_ieee_div_zero 0
		.amdhsa_exception_fp_ieee_overflow 0
		.amdhsa_exception_fp_ieee_underflow 0
		.amdhsa_exception_fp_ieee_inexact 0
		.amdhsa_exception_int_div_zero 0
	.end_amdhsa_kernel
	.section	.text._ZL18flash_attn_ext_f16ILi96ELi96ELi16ELi2ELb0ELb0EEvPKcS1_S1_S1_S1_PKiPfP15HIP_vector_typeIfLj2EEffffjfiS5_IjLj3EEiiiiiiiiiiiliiliiiiil,"axG",@progbits,_ZL18flash_attn_ext_f16ILi96ELi96ELi16ELi2ELb0ELb0EEvPKcS1_S1_S1_S1_PKiPfP15HIP_vector_typeIfLj2EEffffjfiS5_IjLj3EEiiiiiiiiiiiliiliiiiil,comdat
.Lfunc_end14:
	.size	_ZL18flash_attn_ext_f16ILi96ELi96ELi16ELi2ELb0ELb0EEvPKcS1_S1_S1_S1_PKiPfP15HIP_vector_typeIfLj2EEffffjfiS5_IjLj3EEiiiiiiiiiiiliiliiiiil, .Lfunc_end14-_ZL18flash_attn_ext_f16ILi96ELi96ELi16ELi2ELb0ELb0EEvPKcS1_S1_S1_S1_PKiPfP15HIP_vector_typeIfLj2EEffffjfiS5_IjLj3EEiiiiiiiiiiiliiliiiiil
                                        ; -- End function
	.section	.AMDGPU.csdata,"",@progbits
; Kernel info:
; codeLenInByte = 40100
; NumSgprs: 100
; NumVgprs: 211
; NumAgprs: 0
; TotalNumVgprs: 211
; ScratchSize: 0
; MemoryBound: 0
; FloatMode: 240
; IeeeMode: 1
; LDSByteSize: 0 bytes/workgroup (compile time only)
; SGPRBlocks: 12
; VGPRBlocks: 26
; NumSGPRsForWavesPerEU: 100
; NumVGPRsForWavesPerEU: 211
; AccumOffset: 212
; Occupancy: 2
; WaveLimiterHint : 1
; COMPUTE_PGM_RSRC2:SCRATCH_EN: 0
; COMPUTE_PGM_RSRC2:USER_SGPR: 6
; COMPUTE_PGM_RSRC2:TRAP_HANDLER: 0
; COMPUTE_PGM_RSRC2:TGID_X_EN: 1
; COMPUTE_PGM_RSRC2:TGID_Y_EN: 0
; COMPUTE_PGM_RSRC2:TGID_Z_EN: 0
; COMPUTE_PGM_RSRC2:TIDIG_COMP_CNT: 1
; COMPUTE_PGM_RSRC3_GFX90A:ACCUM_OFFSET: 52
; COMPUTE_PGM_RSRC3_GFX90A:TG_SPLIT: 0
	.section	.text._ZL18flash_attn_ext_f16ILi96ELi96ELi16ELi2ELb1ELb0EEvPKcS1_S1_S1_S1_PKiPfP15HIP_vector_typeIfLj2EEffffjfiS5_IjLj3EEiiiiiiiiiiiliiliiiiil,"axG",@progbits,_ZL18flash_attn_ext_f16ILi96ELi96ELi16ELi2ELb1ELb0EEvPKcS1_S1_S1_S1_PKiPfP15HIP_vector_typeIfLj2EEffffjfiS5_IjLj3EEiiiiiiiiiiiliiliiiiil,comdat
	.globl	_ZL18flash_attn_ext_f16ILi96ELi96ELi16ELi2ELb1ELb0EEvPKcS1_S1_S1_S1_PKiPfP15HIP_vector_typeIfLj2EEffffjfiS5_IjLj3EEiiiiiiiiiiiliiliiiiil ; -- Begin function _ZL18flash_attn_ext_f16ILi96ELi96ELi16ELi2ELb1ELb0EEvPKcS1_S1_S1_S1_PKiPfP15HIP_vector_typeIfLj2EEffffjfiS5_IjLj3EEiiiiiiiiiiiliiliiiiil
	.p2align	8
	.type	_ZL18flash_attn_ext_f16ILi96ELi96ELi16ELi2ELb1ELb0EEvPKcS1_S1_S1_S1_PKiPfP15HIP_vector_typeIfLj2EEffffjfiS5_IjLj3EEiiiiiiiiiiiliiliiiiil,@function
_ZL18flash_attn_ext_f16ILi96ELi96ELi16ELi2ELb1ELb0EEvPKcS1_S1_S1_S1_PKiPfP15HIP_vector_typeIfLj2EEffffjfiS5_IjLj3EEiiiiiiiiiiiliiliiiiil: ; @_ZL18flash_attn_ext_f16ILi96ELi96ELi16ELi2ELb1ELb0EEvPKcS1_S1_S1_S1_PKiPfP15HIP_vector_typeIfLj2EEffffjfiS5_IjLj3EEiiiiiiiiiiiliiliiiiil
; %bb.0:
	s_add_u32 flat_scratch_lo, s6, s9
	s_addc_u32 flat_scratch_hi, s7, 0
	s_add_u32 s0, s0, s9
	s_addc_u32 s1, s1, 0
	s_add_u32 s8, s4, 0xd0
	s_addc_u32 s9, s5, 0
	s_mov_b32 s32, 0
	s_getpc_b64 s[4:5]
	s_add_u32 s4, s4, _ZL14no_device_codePKciS0_iS0_@rel32@lo+4
	s_addc_u32 s5, s5, _ZL14no_device_codePKciS0_iS0_@rel32@hi+12
	s_swappc_b64 s[30:31], s[4:5]
	.section	.rodata,"a",@progbits
	.p2align	6, 0x0
	.amdhsa_kernel _ZL18flash_attn_ext_f16ILi96ELi96ELi16ELi2ELb1ELb0EEvPKcS1_S1_S1_S1_PKiPfP15HIP_vector_typeIfLj2EEffffjfiS5_IjLj3EEiiiiiiiiiiiliiliiiiil
		.amdhsa_group_segment_fixed_size 0
		.amdhsa_private_segment_fixed_size 16
		.amdhsa_kernarg_size 464
		.amdhsa_user_sgpr_count 8
		.amdhsa_user_sgpr_private_segment_buffer 1
		.amdhsa_user_sgpr_dispatch_ptr 0
		.amdhsa_user_sgpr_queue_ptr 0
		.amdhsa_user_sgpr_kernarg_segment_ptr 1
		.amdhsa_user_sgpr_dispatch_id 0
		.amdhsa_user_sgpr_flat_scratch_init 1
		.amdhsa_user_sgpr_kernarg_preload_length 0
		.amdhsa_user_sgpr_kernarg_preload_offset 0
		.amdhsa_user_sgpr_private_segment_size 0
		.amdhsa_uses_dynamic_stack 0
		.amdhsa_system_sgpr_private_segment_wavefront_offset 1
		.amdhsa_system_sgpr_workgroup_id_x 1
		.amdhsa_system_sgpr_workgroup_id_y 0
		.amdhsa_system_sgpr_workgroup_id_z 0
		.amdhsa_system_sgpr_workgroup_info 0
		.amdhsa_system_vgpr_workitem_id 0
		.amdhsa_next_free_vgpr 39
		.amdhsa_next_free_sgpr 34
		.amdhsa_accum_offset 40
		.amdhsa_reserve_vcc 1
		.amdhsa_reserve_flat_scratch 1
		.amdhsa_float_round_mode_32 0
		.amdhsa_float_round_mode_16_64 0
		.amdhsa_float_denorm_mode_32 3
		.amdhsa_float_denorm_mode_16_64 3
		.amdhsa_dx10_clamp 1
		.amdhsa_ieee_mode 1
		.amdhsa_fp16_overflow 0
		.amdhsa_tg_split 0
		.amdhsa_exception_fp_ieee_invalid_op 0
		.amdhsa_exception_fp_denorm_src 0
		.amdhsa_exception_fp_ieee_div_zero 0
		.amdhsa_exception_fp_ieee_overflow 0
		.amdhsa_exception_fp_ieee_underflow 0
		.amdhsa_exception_fp_ieee_inexact 0
		.amdhsa_exception_int_div_zero 0
	.end_amdhsa_kernel
	.section	.text._ZL18flash_attn_ext_f16ILi96ELi96ELi16ELi2ELb1ELb0EEvPKcS1_S1_S1_S1_PKiPfP15HIP_vector_typeIfLj2EEffffjfiS5_IjLj3EEiiiiiiiiiiiliiliiiiil,"axG",@progbits,_ZL18flash_attn_ext_f16ILi96ELi96ELi16ELi2ELb1ELb0EEvPKcS1_S1_S1_S1_PKiPfP15HIP_vector_typeIfLj2EEffffjfiS5_IjLj3EEiiiiiiiiiiiliiliiiiil,comdat
.Lfunc_end15:
	.size	_ZL18flash_attn_ext_f16ILi96ELi96ELi16ELi2ELb1ELb0EEvPKcS1_S1_S1_S1_PKiPfP15HIP_vector_typeIfLj2EEffffjfiS5_IjLj3EEiiiiiiiiiiiliiliiiiil, .Lfunc_end15-_ZL18flash_attn_ext_f16ILi96ELi96ELi16ELi2ELb1ELb0EEvPKcS1_S1_S1_S1_PKiPfP15HIP_vector_typeIfLj2EEffffjfiS5_IjLj3EEiiiiiiiiiiiliiliiiiil
                                        ; -- End function
	.section	.AMDGPU.csdata,"",@progbits
; Kernel info:
; codeLenInByte = 56
; NumSgprs: 40
; NumVgprs: 39
; NumAgprs: 0
; TotalNumVgprs: 39
; ScratchSize: 16
; MemoryBound: 0
; FloatMode: 240
; IeeeMode: 1
; LDSByteSize: 0 bytes/workgroup (compile time only)
; SGPRBlocks: 4
; VGPRBlocks: 4
; NumSGPRsForWavesPerEU: 40
; NumVGPRsForWavesPerEU: 39
; AccumOffset: 40
; Occupancy: 8
; WaveLimiterHint : 1
; COMPUTE_PGM_RSRC2:SCRATCH_EN: 1
; COMPUTE_PGM_RSRC2:USER_SGPR: 8
; COMPUTE_PGM_RSRC2:TRAP_HANDLER: 0
; COMPUTE_PGM_RSRC2:TGID_X_EN: 1
; COMPUTE_PGM_RSRC2:TGID_Y_EN: 0
; COMPUTE_PGM_RSRC2:TGID_Z_EN: 0
; COMPUTE_PGM_RSRC2:TIDIG_COMP_CNT: 0
; COMPUTE_PGM_RSRC3_GFX90A:ACCUM_OFFSET: 9
; COMPUTE_PGM_RSRC3_GFX90A:TG_SPLIT: 0
	.section	.text._ZL33flash_attn_stream_k_fixup_uniformILi96ELi16ELi2EEvPfPK15HIP_vector_typeIfLj2EEiiiiiiS1_IjLj3EES5_S5_,"axG",@progbits,_ZL33flash_attn_stream_k_fixup_uniformILi96ELi16ELi2EEvPfPK15HIP_vector_typeIfLj2EEiiiiiiS1_IjLj3EES5_S5_,comdat
	.globl	_ZL33flash_attn_stream_k_fixup_uniformILi96ELi16ELi2EEvPfPK15HIP_vector_typeIfLj2EEiiiiiiS1_IjLj3EES5_S5_ ; -- Begin function _ZL33flash_attn_stream_k_fixup_uniformILi96ELi16ELi2EEvPfPK15HIP_vector_typeIfLj2EEiiiiiiS1_IjLj3EES5_S5_
	.p2align	8
	.type	_ZL33flash_attn_stream_k_fixup_uniformILi96ELi16ELi2EEvPfPK15HIP_vector_typeIfLj2EEiiiiiiS1_IjLj3EES5_S5_,@function
_ZL33flash_attn_stream_k_fixup_uniformILi96ELi16ELi2EEvPfPK15HIP_vector_typeIfLj2EEiiiiiiS1_IjLj3EES5_S5_: ; @_ZL33flash_attn_stream_k_fixup_uniformILi96ELi16ELi2EEvPfPK15HIP_vector_typeIfLj2EEiiiiiiS1_IjLj3EES5_S5_
; %bb.0:
	s_load_dwordx8 s[12:19], s[4:5], 0x1c
	s_load_dwordx2 s[10:11], s[4:5], 0x10
	s_load_dwordx4 s[0:3], s[4:5], 0x3c
	s_waitcnt lgkmcnt(0)
	s_mul_hi_u32 s9, s15, s6
	s_add_i32 s9, s6, s9
	s_lshr_b32 s9, s9, s16
	s_mul_i32 s15, s9, s17
	s_sub_i32 s16, s6, s15
	s_mul_hi_u32 s15, s16, s18
	s_add_i32 s15, s16, s15
	s_lshr_b32 s15, s15, s19
	s_mul_i32 s0, s15, s0
	s_sub_i32 s0, s16, s0
	;; [unrolled: 5-line block ×3, first 2 shown]
	s_lshl_b32 s0, s16, 4
	s_lshl_b32 s17, s1, 1
	s_add_i32 s0, s0, s7
	s_cmp_lt_i32 s0, s10
	s_cselect_b64 s[0:1], -1, 0
	s_add_i32 s17, s17, s8
	s_cmp_lt_i32 s17, s13
	s_cselect_b64 s[2:3], -1, 0
	s_and_b64 s[0:1], s[0:1], s[2:3]
	s_andn2_b64 vcc, exec, s[0:1]
	s_cbranch_vccnz .LBB16_6
; %bb.1:
	s_load_dwordx4 s[0:3], s[4:5], 0x0
	s_mul_i32 s4, s9, s10
	s_mul_i32 s15, s15, s13
	s_add_i32 s4, s4, s7
	s_mul_i32 s4, s4, s11
	s_add_i32 s9, s17, s15
	;; [unrolled: 2-line block ×3, first 2 shown]
	s_mulk_i32 s5, 0x600
	s_mulk_i32 s4, 0x60
	s_add_i32 s4, s4, s5
	v_add_u32_e32 v2, s4, v0
	v_ashrrev_i32_e32 v3, 31, v2
	v_lshlrev_b64 v[2:3], 2, v[2:3]
	s_waitcnt lgkmcnt(0)
	v_mov_b32_e32 v1, s1
	v_add_co_u32_e32 v2, vcc, s0, v2
	v_addc_co_u32_e32 v3, vcc, v1, v3, vcc
	global_load_dword v8, v[2:3], off
	s_mul_i32 s9, s6, s14
	s_lshl_b32 s4, s7, 1
	s_add_i32 s11, s9, s14
	s_add_i32 s0, s4, s8
	s_lshl_b32 s1, s11, 5
	s_add_i32 s0, s0, s1
	s_sub_i32 s0, s0, 32
	s_ashr_i32 s1, s0, 31
	s_lshl_b64 s[0:1], s[0:1], 3
	s_add_u32 s0, s2, s0
	s_addc_u32 s1, s3, s1
	s_load_dword s5, s[0:1], 0x4
	s_add_i32 s10, s11, -2
	s_cmp_lt_i32 s10, s9
	s_cbranch_scc1 .LBB16_4
; %bb.2:
	s_lshl_b32 s16, s12, 7
	s_ashr_i32 s17, s16, 31
	s_lshl_b64 s[16:17], s[16:17], 2
	s_add_u32 s10, s2, s16
	s_addc_u32 s13, s3, s17
	s_add_i32 s6, s6, 1
	s_load_dword s0, s[0:1], 0x0
	s_mul_i32 s1, s14, s6
	s_lshl_b32 s6, s1, 5
	s_add_i32 s6, s8, s6
	s_lshl_b32 s12, s12, 5
	s_add_i32 s6, s6, s12
	s_add_i32 s6, s6, s4
	s_sub_i32 s4, s6, 64
	s_mulk_i32 s7, 0xc0
	s_mul_i32 s6, s8, 0x60
	s_mulk_i32 s1, 0xc00
	s_add_i32 s6, s6, s7
	s_add_i32 s6, s6, s1
	v_add_u32_e32 v0, s6, v0
	s_add_i32 s11, s11, -1
	v_add_u32_e32 v0, 0xffffe800, v0
	s_waitcnt lgkmcnt(0)
	v_mov_b32_e32 v7, s5
	v_mov_b32_e32 v6, s0
	;; [unrolled: 1-line block ×3, first 2 shown]
	s_mov_b32 s6, 0x3fb8aa3b
	s_mov_b32 s7, 0xc2ce8ed0
	;; [unrolled: 1-line block ×3, first 2 shown]
	v_mov_b32_e32 v5, 0x7f800000
	s_mov_b32 s12, 0xc1a00000
.LBB16_3:                               ; =>This Inner Loop Header: Depth=1
	v_ashrrev_i32_e32 v1, 31, v0
	v_lshlrev_b64 v[10:11], 2, v[0:1]
	v_add_co_u32_e32 v10, vcc, s10, v10
	v_addc_co_u32_e32 v11, vcc, v4, v11, vcc
	global_load_dword v1, v[10:11], off
	s_ashr_i32 s5, s4, 31
	s_lshl_b64 s[0:1], s[4:5], 3
	s_add_u32 s0, s2, s0
	s_addc_u32 s1, s3, s1
	s_load_dwordx2 s[14:15], s[0:1], 0x0
	s_waitcnt vmcnt(1)
	v_mov_b32_e32 v9, v8
	v_max_f32_e32 v8, v6, v6
	v_mov_b32_e32 v10, v7
	s_add_i32 s11, s11, -1
	s_waitcnt lgkmcnt(0)
	v_max_f32_e64 v7, s14, s14
	v_max_f32_e32 v7, v8, v7
	v_sub_f32_e32 v11, s14, v7
	v_sub_f32_e32 v8, v6, v7
	v_mul_f32_e32 v12, 0x3fb8aa3b, v11
	v_mov_b32_e32 v6, v7
	v_mul_f32_e32 v7, 0x3fb8aa3b, v8
	v_fma_f32 v15, v11, s6, -v12
	v_rndne_f32_e32 v16, v12
	v_fma_f32 v13, v8, s6, -v7
	v_rndne_f32_e32 v14, v7
	v_fmac_f32_e32 v15, 0x32a5705f, v11
	v_sub_f32_e32 v12, v12, v16
	v_fmac_f32_e32 v13, 0x32a5705f, v8
	v_sub_f32_e32 v7, v7, v14
	v_add_f32_e32 v12, v12, v15
	v_cvt_i32_f32_e32 v16, v16
	v_add_f32_e32 v7, v7, v13
	v_exp_f32_e32 v12, v12
	v_cvt_i32_f32_e32 v14, v14
	v_exp_f32_e32 v7, v7
	v_cmp_ngt_f32_e32 vcc, s7, v11
	v_ldexp_f32 v12, v12, v16
	v_cmp_ngt_f32_e64 s[0:1], s7, v8
	v_ldexp_f32 v7, v7, v14
	v_cndmask_b32_e32 v12, 0, v12, vcc
	v_cmp_nlt_f32_e32 vcc, s8, v11
	v_cndmask_b32_e64 v7, 0, v7, s[0:1]
	v_cmp_nlt_f32_e64 s[0:1], s8, v8
	v_cndmask_b32_e32 v12, v5, v12, vcc
	v_cmp_le_f32_e32 vcc, s12, v11
	v_cndmask_b32_e64 v7, v5, v7, s[0:1]
	v_cmp_le_f32_e64 s[0:1], s12, v8
	v_cndmask_b32_e32 v8, 0, v12, vcc
	s_sub_i32 s4, s4, 32
	v_cndmask_b32_e64 v11, 0, v7, s[0:1]
	v_mul_f32_e32 v7, s15, v8
	v_add_u32_e32 v0, 0xfffff400, v0
	s_cmp_le_i32 s11, s9
	v_fmac_f32_e32 v7, v10, v11
	s_waitcnt vmcnt(0)
	v_mul_f32_e32 v8, v1, v8
	v_fmac_f32_e32 v8, v9, v11
	s_cbranch_scc0 .LBB16_3
	s_branch .LBB16_5
.LBB16_4:
	s_waitcnt lgkmcnt(0)
	v_mov_b32_e32 v7, s5
.LBB16_5:
	s_waitcnt vmcnt(0)
	v_div_scale_f32 v0, s[0:1], v7, v7, v8
	v_rcp_f32_e32 v1, v0
	v_div_scale_f32 v4, vcc, v8, v7, v8
	v_fma_f32 v5, -v0, v1, 1.0
	v_fmac_f32_e32 v1, v5, v1
	v_mul_f32_e32 v5, v4, v1
	v_fma_f32 v6, -v0, v5, v4
	v_fmac_f32_e32 v5, v6, v1
	v_fma_f32 v0, -v0, v5, v4
	v_div_fmas_f32 v0, v0, v1, v5
	v_div_fixup_f32 v0, v0, v7, v8
	global_store_dword v[2:3], v0, off
.LBB16_6:
	s_endpgm
	.section	.rodata,"a",@progbits
	.p2align	6, 0x0
	.amdhsa_kernel _ZL33flash_attn_stream_k_fixup_uniformILi96ELi16ELi2EEvPfPK15HIP_vector_typeIfLj2EEiiiiiiS1_IjLj3EES5_S5_
		.amdhsa_group_segment_fixed_size 0
		.amdhsa_private_segment_fixed_size 0
		.amdhsa_kernarg_size 76
		.amdhsa_user_sgpr_count 6
		.amdhsa_user_sgpr_private_segment_buffer 1
		.amdhsa_user_sgpr_dispatch_ptr 0
		.amdhsa_user_sgpr_queue_ptr 0
		.amdhsa_user_sgpr_kernarg_segment_ptr 1
		.amdhsa_user_sgpr_dispatch_id 0
		.amdhsa_user_sgpr_flat_scratch_init 0
		.amdhsa_user_sgpr_kernarg_preload_length 0
		.amdhsa_user_sgpr_kernarg_preload_offset 0
		.amdhsa_user_sgpr_private_segment_size 0
		.amdhsa_uses_dynamic_stack 0
		.amdhsa_system_sgpr_private_segment_wavefront_offset 0
		.amdhsa_system_sgpr_workgroup_id_x 1
		.amdhsa_system_sgpr_workgroup_id_y 1
		.amdhsa_system_sgpr_workgroup_id_z 1
		.amdhsa_system_sgpr_workgroup_info 0
		.amdhsa_system_vgpr_workitem_id 0
		.amdhsa_next_free_vgpr 17
		.amdhsa_next_free_sgpr 20
		.amdhsa_accum_offset 20
		.amdhsa_reserve_vcc 1
		.amdhsa_reserve_flat_scratch 0
		.amdhsa_float_round_mode_32 0
		.amdhsa_float_round_mode_16_64 0
		.amdhsa_float_denorm_mode_32 3
		.amdhsa_float_denorm_mode_16_64 3
		.amdhsa_dx10_clamp 1
		.amdhsa_ieee_mode 1
		.amdhsa_fp16_overflow 0
		.amdhsa_tg_split 0
		.amdhsa_exception_fp_ieee_invalid_op 0
		.amdhsa_exception_fp_denorm_src 0
		.amdhsa_exception_fp_ieee_div_zero 0
		.amdhsa_exception_fp_ieee_overflow 0
		.amdhsa_exception_fp_ieee_underflow 0
		.amdhsa_exception_fp_ieee_inexact 0
		.amdhsa_exception_int_div_zero 0
	.end_amdhsa_kernel
	.section	.text._ZL33flash_attn_stream_k_fixup_uniformILi96ELi16ELi2EEvPfPK15HIP_vector_typeIfLj2EEiiiiiiS1_IjLj3EES5_S5_,"axG",@progbits,_ZL33flash_attn_stream_k_fixup_uniformILi96ELi16ELi2EEvPfPK15HIP_vector_typeIfLj2EEiiiiiiS1_IjLj3EES5_S5_,comdat
.Lfunc_end16:
	.size	_ZL33flash_attn_stream_k_fixup_uniformILi96ELi16ELi2EEvPfPK15HIP_vector_typeIfLj2EEiiiiiiS1_IjLj3EES5_S5_, .Lfunc_end16-_ZL33flash_attn_stream_k_fixup_uniformILi96ELi16ELi2EEvPfPK15HIP_vector_typeIfLj2EEiiiiiiS1_IjLj3EES5_S5_
                                        ; -- End function
	.section	.AMDGPU.csdata,"",@progbits
; Kernel info:
; codeLenInByte = 856
; NumSgprs: 24
; NumVgprs: 17
; NumAgprs: 0
; TotalNumVgprs: 17
; ScratchSize: 0
; MemoryBound: 0
; FloatMode: 240
; IeeeMode: 1
; LDSByteSize: 0 bytes/workgroup (compile time only)
; SGPRBlocks: 2
; VGPRBlocks: 2
; NumSGPRsForWavesPerEU: 24
; NumVGPRsForWavesPerEU: 17
; AccumOffset: 20
; Occupancy: 8
; WaveLimiterHint : 0
; COMPUTE_PGM_RSRC2:SCRATCH_EN: 0
; COMPUTE_PGM_RSRC2:USER_SGPR: 6
; COMPUTE_PGM_RSRC2:TRAP_HANDLER: 0
; COMPUTE_PGM_RSRC2:TGID_X_EN: 1
; COMPUTE_PGM_RSRC2:TGID_Y_EN: 1
; COMPUTE_PGM_RSRC2:TGID_Z_EN: 1
; COMPUTE_PGM_RSRC2:TIDIG_COMP_CNT: 0
; COMPUTE_PGM_RSRC3_GFX90A:ACCUM_OFFSET: 4
; COMPUTE_PGM_RSRC3_GFX90A:TG_SPLIT: 0
	.section	.text._ZL33flash_attn_stream_k_fixup_generalILi96ELi16ELi2EEvPfPK15HIP_vector_typeIfLj2EEiiiiS1_IjLj3EES5_S5_S5_,"axG",@progbits,_ZL33flash_attn_stream_k_fixup_generalILi96ELi16ELi2EEvPfPK15HIP_vector_typeIfLj2EEiiiiS1_IjLj3EES5_S5_S5_,comdat
	.globl	_ZL33flash_attn_stream_k_fixup_generalILi96ELi16ELi2EEvPfPK15HIP_vector_typeIfLj2EEiiiiS1_IjLj3EES5_S5_S5_ ; -- Begin function _ZL33flash_attn_stream_k_fixup_generalILi96ELi16ELi2EEvPfPK15HIP_vector_typeIfLj2EEiiiiS1_IjLj3EES5_S5_S5_
	.p2align	8
	.type	_ZL33flash_attn_stream_k_fixup_generalILi96ELi16ELi2EEvPfPK15HIP_vector_typeIfLj2EEiiiiS1_IjLj3EES5_S5_S5_,@function
_ZL33flash_attn_stream_k_fixup_generalILi96ELi16ELi2EEvPfPK15HIP_vector_typeIfLj2EEiiiiS1_IjLj3EES5_S5_S5_: ; @_ZL33flash_attn_stream_k_fixup_generalILi96ELi16ELi2EEvPfPK15HIP_vector_typeIfLj2EEiiiiS1_IjLj3EES5_S5_S5_
; %bb.0:
	s_load_dwordx4 s[12:15], s[4:5], 0x10
	s_load_dword s9, s[4:5], 0x50
	s_mov_b32 s2, 0
	s_waitcnt lgkmcnt(0)
	s_mul_hi_i32 s3, s15, s6
	s_cmp_lg_u64 s[2:3], 0
	s_mul_i32 s2, s15, s6
	s_cbranch_scc0 .LBB17_21
; %bb.1:
	v_cvt_f32_u32_e32 v1, s9
	v_cvt_f32_ubyte0_e32 v2, 0
	s_sub_u32 s10, 0, s9
	s_subb_u32 s11, 0, 0
	v_madmk_f32 v1, v2, 0x4f800000, v1
	v_rcp_f32_e32 v1, v1
	v_mul_f32_e32 v1, 0x5f7ffffc, v1
	v_mul_f32_e32 v2, 0x2f800000, v1
	v_trunc_f32_e32 v2, v2
	v_madmk_f32 v1, v2, 0xcf800000, v1
	v_cvt_u32_f32_e32 v2, v2
	v_cvt_u32_f32_e32 v1, v1
	v_readfirstlane_b32 s16, v2
	v_readfirstlane_b32 s17, v1
	s_mul_i32 s18, s10, s16
	s_mul_hi_u32 s20, s10, s17
	s_mul_i32 s19, s11, s17
	s_add_i32 s18, s20, s18
	s_add_i32 s18, s18, s19
	s_mul_i32 s21, s10, s17
	s_mul_hi_u32 s19, s17, s18
	s_mul_i32 s20, s17, s18
	s_mul_hi_u32 s17, s17, s21
	s_add_u32 s17, s17, s20
	s_addc_u32 s19, 0, s19
	s_mul_hi_u32 s22, s16, s21
	s_mul_i32 s21, s16, s21
	s_add_u32 s17, s17, s21
	s_mul_hi_u32 s20, s16, s18
	s_addc_u32 s17, s19, s22
	s_addc_u32 s19, s20, 0
	s_mul_i32 s18, s16, s18
	s_add_u32 s17, s17, s18
	s_addc_u32 s18, 0, s19
	v_add_co_u32_e32 v1, vcc, s17, v1
	s_cmp_lg_u64 vcc, 0
	s_addc_u32 s16, s16, s18
	v_readfirstlane_b32 s18, v1
	s_mul_i32 s17, s10, s16
	s_mul_hi_u32 s19, s10, s18
	s_add_i32 s17, s19, s17
	s_mul_i32 s11, s11, s18
	s_add_i32 s17, s17, s11
	s_mul_i32 s10, s10, s18
	s_mul_hi_u32 s19, s16, s10
	s_mul_i32 s20, s16, s10
	s_mul_i32 s22, s18, s17
	s_mul_hi_u32 s10, s18, s10
	s_mul_hi_u32 s21, s18, s17
	s_add_u32 s10, s10, s22
	s_addc_u32 s18, 0, s21
	s_add_u32 s10, s10, s20
	s_mul_hi_u32 s11, s16, s17
	s_addc_u32 s10, s18, s19
	s_addc_u32 s11, s11, 0
	s_mul_i32 s17, s16, s17
	s_add_u32 s10, s10, s17
	s_addc_u32 s11, 0, s11
	v_add_co_u32_e32 v1, vcc, s10, v1
	s_cmp_lg_u64 vcc, 0
	s_addc_u32 s18, s16, s11
	s_ashr_i32 s10, s3, 31
	s_add_u32 s16, s2, s10
	s_mov_b32 s11, s10
	s_addc_u32 s17, s3, s10
	s_xor_b64 s[16:17], s[16:17], s[10:11]
	v_readfirstlane_b32 s20, v1
	s_mul_i32 s19, s16, s18
	s_mul_hi_u32 s21, s16, s20
	s_mul_hi_u32 s3, s16, s18
	s_add_u32 s19, s21, s19
	s_addc_u32 s3, 0, s3
	s_mul_hi_u32 s22, s17, s20
	s_mul_i32 s20, s17, s20
	s_add_u32 s19, s19, s20
	s_mul_hi_u32 s21, s17, s18
	s_addc_u32 s3, s3, s22
	s_addc_u32 s19, s21, 0
	s_mul_i32 s18, s17, s18
	s_add_u32 s3, s3, s18
	s_addc_u32 s18, 0, s19
	s_add_u32 s19, s3, 1
	s_addc_u32 s20, s18, 0
	s_add_u32 s21, s3, 2
	s_mul_i32 s23, s9, s18
	s_mul_hi_u32 s24, s9, s3
	s_addc_u32 s22, s18, 0
	s_add_i32 s24, s24, s23
	s_mul_i32 s23, s9, s3
	v_mov_b32_e32 v1, s23
	v_sub_co_u32_e32 v1, vcc, s16, v1
	s_cmp_lg_u64 vcc, 0
	s_subb_u32 s16, s17, s24
	v_subrev_co_u32_e32 v2, vcc, s9, v1
	s_cmp_lg_u64 vcc, 0
	s_subb_u32 s17, s16, 0
	v_readfirstlane_b32 s23, v2
	s_cmp_ge_u32 s23, s9
	s_cselect_b32 s23, -1, 0
	s_cmp_eq_u32 s17, 0
	s_cselect_b32 s17, s23, -1
	s_cmp_lg_u32 s17, 0
	s_cselect_b32 s17, s22, s20
	v_readfirstlane_b32 s20, v1
	s_cselect_b32 s19, s21, s19
	s_cmp_ge_u32 s20, s9
	s_cselect_b32 s20, -1, 0
	s_cmp_eq_u32 s16, 0
	s_cselect_b32 s16, s20, -1
	s_cmp_lg_u32 s16, 0
	s_cselect_b32 s17, s17, s18
	s_cselect_b32 s16, s19, s3
	s_xor_b64 s[16:17], s[16:17], s[10:11]
	s_sub_u32 s20, s16, s10
	s_load_dwordx4 s[16:19], s[4:5], 0x44
	s_cbranch_execnz .LBB17_3
.LBB17_2:
	v_cvt_f32_u32_e32 v1, s9
	s_sub_i32 s0, 0, s9
	v_rcp_iflag_f32_e32 v1, v1
	v_mul_f32_e32 v1, 0x4f7ffffe, v1
	v_cvt_u32_f32_e32 v1, v1
	v_readfirstlane_b32 s1, v1
	s_mul_i32 s0, s0, s1
	s_mul_hi_u32 s0, s1, s0
	s_add_i32 s1, s1, s0
	s_mul_hi_u32 s0, s2, s1
	s_mul_i32 s3, s0, s9
	s_sub_i32 s2, s2, s3
	s_add_i32 s1, s0, 1
	s_sub_i32 s3, s2, s9
	s_cmp_ge_u32 s2, s9
	s_cselect_b32 s0, s1, s0
	s_cselect_b32 s2, s3, s2
	s_add_i32 s1, s0, 1
	s_cmp_ge_u32 s2, s9
	s_cselect_b32 s20, s1, s0
.LBB17_3:
	s_add_i32 s0, s6, 1
	s_mul_hi_i32 s3, s15, s0
	s_mov_b32 s2, 0
	s_cmp_lg_u64 s[2:3], 0
	s_mul_i32 s2, s15, s0
	s_cbranch_scc0 .LBB17_22
; %bb.4:
	v_cvt_f32_u32_e32 v1, s9
	v_cvt_f32_ubyte0_e32 v2, 0
	s_sub_u32 s10, 0, s9
	s_subb_u32 s11, 0, 0
	v_madmk_f32 v1, v2, 0x4f800000, v1
	v_rcp_f32_e32 v1, v1
	v_mul_f32_e32 v1, 0x5f7ffffc, v1
	v_mul_f32_e32 v2, 0x2f800000, v1
	v_trunc_f32_e32 v2, v2
	v_madmk_f32 v1, v2, 0xcf800000, v1
	v_cvt_u32_f32_e32 v2, v2
	v_cvt_u32_f32_e32 v1, v1
	s_waitcnt lgkmcnt(0)
	v_readfirstlane_b32 s19, v2
	v_readfirstlane_b32 s21, v1
	s_mul_i32 s22, s10, s19
	s_mul_hi_u32 s24, s10, s21
	s_mul_i32 s23, s11, s21
	s_add_i32 s22, s24, s22
	s_add_i32 s22, s22, s23
	s_mul_i32 s25, s10, s21
	s_mul_hi_u32 s23, s21, s22
	s_mul_i32 s24, s21, s22
	s_mul_hi_u32 s21, s21, s25
	s_add_u32 s21, s21, s24
	s_addc_u32 s23, 0, s23
	s_mul_hi_u32 s26, s19, s25
	s_mul_i32 s25, s19, s25
	s_add_u32 s21, s21, s25
	s_mul_hi_u32 s24, s19, s22
	s_addc_u32 s21, s23, s26
	s_addc_u32 s23, s24, 0
	s_mul_i32 s22, s19, s22
	s_add_u32 s21, s21, s22
	s_addc_u32 s22, 0, s23
	v_add_co_u32_e32 v1, vcc, s21, v1
	s_cmp_lg_u64 vcc, 0
	s_addc_u32 s19, s19, s22
	v_readfirstlane_b32 s22, v1
	s_mul_i32 s21, s10, s19
	s_mul_hi_u32 s23, s10, s22
	s_add_i32 s21, s23, s21
	s_mul_i32 s11, s11, s22
	s_add_i32 s21, s21, s11
	s_mul_i32 s10, s10, s22
	s_mul_hi_u32 s23, s19, s10
	s_mul_i32 s24, s19, s10
	s_mul_i32 s26, s22, s21
	s_mul_hi_u32 s10, s22, s10
	s_mul_hi_u32 s25, s22, s21
	s_add_u32 s10, s10, s26
	s_addc_u32 s22, 0, s25
	s_add_u32 s10, s10, s24
	s_mul_hi_u32 s11, s19, s21
	s_addc_u32 s10, s22, s23
	s_addc_u32 s11, s11, 0
	s_mul_i32 s21, s19, s21
	s_add_u32 s10, s10, s21
	s_addc_u32 s11, 0, s11
	v_add_co_u32_e32 v1, vcc, s10, v1
	s_cmp_lg_u64 vcc, 0
	s_addc_u32 s19, s19, s11
	s_ashr_i32 s10, s3, 31
	s_add_u32 s22, s2, s10
	s_mov_b32 s11, s10
	s_addc_u32 s23, s3, s10
	s_xor_b64 s[22:23], s[22:23], s[10:11]
	v_readfirstlane_b32 s21, v1
	s_mul_i32 s11, s22, s19
	s_mul_hi_u32 s24, s22, s21
	s_mul_hi_u32 s3, s22, s19
	s_add_u32 s11, s24, s11
	s_addc_u32 s3, 0, s3
	s_mul_hi_u32 s25, s23, s21
	s_mul_i32 s21, s23, s21
	s_add_u32 s11, s11, s21
	s_mul_hi_u32 s24, s23, s19
	s_addc_u32 s3, s3, s25
	s_addc_u32 s11, s24, 0
	s_mul_i32 s19, s23, s19
	s_add_u32 s3, s3, s19
	s_addc_u32 s11, 0, s11
	s_mul_i32 s11, s9, s11
	s_mul_hi_u32 s24, s9, s3
	s_add_i32 s24, s24, s11
	s_mul_i32 s11, s9, s3
	v_mov_b32_e32 v1, s11
	s_add_u32 s19, s3, 1
	s_add_u32 s21, s3, 2
	v_sub_co_u32_e32 v1, vcc, s22, v1
	s_cmp_lg_u64 vcc, 0
	s_subb_u32 s11, s23, s24
	v_subrev_co_u32_e32 v2, vcc, s9, v1
	s_cmp_lg_u64 vcc, 0
	s_subb_u32 s22, s11, 0
	v_cmp_le_u32_e32 vcc, s9, v2
	s_cmp_eq_u32 s22, 0
	v_cndmask_b32_e64 v2, 0, -1, vcc
	s_cselect_b64 vcc, -1, 0
	v_cndmask_b32_e32 v2, -1, v2, vcc
	v_mov_b32_e32 v3, s19
	v_mov_b32_e32 v4, s21
	v_cmp_ne_u32_e32 vcc, 0, v2
	v_cndmask_b32_e32 v2, v3, v4, vcc
	v_cmp_le_u32_e32 vcc, s9, v1
	s_cmp_eq_u32 s11, 0
	v_cndmask_b32_e64 v1, 0, -1, vcc
	s_cselect_b64 vcc, -1, 0
	v_cndmask_b32_e32 v1, -1, v1, vcc
	v_mov_b32_e32 v3, s3
	v_cmp_ne_u32_e32 vcc, 0, v1
	v_cndmask_b32_e32 v1, v3, v2, vcc
	v_xor_b32_e32 v1, s10, v1
	v_subrev_co_u32_e32 v2, vcc, s10, v1
	s_cbranch_execnz .LBB17_6
.LBB17_5:
	v_cvt_f32_u32_e32 v1, s9
	s_sub_i32 s0, 0, s9
	s_mov_b32 s1, 0
	v_rcp_iflag_f32_e32 v1, v1
	v_mul_f32_e32 v1, 0x4f7ffffe, v1
	v_cvt_u32_f32_e32 v1, v1
	v_readfirstlane_b32 s3, v1
	s_mul_i32 s0, s0, s3
	s_mul_hi_u32 s0, s3, s0
	s_add_i32 s3, s3, s0
	s_mul_hi_u32 s0, s2, s3
	s_mul_i32 s10, s0, s9
	s_sub_i32 s2, s2, s10
	s_add_i32 s3, s0, 1
	s_sub_i32 s10, s2, s9
	s_cmp_ge_u32 s2, s9
	s_cselect_b32 s0, s3, s0
	s_cselect_b32 s2, s10, s2
	s_add_i32 s3, s0, 1
	s_cmp_ge_u32 s2, s9
	s_cselect_b32 s0, s3, s0
	v_pk_mov_b32 v[2:3], s[0:1], s[0:1] op_sel:[0,1]
.LBB17_6:
	s_waitcnt lgkmcnt(0)
	s_mul_hi_u32 s0, s20, s16
	s_add_i32 s0, s0, s20
	v_mul_hi_u32 v1, v2, s16
	s_lshr_b32 s19, s0, s17
	v_add_u32_e32 v1, v1, v2
	s_mul_i32 s0, s19, s18
	v_lshrrev_b32_e32 v1, s17, v1
	s_cmp_eq_u32 s0, s20
	v_cmp_eq_u32_e64 s[0:1], s19, v1
	v_mul_lo_u32 v1, v1, s18
	v_cmp_eq_u32_e32 vcc, s20, v2
	s_cselect_b64 s[10:11], -1, 0
	v_cmp_ne_u32_e64 s[2:3], v1, v2
	s_and_b64 s[0:1], s[0:1], s[2:3]
	s_or_b64 s[2:3], vcc, s[10:11]
	s_or_b64 s[0:1], s[2:3], s[0:1]
	s_and_b64 vcc, exec, s[0:1]
	s_cbranch_vccnz .LBB17_24
; %bb.7:
	s_load_dwordx8 s[24:31], s[4:5], 0x20
	s_load_dword s0, s[4:5], 0x40
	s_mov_b32 s10, 0
	s_waitcnt lgkmcnt(0)
	s_mul_hi_u32 s1, s20, s24
	s_add_i32 s1, s1, s20
	s_lshr_b32 s11, s1, s25
	s_mul_i32 s1, s11, s26
	s_sub_i32 s1, s20, s1
	s_mul_hi_u32 s2, s1, s27
	s_add_i32 s2, s1, s2
	s_lshr_b32 s23, s2, s28
	s_mul_i32 s2, s23, s29
	s_sub_i32 s1, s1, s2
	;; [unrolled: 5-line block ×3, first 2 shown]
	s_mul_hi_u32 s1, s0, s16
	s_add_i32 s0, s0, s1
	s_lshr_b32 s24, s0, s17
	s_lshl_b32 s0, s24, 4
	s_lshl_b32 s25, s2, 1
	s_add_i32 s0, s0, s7
	s_cmp_lt_i32 s0, s12
	s_cselect_b64 s[0:1], -1, 0
	s_add_i32 s25, s25, s8
	s_cmp_lt_i32 s25, s14
	s_cselect_b64 s[2:3], -1, 0
	s_and_b64 s[0:1], s[0:1], s[2:3]
	s_andn2_b64 vcc, exec, s[0:1]
	s_cbranch_vccnz .LBB17_24
; %bb.8:
	s_load_dwordx4 s[0:3], s[4:5], 0x0
	s_lshl_b32 s4, s7, 1
	s_add_i32 s8, s4, s8
	s_lshl_b32 s4, s9, 7
	s_mov_b32 s5, s10
	s_lshl_b64 s[4:5], s[4:5], 2
	s_waitcnt lgkmcnt(0)
	s_add_u32 s21, s2, s4
	s_mul_i32 s4, s11, s12
	s_addc_u32 s22, s3, s5
	s_mul_i32 s23, s23, s14
	s_add_i32 s4, s4, s7
	s_mul_i32 s4, s4, s13
	s_add_i32 s7, s25, s23
	;; [unrolled: 2-line block ×3, first 2 shown]
	s_mulk_i32 s5, 0x600
	s_mulk_i32 s4, 0x60
	s_add_i32 s5, s5, s4
	v_add_u32_e32 v2, s5, v0
	v_ashrrev_i32_e32 v3, 31, v2
	v_lshlrev_b64 v[2:3], 2, v[2:3]
	v_mov_b32_e32 v1, s1
	v_add_co_u32_e32 v2, vcc, s0, v2
	v_addc_co_u32_e32 v3, vcc, v1, v3, vcc
	global_load_dword v5, v[2:3], off
	s_mul_i32 s4, s8, 0x60
	v_add_u32_e32 v4, s4, v0
	v_cvt_f32_u32_e32 v0, s9
	v_cvt_f32_ubyte0_e32 v1, 0
	s_lshl_b32 s0, s6, 5
	s_add_i32 s0, s8, s0
	v_mac_f32_e32 v0, 0x4f800000, v1
	v_rcp_f32_e32 v0, v0
	v_cvt_f32_u32_e32 v1, s9
	s_ashr_i32 s1, s0, 31
	s_lshl_b64 s[0:1], s[0:1], 3
	v_mul_f32_e32 v0, 0x5f7ffffc, v0
	v_rcp_iflag_f32_e32 v1, v1
	s_add_u32 s0, s2, s0
	v_mul_f32_e32 v9, 0x2f800000, v0
	s_addc_u32 s1, s3, s1
	v_trunc_f32_e32 v10, v9
	s_load_dwordx2 s[0:1], s[0:1], 0x0
	v_mac_f32_e32 v0, 0xcf800000, v10
	v_cvt_u32_f32_e32 v9, v0
	v_mul_f32_e32 v0, 0x4f7ffffe, v1
	v_cvt_u32_f32_e32 v10, v10
	v_cvt_u32_f32_e32 v11, v0
	s_add_i32 s12, s6, -1
	s_waitcnt lgkmcnt(0)
	v_mov_b32_e32 v6, s1
	v_mov_b32_e32 v7, s0
	;; [unrolled: 1-line block ×3, first 2 shown]
	s_mov_b32 s6, 0x3fb8aa3b
	s_mov_b32 s7, 0xc2ce8ed0
	;; [unrolled: 1-line block ×4, first 2 shown]
	v_mov_b32_e32 v12, 0x7f800000
	s_mul_hi_i32 s11, s12, s15
	s_cmp_lg_u64 s[10:11], 0
	s_mul_i32 s4, s12, s15
	s_cbranch_scc0 .LBB17_15
.LBB17_9:
	s_sub_u32 s0, 0, s9
	v_readfirstlane_b32 s5, v9
	v_readfirstlane_b32 s24, v10
	s_subb_u32 s1, 0, 0
	s_mul_hi_u32 s23, s0, s5
	s_mul_i32 s25, s0, s24
	s_mul_i32 s20, s1, s5
	s_add_i32 s23, s23, s25
	s_add_i32 s23, s23, s20
	s_mul_i32 s26, s0, s5
	s_mul_hi_u32 s20, s5, s23
	s_mul_i32 s25, s5, s23
	s_mul_hi_u32 s5, s5, s26
	s_add_u32 s5, s5, s25
	s_addc_u32 s20, 0, s20
	s_mul_hi_u32 s27, s24, s26
	s_mul_i32 s26, s24, s26
	s_add_u32 s5, s5, s26
	s_mul_hi_u32 s25, s24, s23
	s_addc_u32 s5, s20, s27
	s_addc_u32 s20, s25, 0
	s_mul_i32 s23, s24, s23
	s_add_u32 s5, s5, s23
	s_addc_u32 s20, 0, s20
	v_add_co_u32_e32 v0, vcc, s5, v9
	s_cmp_lg_u64 vcc, 0
	s_addc_u32 s5, s24, s20
	v_readfirstlane_b32 s23, v0
	s_mul_i32 s20, s0, s5
	s_mul_hi_u32 s24, s0, s23
	s_add_i32 s20, s24, s20
	s_mul_i32 s1, s1, s23
	s_add_i32 s20, s20, s1
	s_mul_i32 s0, s0, s23
	s_mul_hi_u32 s24, s5, s0
	s_mul_i32 s25, s5, s0
	s_mul_i32 s27, s23, s20
	s_mul_hi_u32 s0, s23, s0
	s_mul_hi_u32 s26, s23, s20
	s_add_u32 s0, s0, s27
	s_addc_u32 s23, 0, s26
	s_add_u32 s0, s0, s25
	s_mul_hi_u32 s1, s5, s20
	s_addc_u32 s0, s23, s24
	s_addc_u32 s1, s1, 0
	s_mul_i32 s20, s5, s20
	s_add_u32 s0, s0, s20
	s_addc_u32 s1, 0, s1
	v_add_co_u32_e32 v0, vcc, s0, v0
	s_cmp_lg_u64 vcc, 0
	s_addc_u32 s5, s5, s1
	s_ashr_i32 s0, s11, 31
	s_add_u32 s24, s4, s0
	s_mov_b32 s1, s0
	s_addc_u32 s25, s11, s0
	s_xor_b64 s[24:25], s[24:25], s[0:1]
	v_readfirstlane_b32 s20, v0
	s_mul_i32 s11, s24, s5
	s_mul_hi_u32 s23, s24, s20
	s_mul_hi_u32 s1, s24, s5
	s_add_u32 s11, s23, s11
	s_addc_u32 s1, 0, s1
	s_mul_hi_u32 s26, s25, s20
	s_mul_i32 s20, s25, s20
	s_add_u32 s11, s11, s20
	s_mul_hi_u32 s23, s25, s5
	s_addc_u32 s1, s1, s26
	s_addc_u32 s11, s23, 0
	s_mul_i32 s5, s25, s5
	s_add_u32 s1, s1, s5
	s_addc_u32 s5, 0, s11
	s_mul_i32 s5, s9, s5
	s_mul_hi_u32 s23, s9, s1
	s_add_i32 s23, s23, s5
	s_mul_i32 s5, s9, s1
	v_mov_b32_e32 v0, s5
	s_add_u32 s11, s1, 1
	s_add_u32 s20, s1, 2
	v_sub_co_u32_e32 v0, vcc, s24, v0
	s_cmp_lg_u64 vcc, 0
	s_subb_u32 s5, s25, s23
	v_subrev_co_u32_e32 v1, vcc, s9, v0
	s_cmp_lg_u64 vcc, 0
	s_subb_u32 s23, s5, 0
	v_cmp_le_u32_e32 vcc, s9, v1
	s_cmp_eq_u32 s23, 0
	v_cndmask_b32_e64 v1, 0, -1, vcc
	s_cselect_b64 vcc, -1, 0
	v_cndmask_b32_e32 v1, -1, v1, vcc
	v_mov_b32_e32 v13, s11
	v_mov_b32_e32 v14, s20
	v_cmp_ne_u32_e32 vcc, 0, v1
	v_cndmask_b32_e32 v1, v13, v14, vcc
	v_cmp_le_u32_e32 vcc, s9, v0
	s_cmp_eq_u32 s5, 0
	v_cndmask_b32_e64 v0, 0, -1, vcc
	s_cselect_b64 vcc, -1, 0
	v_cndmask_b32_e32 v0, -1, v0, vcc
	v_mov_b32_e32 v13, s1
	v_cmp_ne_u32_e32 vcc, 0, v0
	v_cndmask_b32_e32 v0, v13, v1, vcc
	v_xor_b32_e32 v0, s0, v0
	v_subrev_co_u32_e32 v0, vcc, s0, v0
	s_cbranch_execnz .LBB17_11
.LBB17_10:
	s_sub_i32 s0, 0, s9
	v_mul_lo_u32 v0, s0, v11
	v_mul_hi_u32 v0, v11, v0
	v_add_u32_e32 v0, v11, v0
	v_mul_hi_u32 v0, s4, v0
	v_mul_lo_u32 v13, v0, s9
	v_sub_u32_e32 v13, s4, v13
	v_add_u32_e32 v1, 1, v0
	v_subrev_u32_e32 v14, s9, v13
	v_cmp_le_u32_e32 vcc, s9, v13
	v_cndmask_b32_e32 v13, v13, v14, vcc
	v_cndmask_b32_e32 v0, v0, v1, vcc
	v_add_u32_e32 v1, 1, v0
	v_cmp_le_u32_e32 vcc, s9, v13
	v_cndmask_b32_e32 v0, v0, v1, vcc
.LBB17_11:
	v_cmp_ne_u32_e32 vcc, v8, v0
	s_cbranch_vccz .LBB17_14
; %bb.12:
	s_add_i32 s0, s12, s9
	s_lshl_b32 s0, s0, 5
	v_mul_hi_u32 v1, v0, s16
	s_add_i32 s0, s0, s8
	s_mov_b32 s1, s10
	v_add_u32_e32 v1, v1, v0
	s_lshl_b64 s[0:1], s[0:1], 3
	v_lshrrev_b32_e32 v1, s17, v1
	s_add_u32 s4, s2, s0
	v_mul_lo_u32 v13, v1, s18
	s_addc_u32 s5, s3, s1
	v_cmp_eq_u32_e32 vcc, v13, v0
	v_cmp_gt_u32_e64 s[0:1], s19, v1
	s_or_b64 s[0:1], s[0:1], vcc
	s_and_b64 vcc, exec, s[0:1]
	s_cbranch_vccnz .LBB17_16
; %bb.13:
	s_add_i32 s11, s12, -1
	s_mov_b64 s[0:1], 0
	s_branch .LBB17_17
.LBB17_14:
                                        ; implicit-def: $sgpr0_sgpr1
                                        ; implicit-def: $vgpr14
                                        ; implicit-def: $vgpr1
                                        ; implicit-def: $vgpr13
                                        ; implicit-def: $sgpr11
                                        ; implicit-def: $vgpr0
	s_branch .LBB17_18
.LBB17_15:
                                        ; implicit-def: $vgpr0_vgpr1
	s_branch .LBB17_10
.LBB17_16:
	s_mov_b64 s[0:1], -1
	s_mov_b32 s11, s12
	v_mov_b32_e32 v0, v8
.LBB17_17:
	s_mul_i32 s20, s12, 0xc00
	v_add_u32_e32 v14, s20, v4
	v_ashrrev_i32_e32 v15, 31, v14
	v_lshlrev_b64 v[14:15], 2, v[14:15]
	v_mov_b32_e32 v1, s22
	v_add_co_u32_e32 v14, vcc, s21, v14
	v_addc_co_u32_e32 v15, vcc, v1, v15, vcc
	global_load_dword v14, v[14:15], off
	s_load_dwordx2 s[4:5], s[4:5], 0x0
	v_max_f32_e32 v1, v7, v7
	s_waitcnt lgkmcnt(0)
	v_max_f32_e64 v13, s4, s4
	v_max_f32_e32 v1, v1, v13
	v_sub_f32_e32 v13, v7, v1
	v_sub_f32_e32 v15, s4, v1
	v_mul_f32_e32 v16, 0x3fb8aa3b, v13
	v_mul_f32_e32 v17, 0x3fb8aa3b, v15
	v_fma_f32 v18, v13, s6, -v16
	v_rndne_f32_e32 v19, v16
	v_fma_f32 v20, v15, s6, -v17
	v_rndne_f32_e32 v21, v17
	v_fmac_f32_e32 v18, 0x32a5705f, v13
	v_sub_f32_e32 v16, v16, v19
	v_fmac_f32_e32 v20, 0x32a5705f, v15
	v_sub_f32_e32 v17, v17, v21
	v_add_f32_e32 v16, v16, v18
	v_cvt_i32_f32_e32 v19, v19
	v_add_f32_e32 v17, v17, v20
	v_exp_f32_e32 v16, v16
	v_cvt_i32_f32_e32 v21, v21
	v_exp_f32_e32 v17, v17
	v_cmp_ngt_f32_e32 vcc, s7, v13
	v_ldexp_f32 v16, v16, v19
	v_cndmask_b32_e32 v16, 0, v16, vcc
	v_ldexp_f32 v17, v17, v21
	v_cmp_ngt_f32_e32 vcc, s7, v15
	v_cndmask_b32_e32 v17, 0, v17, vcc
	v_cmp_nlt_f32_e32 vcc, s13, v13
	v_cndmask_b32_e32 v16, v12, v16, vcc
	v_cmp_nlt_f32_e32 vcc, s13, v15
	v_cndmask_b32_e32 v17, v12, v17, vcc
	v_cmp_le_f32_e32 vcc, s14, v13
	v_cndmask_b32_e32 v16, 0, v16, vcc
	v_cmp_le_f32_e32 vcc, s14, v15
	v_cndmask_b32_e32 v15, 0, v17, vcc
	v_mul_f32_e32 v13, s5, v15
	v_fmac_f32_e32 v13, v6, v16
	s_waitcnt vmcnt(0)
	v_mul_f32_e32 v14, v14, v15
	v_fmac_f32_e32 v14, v5, v16
	s_cbranch_execnz .LBB17_19
.LBB17_18:
	s_add_i32 s11, s12, -1
	s_mov_b64 s[0:1], 0
	v_mov_b32_e32 v0, v8
	v_mov_b32_e32 v13, v6
	;; [unrolled: 1-line block ×3, first 2 shown]
	s_waitcnt vmcnt(0)
	v_mov_b32_e32 v14, v5
.LBB17_19:
	s_andn2_b64 vcc, exec, s[0:1]
	s_cbranch_vccz .LBB17_23
; %bb.20:
	v_mov_b32_e32 v8, v0
	s_mov_b32 s12, s11
	v_mov_b32_e32 v6, v13
	v_mov_b32_e32 v7, v1
	s_waitcnt vmcnt(0)
	v_mov_b32_e32 v5, v14
	s_mul_hi_i32 s11, s12, s15
	s_cmp_lg_u64 s[10:11], 0
	s_mul_i32 s4, s12, s15
	s_cbranch_scc1 .LBB17_9
	s_branch .LBB17_15
.LBB17_21:
                                        ; implicit-def: $sgpr20_sgpr21
	s_load_dwordx4 s[16:19], s[4:5], 0x44
	s_branch .LBB17_2
.LBB17_22:
                                        ; implicit-def: $vgpr2_vgpr3
	s_branch .LBB17_5
.LBB17_23:
	v_div_scale_f32 v0, s[0:1], v13, v13, v14
	v_rcp_f32_e32 v1, v0
	v_div_scale_f32 v4, vcc, v14, v13, v14
	s_waitcnt vmcnt(0)
	v_fma_f32 v5, -v0, v1, 1.0
	v_fmac_f32_e32 v1, v5, v1
	v_mul_f32_e32 v5, v4, v1
	v_fma_f32 v6, -v0, v5, v4
	v_fmac_f32_e32 v5, v6, v1
	v_fma_f32 v0, -v0, v5, v4
	v_div_fmas_f32 v0, v0, v1, v5
	v_div_fixup_f32 v0, v0, v13, v14
	global_store_dword v[2:3], v0, off
.LBB17_24:
	s_endpgm
	.section	.rodata,"a",@progbits
	.p2align	6, 0x0
	.amdhsa_kernel _ZL33flash_attn_stream_k_fixup_generalILi96ELi16ELi2EEvPfPK15HIP_vector_typeIfLj2EEiiiiS1_IjLj3EES5_S5_S5_
		.amdhsa_group_segment_fixed_size 0
		.amdhsa_private_segment_fixed_size 0
		.amdhsa_kernarg_size 336
		.amdhsa_user_sgpr_count 6
		.amdhsa_user_sgpr_private_segment_buffer 1
		.amdhsa_user_sgpr_dispatch_ptr 0
		.amdhsa_user_sgpr_queue_ptr 0
		.amdhsa_user_sgpr_kernarg_segment_ptr 1
		.amdhsa_user_sgpr_dispatch_id 0
		.amdhsa_user_sgpr_flat_scratch_init 0
		.amdhsa_user_sgpr_kernarg_preload_length 0
		.amdhsa_user_sgpr_kernarg_preload_offset 0
		.amdhsa_user_sgpr_private_segment_size 0
		.amdhsa_uses_dynamic_stack 0
		.amdhsa_system_sgpr_private_segment_wavefront_offset 0
		.amdhsa_system_sgpr_workgroup_id_x 1
		.amdhsa_system_sgpr_workgroup_id_y 1
		.amdhsa_system_sgpr_workgroup_id_z 1
		.amdhsa_system_sgpr_workgroup_info 0
		.amdhsa_system_vgpr_workitem_id 0
		.amdhsa_next_free_vgpr 22
		.amdhsa_next_free_sgpr 32
		.amdhsa_accum_offset 24
		.amdhsa_reserve_vcc 1
		.amdhsa_reserve_flat_scratch 0
		.amdhsa_float_round_mode_32 0
		.amdhsa_float_round_mode_16_64 0
		.amdhsa_float_denorm_mode_32 3
		.amdhsa_float_denorm_mode_16_64 3
		.amdhsa_dx10_clamp 1
		.amdhsa_ieee_mode 1
		.amdhsa_fp16_overflow 0
		.amdhsa_tg_split 0
		.amdhsa_exception_fp_ieee_invalid_op 0
		.amdhsa_exception_fp_denorm_src 0
		.amdhsa_exception_fp_ieee_div_zero 0
		.amdhsa_exception_fp_ieee_overflow 0
		.amdhsa_exception_fp_ieee_underflow 0
		.amdhsa_exception_fp_ieee_inexact 0
		.amdhsa_exception_int_div_zero 0
	.end_amdhsa_kernel
	.section	.text._ZL33flash_attn_stream_k_fixup_generalILi96ELi16ELi2EEvPfPK15HIP_vector_typeIfLj2EEiiiiS1_IjLj3EES5_S5_S5_,"axG",@progbits,_ZL33flash_attn_stream_k_fixup_generalILi96ELi16ELi2EEvPfPK15HIP_vector_typeIfLj2EEiiiiS1_IjLj3EES5_S5_S5_,comdat
.Lfunc_end17:
	.size	_ZL33flash_attn_stream_k_fixup_generalILi96ELi16ELi2EEvPfPK15HIP_vector_typeIfLj2EEiiiiS1_IjLj3EES5_S5_S5_, .Lfunc_end17-_ZL33flash_attn_stream_k_fixup_generalILi96ELi16ELi2EEvPfPK15HIP_vector_typeIfLj2EEiiiiS1_IjLj3EES5_S5_S5_
                                        ; -- End function
	.section	.AMDGPU.csdata,"",@progbits
; Kernel info:
; codeLenInByte = 2828
; NumSgprs: 36
; NumVgprs: 22
; NumAgprs: 0
; TotalNumVgprs: 22
; ScratchSize: 0
; MemoryBound: 0
; FloatMode: 240
; IeeeMode: 1
; LDSByteSize: 0 bytes/workgroup (compile time only)
; SGPRBlocks: 4
; VGPRBlocks: 2
; NumSGPRsForWavesPerEU: 36
; NumVGPRsForWavesPerEU: 22
; AccumOffset: 24
; Occupancy: 8
; WaveLimiterHint : 0
; COMPUTE_PGM_RSRC2:SCRATCH_EN: 0
; COMPUTE_PGM_RSRC2:USER_SGPR: 6
; COMPUTE_PGM_RSRC2:TRAP_HANDLER: 0
; COMPUTE_PGM_RSRC2:TGID_X_EN: 1
; COMPUTE_PGM_RSRC2:TGID_Y_EN: 1
; COMPUTE_PGM_RSRC2:TGID_Z_EN: 1
; COMPUTE_PGM_RSRC2:TIDIG_COMP_CNT: 0
; COMPUTE_PGM_RSRC3_GFX90A:ACCUM_OFFSET: 5
; COMPUTE_PGM_RSRC3_GFX90A:TG_SPLIT: 0
	.section	.text._ZL26flash_attn_combine_resultsILi96EEvPKfPK15HIP_vector_typeIfLj2EEPfi,"axG",@progbits,_ZL26flash_attn_combine_resultsILi96EEvPKfPK15HIP_vector_typeIfLj2EEPfi,comdat
	.globl	_ZL26flash_attn_combine_resultsILi96EEvPKfPK15HIP_vector_typeIfLj2EEPfi ; -- Begin function _ZL26flash_attn_combine_resultsILi96EEvPKfPK15HIP_vector_typeIfLj2EEPfi
	.p2align	8
	.type	_ZL26flash_attn_combine_resultsILi96EEvPKfPK15HIP_vector_typeIfLj2EEPfi,@function
_ZL26flash_attn_combine_resultsILi96EEvPKfPK15HIP_vector_typeIfLj2EEPfi: ; @_ZL26flash_attn_combine_resultsILi96EEvPKfPK15HIP_vector_typeIfLj2EEPfi
; %bb.0:
	s_load_dwordx2 s[0:1], s[4:5], 0x20
	s_load_dword s21, s[4:5], 0x18
	s_load_dwordx4 s[16:19], s[4:5], 0x0
	s_load_dwordx2 s[14:15], s[4:5], 0x10
	s_waitcnt lgkmcnt(0)
	s_mul_i32 s0, s0, s8
	s_add_i32 s0, s0, s6
	s_mul_i32 s20, s0, s1
	s_add_i32 s20, s20, s7
	s_lshl_b32 s10, s21, 1
	s_mul_i32 s0, s20, s21
	v_cmp_gt_i32_e32 vcc, s10, v0
	s_and_saveexec_b64 s[2:3], vcc
	s_cbranch_execz .LBB18_13
; %bb.1:
	v_xad_u32 v1, v0, -1, s10
	s_movk_i32 s4, 0x5f
	s_ashr_i32 s1, s0, 31
	v_cmp_lt_u32_e32 vcc, s4, v1
	s_mov_b64 s[6:7], -1
	v_mov_b32_e32 v2, v0
	s_and_saveexec_b64 s[4:5], vcc
	s_cbranch_execz .LBB18_10
; %bb.2:
	s_mov_b32 s6, 0xaaaaaaab
	v_mul_hi_u32 v1, v1, s6
	v_lshrrev_b32_e32 v6, 6, v1
	s_lshl_b64 s[6:7], s[0:1], 3
	v_add_u32_e32 v2, -1, v6
	s_add_u32 s11, s18, s6
	v_add_u32_e32 v1, 0x60, v0
	v_lshrrev_b32_e32 v3, 1, v2
	s_addc_u32 s12, s19, s7
	v_add_u32_e32 v7, 1, v3
	v_cmp_lt_u32_e32 vcc, 13, v2
	v_mov_b32_e32 v4, 0
	v_pk_mov_b32 v[2:3], v[0:1], v[0:1] op_sel:[0,1]
	s_and_saveexec_b64 s[6:7], vcc
	s_cbranch_execz .LBB18_6
; %bb.3:
	v_and_b32_e32 v8, -8, v7
	s_mov_b32 s13, 0
	v_lshl_add_u32 v9, v0, 2, 0
	s_mov_b64 s[8:9], 0
	v_mov_b32_e32 v10, s12
	v_mov_b32_e32 v5, 0
	v_pk_mov_b32 v[2:3], v[0:1], v[0:1] op_sel:[0,1]
.LBB18_4:                               ; =>This Inner Loop Header: Depth=1
	v_mov_b32_e32 v4, v2
	v_lshlrev_b64 v[26:27], 2, v[4:5]
	v_add_u32_e32 v12, 0xc0, v3
	v_mov_b32_e32 v13, v5
	v_add_co_u32_e32 v26, vcc, s11, v26
	v_lshlrev_b64 v[12:13], 2, v[12:13]
	v_addc_co_u32_e32 v27, vcc, v10, v27, vcc
	v_add_u32_e32 v14, 0x180, v3
	v_mov_b32_e32 v15, v5
	v_add_co_u32_e32 v12, vcc, s11, v12
	v_lshlrev_b64 v[14:15], 2, v[14:15]
	v_addc_co_u32_e32 v13, vcc, v10, v13, vcc
	;; [unrolled: 5-line block ×7, first 2 shown]
	v_mov_b32_e32 v4, v3
	v_add_co_u32_e32 v24, vcc, s11, v24
	v_lshlrev_b64 v[28:29], 2, v[4:5]
	v_addc_co_u32_e32 v25, vcc, v10, v25, vcc
	v_add_u32_e32 v4, 0xc0, v2
	v_add_co_u32_e32 v28, vcc, s11, v28
	v_addc_co_u32_e32 v29, vcc, v10, v29, vcc
	global_load_dword v1, v[26:27], off
	v_lshlrev_b64 v[26:27], 2, v[4:5]
	v_add_u32_e32 v4, 0x180, v2
	v_add_co_u32_e32 v26, vcc, s11, v26
	v_addc_co_u32_e32 v27, vcc, v10, v27, vcc
	v_lshlrev_b64 v[30:31], 2, v[4:5]
	v_add_u32_e32 v4, 0x240, v2
	global_load_dword v11, v[28:29], off
	global_load_dword v32, v[26:27], off
	;; [unrolled: 1-line block ×3, first 2 shown]
	v_add_co_u32_e32 v12, vcc, s11, v30
	v_addc_co_u32_e32 v13, vcc, v10, v31, vcc
	v_lshlrev_b64 v[26:27], 2, v[4:5]
	v_add_u32_e32 v4, 0x300, v2
	v_add_co_u32_e32 v26, vcc, s11, v26
	v_addc_co_u32_e32 v27, vcc, v10, v27, vcc
	v_lshlrev_b64 v[28:29], 2, v[4:5]
	v_add_u32_e32 v4, 0x3c0, v2
	global_load_dword v30, v[12:13], off
	global_load_dword v31, v[14:15], off
	;; [unrolled: 1-line block ×4, first 2 shown]
	v_add_co_u32_e32 v12, vcc, s11, v28
	v_addc_co_u32_e32 v13, vcc, v10, v29, vcc
	v_lshlrev_b64 v[14:15], 2, v[4:5]
	v_add_u32_e32 v4, 0x480, v2
	v_add_co_u32_e32 v14, vcc, s11, v14
	v_addc_co_u32_e32 v15, vcc, v10, v15, vcc
	v_lshlrev_b64 v[16:17], 2, v[4:5]
	v_add_u32_e32 v4, 0x540, v2
	global_load_dword v26, v[12:13], off
	global_load_dword v27, v[18:19], off
	global_load_dword v28, v[14:15], off
	global_load_dword v29, v[20:21], off
	v_add_co_u32_e32 v12, vcc, s11, v16
	v_addc_co_u32_e32 v13, vcc, v10, v17, vcc
	v_lshlrev_b64 v[14:15], 2, v[4:5]
	v_add_co_u32_e32 v14, vcc, s11, v14
	v_addc_co_u32_e32 v15, vcc, v10, v15, vcc
	global_load_dword v16, v[12:13], off
	global_load_dword v17, v[22:23], off
	;; [unrolled: 1-line block ×4, first 2 shown]
	v_add_u32_e32 v8, -8, v8
	s_add_i32 s13, s13, 16
	v_cmp_eq_u32_e32 vcc, 0, v8
	v_add_u32_e32 v12, 0x200, v9
	v_add_u32_e32 v13, 0x400, v9
	;; [unrolled: 1-line block ×8, first 2 shown]
	v_mov_b32_e32 v4, s13
	s_or_b64 s[8:9], vcc, s[8:9]
	v_add_u32_e32 v2, 0x600, v2
	s_waitcnt vmcnt(14)
	ds_write2_b32 v9, v1, v11 offset1:96
	v_add_u32_e32 v9, 0x1800, v9
	s_waitcnt vmcnt(12)
	ds_write2_b32 v12, v32, v33 offset0:64 offset1:160
	s_waitcnt vmcnt(10)
	ds_write2_b32 v13, v30, v31 offset0:128 offset1:224
	;; [unrolled: 2-line block ×3, first 2 shown]
	s_waitcnt vmcnt(6)
	ds_write2_b32 v15, v26, v27 offset1:96
	s_waitcnt vmcnt(4)
	ds_write2_b32 v20, v28, v29 offset0:64 offset1:160
	s_waitcnt vmcnt(2)
	ds_write2_b32 v21, v16, v17 offset0:128 offset1:224
	;; [unrolled: 2-line block ×3, first 2 shown]
	s_andn2_b64 exec, exec, s[8:9]
	s_cbranch_execnz .LBB18_4
; %bb.5:
	s_or_b64 exec, exec, s[8:9]
.LBB18_6:
	s_or_b64 exec, exec, s[6:7]
	v_and_b32_e32 v1, 7, v7
	v_cmp_ne_u32_e32 vcc, 0, v1
	s_and_saveexec_b64 s[6:7], vcc
	s_cbranch_execz .LBB18_9
; %bb.7:
	s_movk_i32 s8, 0x180
	v_mul_lo_u32 v4, v4, s8
	v_lshlrev_b32_e32 v5, 2, v0
	v_add3_u32 v7, v4, v5, 0
	s_mov_b64 s[8:9], 0
	v_mov_b32_e32 v8, s12
	v_mov_b32_e32 v5, 0
.LBB18_8:                               ; =>This Inner Loop Header: Depth=1
	v_mov_b32_e32 v4, v2
	v_lshlrev_b64 v[10:11], 2, v[4:5]
	v_mov_b32_e32 v4, v3
	v_add_co_u32_e32 v10, vcc, s11, v10
	v_addc_co_u32_e32 v11, vcc, v8, v11, vcc
	v_lshlrev_b64 v[12:13], 2, v[4:5]
	v_add_co_u32_e32 v12, vcc, s11, v12
	v_addc_co_u32_e32 v13, vcc, v8, v13, vcc
	global_load_dword v4, v[10:11], off
	global_load_dword v9, v[12:13], off
	v_add_u32_e32 v1, -1, v1
	v_cmp_eq_u32_e32 vcc, 0, v1
	v_add_u32_e32 v2, 0xc0, v2
	v_add_u32_e32 v3, 0xc0, v3
	s_or_b64 s[8:9], vcc, s[8:9]
	s_waitcnt vmcnt(0)
	ds_write2_b32 v7, v4, v9 offset1:96
	v_add_u32_e32 v7, 0x300, v7
	s_andn2_b64 exec, exec, s[8:9]
	s_cbranch_execnz .LBB18_8
.LBB18_9:
	s_or_b64 exec, exec, s[6:7]
	v_add_u32_e32 v1, 1, v6
	v_and_b32_e32 v4, 0x7fffffe, v1
	s_movk_i32 s6, 0x60
	v_mad_u64_u32 v[2:3], s[6:7], v4, s6, v[0:1]
	v_cmp_ne_u32_e32 vcc, v1, v4
	s_orn2_b64 s[6:7], vcc, exec
.LBB18_10:
	s_or_b64 exec, exec, s[4:5]
	s_and_b64 exec, exec, s[6:7]
	s_cbranch_execz .LBB18_13
; %bb.11:
	s_lshl_b64 s[4:5], s[0:1], 3
	v_mov_b32_e32 v3, 0
	s_add_u32 s1, s18, s4
	v_lshlrev_b64 v[4:5], 2, v[2:3]
	s_addc_u32 s4, s19, s5
	v_mov_b32_e32 v1, s4
	v_add_co_u32_e32 v4, vcc, s1, v4
	v_addc_co_u32_e32 v5, vcc, v1, v5, vcc
	v_lshl_add_u32 v1, v2, 2, 0
	s_mov_b64 s[4:5], 0
.LBB18_12:                              ; =>This Inner Loop Header: Depth=1
	global_load_dword v3, v[4:5], off
	v_add_co_u32_e32 v4, vcc, 0x180, v4
	v_add_u32_e32 v2, 0x60, v2
	v_addc_co_u32_e32 v5, vcc, 0, v5, vcc
	v_cmp_le_i32_e32 vcc, s10, v2
	s_or_b64 s[4:5], vcc, s[4:5]
	s_waitcnt vmcnt(0)
	ds_write_b32 v1, v3
	v_add_u32_e32 v1, 0x180, v1
	s_andn2_b64 exec, exec, s[4:5]
	s_cbranch_execnz .LBB18_12
.LBB18_13:
	s_or_b64 exec, exec, s[2:3]
	v_mov_b32_e32 v1, 0
	s_waitcnt lgkmcnt(0)
	s_barrier
	ds_read_b32 v1, v1
	s_cmp_lt_i32 s21, 2
	s_cbranch_scc1 .LBB18_21
; %bb.14:
	s_add_i32 s1, s21, -1
	s_add_i32 s2, s21, -2
	s_cmp_lt_u32 s2, 7
	s_cbranch_scc1 .LBB18_18
; %bb.15:
	s_mov_b32 s4, 0
	s_add_i32 s2, 0, 8
	s_and_b32 s3, s1, -8
.LBB18_16:                              ; =>This Inner Loop Header: Depth=1
	v_mov_b32_e32 v8, s2
	ds_read2_b32 v[2:3], v8 offset1:2
	ds_read2_b32 v[4:5], v8 offset0:4 offset1:6
	ds_read2_b32 v[6:7], v8 offset0:8 offset1:10
	;; [unrolled: 1-line block ×3, first 2 shown]
	s_mov_b32 s5, s4
	s_waitcnt lgkmcnt(3)
	v_max3_f32 v1, v1, v2, v3
	s_waitcnt lgkmcnt(2)
	v_max3_f32 v1, v1, v4, v5
	s_add_i32 s2, s2, 64
	s_add_i32 s4, s4, 8
	s_waitcnt lgkmcnt(1)
	v_max3_f32 v1, v1, v6, v7
	s_cmp_eq_u32 s3, s4
	s_waitcnt lgkmcnt(0)
	v_max3_f32 v1, v1, v8, v9
	s_cbranch_scc0 .LBB18_16
; %bb.17:
	s_add_i32 s2, s5, 9
	s_and_b32 s1, s1, 7
	s_cmp_eq_u32 s1, 0
	s_cbranch_scc0 .LBB18_19
	s_branch .LBB18_21
.LBB18_18:
	s_mov_b32 s2, 1
	s_and_b32 s1, s1, 7
	s_cmp_eq_u32 s1, 0
	s_cbranch_scc1 .LBB18_21
.LBB18_19:
	s_lshl_b32 s2, s2, 3
	s_add_i32 s2, s2, 0
.LBB18_20:                              ; =>This Inner Loop Header: Depth=1
	v_mov_b32_e32 v2, s2
	ds_read_b32 v2, v2
	s_waitcnt lgkmcnt(1)
	v_max_f32_e32 v1, v1, v1
	s_add_i32 s2, s2, 8
	s_add_i32 s1, s1, -1
	s_cmp_lg_u32 s1, 0
	s_waitcnt lgkmcnt(0)
	v_max_f32_e32 v2, v2, v2
	v_max_f32_e32 v1, v1, v2
	s_cbranch_scc1 .LBB18_20
.LBB18_21:
	s_cmp_lt_i32 s21, 1
	s_cbranch_scc1 .LBB18_26
; %bb.22:
	s_mul_i32 s18, s0, 0x60
	s_ashr_i32 s19, s18, 31
	s_cmp_lt_u32 s21, 8
	v_mov_b32_e32 v8, 0
	s_cbranch_scc1 .LBB18_27
; %bb.23:
	s_lshl_b64 s[0:1], s[18:19], 2
	s_add_u32 s23, s16, s0
	s_addc_u32 s0, s17, s1
	v_lshlrev_b32_e32 v2, 2, v0
	v_mov_b32_e32 v10, s0
	v_add_co_u32_e32 v2, vcc, s23, v2
	v_addc_co_u32_e32 v3, vcc, 0, v10, vcc
	v_add_co_u32_e32 v2, vcc, 0x180, v2
	s_and_b32 s22, s21, 0x7ffffff8
	v_addc_co_u32_e32 v3, vcc, 0, v3, vcc
	v_or_b32_e32 v4, 0x180, v0
	s_mov_b32 s24, 0
	v_mov_b32_e32 v7, 0
	s_mov_b32 s25, 0x3fb8aa3b
	s_mov_b32 s26, 0xc2ce8ed0
	;; [unrolled: 1-line block ×3, first 2 shown]
	v_mov_b32_e32 v11, 0x7f800000
	s_mov_b32 s28, 0
	v_mov_b32_e32 v9, 0
	v_mov_b32_e32 v8, 0
.LBB18_24:                              ; =>This Inner Loop Header: Depth=1
	v_add_u32_e32 v6, 0xfffffe80, v4
	global_load_dword v36, v[2:3], off
	v_add_co_u32_e32 v2, vcc, 0xc00, v2
	v_lshlrev_b64 v[28:29], 2, v[6:7]
	v_addc_co_u32_e32 v3, vcc, 0, v3, vcc
	v_mov_b32_e32 v5, v7
	v_add_co_u32_e32 v28, vcc, s23, v28
	v_lshlrev_b64 v[30:31], 2, v[4:5]
	v_addc_co_u32_e32 v29, vcc, v10, v29, vcc
	v_add_u32_e32 v6, 0xffffff40, v4
	v_add_co_u32_e32 v30, vcc, s23, v30
	v_lshlrev_b64 v[32:33], 2, v[6:7]
	v_addc_co_u32_e32 v31, vcc, v10, v31, vcc
	v_add_u32_e32 v6, 0xffffffa0, v4
	v_add_co_u32_e32 v32, vcc, s23, v32
	v_mov_b32_e32 v24, s24
	v_addc_co_u32_e32 v33, vcc, v10, v33, vcc
	v_lshlrev_b64 v[34:35], 2, v[6:7]
	ds_read2_b64 v[12:15], v24 offset1:1
	ds_read2_b64 v[16:19], v24 offset0:2 offset1:3
	ds_read2_b64 v[20:23], v24 offset0:4 offset1:5
	;; [unrolled: 1-line block ×3, first 2 shown]
	v_add_u32_e32 v6, 0x60, v4
	global_load_dword v5, v[28:29], off
	global_load_dword v37, v[32:33], off
	v_add_co_u32_e32 v28, vcc, s23, v34
	v_addc_co_u32_e32 v29, vcc, v10, v35, vcc
	v_lshlrev_b64 v[32:33], 2, v[6:7]
	v_add_u32_e32 v6, 0xc0, v4
	v_add_co_u32_e32 v32, vcc, s23, v32
	v_addc_co_u32_e32 v33, vcc, v10, v33, vcc
	v_lshlrev_b64 v[34:35], 2, v[6:7]
	v_add_u32_e32 v6, 0x120, v4
	global_load_dword v38, v[28:29], off
	global_load_dword v39, v[30:31], off
	v_add_co_u32_e32 v28, vcc, s23, v34
	v_addc_co_u32_e32 v29, vcc, v10, v35, vcc
	v_lshlrev_b64 v[30:31], 2, v[6:7]
	global_load_dword v32, v[32:33], off
	v_add_co_u32_e32 v30, vcc, s23, v30
	v_addc_co_u32_e32 v31, vcc, v10, v31, vcc
	global_load_dword v30, v[30:31], off
	s_waitcnt lgkmcnt(3)
	v_sub_f32_e32 v12, v12, v1
	global_load_dword v28, v[28:29], off
	v_sub_f32_e32 v14, v14, v1
	v_mul_f32_e32 v6, 0x3fb8aa3b, v12
	s_waitcnt lgkmcnt(2)
	v_sub_f32_e32 v16, v16, v1
	v_mul_f32_e32 v33, 0x3fb8aa3b, v14
	v_fma_f32 v29, v12, s25, -v6
	v_rndne_f32_e32 v44, v6
	v_sub_f32_e32 v18, v18, v1
	s_waitcnt lgkmcnt(1)
	v_sub_f32_e32 v20, v20, v1
	v_mul_f32_e32 v34, 0x3fb8aa3b, v16
	v_fma_f32 v45, v14, s25, -v33
	v_rndne_f32_e32 v46, v33
	v_fmac_f32_e32 v29, 0x32a5705f, v12
	v_sub_f32_e32 v6, v6, v44
	v_mul_f32_e32 v35, 0x3fb8aa3b, v18
	v_mul_f32_e32 v40, 0x3fb8aa3b, v20
	v_fma_f32 v47, v16, s25, -v34
	v_rndne_f32_e32 v48, v34
	v_add_f32_e32 v6, v6, v29
	v_fmac_f32_e32 v45, 0x32a5705f, v14
	v_sub_f32_e32 v33, v33, v46
	v_sub_f32_e32 v22, v22, v1
	s_waitcnt lgkmcnt(0)
	v_sub_f32_e32 v24, v24, v1
	v_fma_f32 v49, v18, s25, -v35
	v_rndne_f32_e32 v50, v35
	v_fma_f32 v31, v20, s25, -v40
	v_rndne_f32_e32 v29, v40
	v_add_f32_e32 v33, v33, v45
	v_fmac_f32_e32 v47, 0x32a5705f, v16
	v_sub_f32_e32 v34, v34, v48
	v_cvt_i32_f32_e32 v44, v44
	v_exp_f32_e32 v6, v6
	v_mul_f32_e32 v41, 0x3fb8aa3b, v22
	v_mul_f32_e32 v42, 0x3fb8aa3b, v24
	v_add_f32_e32 v34, v34, v47
	v_fmac_f32_e32 v49, 0x32a5705f, v18
	v_sub_f32_e32 v35, v35, v50
	v_fmac_f32_e32 v31, 0x32a5705f, v20
	v_sub_f32_e32 v40, v40, v29
	v_cvt_i32_f32_e32 v46, v46
	v_exp_f32_e32 v33, v33
	v_sub_f32_e32 v26, v26, v1
	v_fma_f32 v45, v22, s25, -v41
	v_rndne_f32_e32 v47, v41
	v_add_f32_e32 v35, v35, v49
	v_fma_f32 v49, v24, s25, -v42
	v_add_f32_e32 v31, v40, v31
	v_rndne_f32_e32 v40, v42
	v_cvt_i32_f32_e32 v48, v48
	v_exp_f32_e32 v34, v34
	v_mul_f32_e32 v43, 0x3fb8aa3b, v26
	v_fmac_f32_e32 v45, 0x32a5705f, v22
	v_sub_f32_e32 v41, v41, v47
	v_fmac_f32_e32 v49, 0x32a5705f, v24
	v_sub_f32_e32 v42, v42, v40
	v_cvt_i32_f32_e32 v50, v50
	v_exp_f32_e32 v35, v35
	v_add_f32_e32 v41, v41, v45
	v_fma_f32 v45, v26, s25, -v43
	v_add_f32_e32 v42, v42, v49
	v_rndne_f32_e32 v49, v43
	v_cvt_i32_f32_e32 v29, v29
	v_exp_f32_e32 v31, v31
	v_ldexp_f32 v6, v6, v44
	v_cmp_ngt_f32_e64 s[12:13], s26, v12
	v_cvt_i32_f32_e32 v47, v47
	v_fmac_f32_e32 v45, 0x32a5705f, v26
	v_sub_f32_e32 v43, v43, v49
	v_exp_f32_e32 v41, v41
	v_ldexp_f32 v33, v33, v46
	v_cmp_ngt_f32_e32 vcc, s26, v14
	v_cndmask_b32_e64 v6, 0, v6, s[12:13]
	v_cmp_nlt_f32_e64 s[12:13], s27, v12
	v_cvt_i32_f32_e32 v40, v40
	v_add_f32_e32 v43, v43, v45
	v_exp_f32_e32 v42, v42
	v_ldexp_f32 v34, v34, v48
	v_cmp_ngt_f32_e64 s[0:1], s26, v16
	v_cndmask_b32_e32 v33, 0, v33, vcc
	v_cmp_nlt_f32_e32 vcc, s27, v14
	v_cndmask_b32_e64 v6, v11, v6, s[12:13]
	v_cvt_i32_f32_e32 v49, v49
	v_exp_f32_e32 v43, v43
	v_ldexp_f32 v35, v35, v50
	v_cmp_ngt_f32_e64 s[2:3], s26, v18
	v_cndmask_b32_e64 v14, 0, v34, s[0:1]
	v_cmp_nlt_f32_e64 s[0:1], s27, v16
	v_cndmask_b32_e32 v12, v11, v33, vcc
	v_fmac_f32_e32 v9, v6, v13
	s_waitcnt vmcnt(6)
	v_fmac_f32_e32 v8, v5, v6
	v_ldexp_f32 v29, v31, v29
	v_cmp_ngt_f32_e64 s[4:5], s26, v20
	v_cndmask_b32_e64 v16, 0, v35, s[2:3]
	v_cmp_nlt_f32_e64 s[2:3], s27, v18
	v_cndmask_b32_e64 v14, v11, v14, s[0:1]
	v_fmac_f32_e32 v9, v12, v15
	v_fmac_f32_e32 v8, v36, v12
	v_ldexp_f32 v31, v41, v47
	v_cmp_ngt_f32_e64 s[6:7], s26, v22
	v_cndmask_b32_e64 v18, 0, v29, s[4:5]
	v_cmp_nlt_f32_e64 s[4:5], s27, v20
	v_cndmask_b32_e64 v16, v11, v16, s[2:3]
	v_fmac_f32_e32 v9, v14, v17
	s_waitcnt vmcnt(5)
	v_fmac_f32_e32 v8, v37, v14
	v_ldexp_f32 v40, v42, v40
	v_cmp_ngt_f32_e64 s[8:9], s26, v24
	v_cndmask_b32_e64 v20, 0, v31, s[6:7]
	v_cmp_nlt_f32_e64 s[6:7], s27, v22
	v_cndmask_b32_e64 v18, v11, v18, s[4:5]
	v_fmac_f32_e32 v9, v16, v19
	s_waitcnt vmcnt(4)
	;; [unrolled: 8-line block ×3, first 2 shown]
	v_fmac_f32_e32 v8, v39, v18
	v_cndmask_b32_e64 v24, 0, v41, s[10:11]
	v_cmp_nlt_f32_e64 s[10:11], s27, v26
	v_cndmask_b32_e64 v22, v11, v22, s[8:9]
	v_fmac_f32_e32 v9, v20, v23
	s_waitcnt vmcnt(2)
	v_fmac_f32_e32 v8, v32, v20
	s_add_i32 s28, s28, 8
	s_add_i32 s24, s24, 64
	v_cndmask_b32_e64 v24, v11, v24, s[10:11]
	v_fmac_f32_e32 v9, v22, v25
	s_waitcnt vmcnt(0)
	v_fmac_f32_e32 v8, v28, v22
	s_cmp_eq_u32 s22, s28
	v_add_u32_e32 v4, 0x300, v4
	v_fmac_f32_e32 v9, v24, v27
	v_fmac_f32_e32 v8, v30, v24
	s_cbranch_scc0 .LBB18_24
; %bb.25:
	s_and_b32 s0, s21, 7
	s_cmp_eq_u32 s0, 0
	s_cbranch_scc0 .LBB18_28
	s_branch .LBB18_30
.LBB18_26:
	s_waitcnt lgkmcnt(0)
	v_mov_b32_e32 v1, 0x7fc00000
	s_branch .LBB18_31
.LBB18_27:
	s_mov_b32 s22, 0
	v_mov_b32_e32 v9, 0
	s_and_b32 s0, s21, 7
	s_cmp_eq_u32 s0, 0
	s_cbranch_scc1 .LBB18_30
.LBB18_28:
	s_lshl_b64 s[2:3], s[18:19], 2
	s_mul_i32 s1, s22, 0x60
	v_add_u32_e32 v2, s1, v0
	v_mov_b32_e32 v3, 0
	s_add_u32 s1, s16, s2
	v_lshlrev_b64 v[2:3], 2, v[2:3]
	s_addc_u32 s2, s17, s3
	v_mov_b32_e32 v4, s2
	v_add_co_u32_e32 v2, vcc, s1, v2
	s_lshl_b32 s1, s22, 3
	v_addc_co_u32_e32 v3, vcc, v4, v3, vcc
	s_add_i32 s1, s1, 0
	s_mov_b32 s2, 0x3fb8aa3b
	s_mov_b32 s3, 0xc2ce8ed0
	;; [unrolled: 1-line block ×3, first 2 shown]
	v_mov_b32_e32 v4, 0x7f800000
.LBB18_29:                              ; =>This Inner Loop Header: Depth=1
	global_load_dword v5, v[2:3], off
	v_mov_b32_e32 v6, s1
	ds_read_b64 v[6:7], v6
	v_add_co_u32_e32 v2, vcc, 0x180, v2
	v_addc_co_u32_e32 v3, vcc, 0, v3, vcc
	s_waitcnt lgkmcnt(0)
	v_sub_f32_e32 v6, v6, v1
	v_mul_f32_e32 v10, 0x3fb8aa3b, v6
	v_fma_f32 v11, v6, s2, -v10
	v_rndne_f32_e32 v12, v10
	v_fmac_f32_e32 v11, 0x32a5705f, v6
	v_sub_f32_e32 v10, v10, v12
	v_add_f32_e32 v10, v10, v11
	v_cvt_i32_f32_e32 v12, v12
	v_exp_f32_e32 v10, v10
	v_cmp_ngt_f32_e32 vcc, s3, v6
	s_add_i32 s1, s1, 8
	s_add_i32 s0, s0, -1
	v_ldexp_f32 v10, v10, v12
	v_cndmask_b32_e32 v10, 0, v10, vcc
	v_cmp_nlt_f32_e32 vcc, s4, v6
	v_cndmask_b32_e32 v6, v4, v10, vcc
	s_cmp_lg_u32 s0, 0
	v_fmac_f32_e32 v9, v6, v7
	s_waitcnt vmcnt(0)
	v_fmac_f32_e32 v8, v5, v6
	s_cbranch_scc1 .LBB18_29
.LBB18_30:
	s_waitcnt lgkmcnt(0)
	v_div_scale_f32 v1, s[0:1], v9, v9, v8
	v_rcp_f32_e32 v2, v1
	v_div_scale_f32 v3, vcc, v8, v9, v8
	v_fma_f32 v4, -v1, v2, 1.0
	v_fmac_f32_e32 v2, v4, v2
	v_mul_f32_e32 v4, v3, v2
	v_fma_f32 v5, -v1, v4, v3
	v_fmac_f32_e32 v4, v5, v2
	v_fma_f32 v1, -v1, v4, v3
	v_div_fmas_f32 v1, v1, v2, v4
	v_div_fixup_f32 v1, v1, v9, v8
.LBB18_31:
	s_mul_i32 s0, s20, 0x60
	s_ashr_i32 s1, s0, 31
	s_lshl_b64 s[0:1], s[0:1], 2
	s_add_u32 s0, s14, s0
	s_addc_u32 s1, s15, s1
	v_lshlrev_b32_e32 v0, 2, v0
	global_store_dword v0, v1, s[0:1]
	s_endpgm
	.section	.rodata,"a",@progbits
	.p2align	6, 0x0
	.amdhsa_kernel _ZL26flash_attn_combine_resultsILi96EEvPKfPK15HIP_vector_typeIfLj2EEPfi
		.amdhsa_group_segment_fixed_size 0
		.amdhsa_private_segment_fixed_size 0
		.amdhsa_kernarg_size 288
		.amdhsa_user_sgpr_count 6
		.amdhsa_user_sgpr_private_segment_buffer 1
		.amdhsa_user_sgpr_dispatch_ptr 0
		.amdhsa_user_sgpr_queue_ptr 0
		.amdhsa_user_sgpr_kernarg_segment_ptr 1
		.amdhsa_user_sgpr_dispatch_id 0
		.amdhsa_user_sgpr_flat_scratch_init 0
		.amdhsa_user_sgpr_kernarg_preload_length 0
		.amdhsa_user_sgpr_kernarg_preload_offset 0
		.amdhsa_user_sgpr_private_segment_size 0
		.amdhsa_uses_dynamic_stack 0
		.amdhsa_system_sgpr_private_segment_wavefront_offset 0
		.amdhsa_system_sgpr_workgroup_id_x 1
		.amdhsa_system_sgpr_workgroup_id_y 1
		.amdhsa_system_sgpr_workgroup_id_z 1
		.amdhsa_system_sgpr_workgroup_info 0
		.amdhsa_system_vgpr_workitem_id 0
		.amdhsa_next_free_vgpr 51
		.amdhsa_next_free_sgpr 29
		.amdhsa_accum_offset 52
		.amdhsa_reserve_vcc 1
		.amdhsa_reserve_flat_scratch 0
		.amdhsa_float_round_mode_32 0
		.amdhsa_float_round_mode_16_64 0
		.amdhsa_float_denorm_mode_32 3
		.amdhsa_float_denorm_mode_16_64 3
		.amdhsa_dx10_clamp 1
		.amdhsa_ieee_mode 1
		.amdhsa_fp16_overflow 0
		.amdhsa_tg_split 0
		.amdhsa_exception_fp_ieee_invalid_op 0
		.amdhsa_exception_fp_denorm_src 0
		.amdhsa_exception_fp_ieee_div_zero 0
		.amdhsa_exception_fp_ieee_overflow 0
		.amdhsa_exception_fp_ieee_underflow 0
		.amdhsa_exception_fp_ieee_inexact 0
		.amdhsa_exception_int_div_zero 0
	.end_amdhsa_kernel
	.section	.text._ZL26flash_attn_combine_resultsILi96EEvPKfPK15HIP_vector_typeIfLj2EEPfi,"axG",@progbits,_ZL26flash_attn_combine_resultsILi96EEvPKfPK15HIP_vector_typeIfLj2EEPfi,comdat
.Lfunc_end18:
	.size	_ZL26flash_attn_combine_resultsILi96EEvPKfPK15HIP_vector_typeIfLj2EEPfi, .Lfunc_end18-_ZL26flash_attn_combine_resultsILi96EEvPKfPK15HIP_vector_typeIfLj2EEPfi
                                        ; -- End function
	.section	.AMDGPU.csdata,"",@progbits
; Kernel info:
; codeLenInByte = 3168
; NumSgprs: 33
; NumVgprs: 51
; NumAgprs: 0
; TotalNumVgprs: 51
; ScratchSize: 0
; MemoryBound: 0
; FloatMode: 240
; IeeeMode: 1
; LDSByteSize: 0 bytes/workgroup (compile time only)
; SGPRBlocks: 4
; VGPRBlocks: 6
; NumSGPRsForWavesPerEU: 33
; NumVGPRsForWavesPerEU: 51
; AccumOffset: 52
; Occupancy: 8
; WaveLimiterHint : 0
; COMPUTE_PGM_RSRC2:SCRATCH_EN: 0
; COMPUTE_PGM_RSRC2:USER_SGPR: 6
; COMPUTE_PGM_RSRC2:TRAP_HANDLER: 0
; COMPUTE_PGM_RSRC2:TGID_X_EN: 1
; COMPUTE_PGM_RSRC2:TGID_Y_EN: 1
; COMPUTE_PGM_RSRC2:TGID_Z_EN: 1
; COMPUTE_PGM_RSRC2:TIDIG_COMP_CNT: 0
; COMPUTE_PGM_RSRC3_GFX90A:ACCUM_OFFSET: 12
; COMPUTE_PGM_RSRC3_GFX90A:TG_SPLIT: 0
	.section	.text._ZL18flash_attn_ext_f16ILi112ELi112ELi16ELi2ELb0ELb0EEvPKcS1_S1_S1_S1_PKiPfP15HIP_vector_typeIfLj2EEffffjfiS5_IjLj3EEiiiiiiiiiiiliiliiiiil,"axG",@progbits,_ZL18flash_attn_ext_f16ILi112ELi112ELi16ELi2ELb0ELb0EEvPKcS1_S1_S1_S1_PKiPfP15HIP_vector_typeIfLj2EEffffjfiS5_IjLj3EEiiiiiiiiiiiliiliiiiil,comdat
	.globl	_ZL18flash_attn_ext_f16ILi112ELi112ELi16ELi2ELb0ELb0EEvPKcS1_S1_S1_S1_PKiPfP15HIP_vector_typeIfLj2EEffffjfiS5_IjLj3EEiiiiiiiiiiiliiliiiiil ; -- Begin function _ZL18flash_attn_ext_f16ILi112ELi112ELi16ELi2ELb0ELb0EEvPKcS1_S1_S1_S1_PKiPfP15HIP_vector_typeIfLj2EEffffjfiS5_IjLj3EEiiiiiiiiiiiliiliiiiil
	.p2align	8
	.type	_ZL18flash_attn_ext_f16ILi112ELi112ELi16ELi2ELb0ELb0EEvPKcS1_S1_S1_S1_PKiPfP15HIP_vector_typeIfLj2EEffffjfiS5_IjLj3EEiiiiiiiiiiiliiliiiiil,@function
_ZL18flash_attn_ext_f16ILi112ELi112ELi16ELi2ELb0ELb0EEvPKcS1_S1_S1_S1_PKiPfP15HIP_vector_typeIfLj2EEffffjfiS5_IjLj3EEiiiiiiiiiiiliiliiiiil: ; @_ZL18flash_attn_ext_f16ILi112ELi112ELi16ELi2ELb0ELb0EEvPKcS1_S1_S1_S1_PKiPfP15HIP_vector_typeIfLj2EEffffjfiS5_IjLj3EEiiiiiiiiiiiliiliiiiil
; %bb.0:
	s_load_dwordx2 s[2:3], s[4:5], 0x80
	s_load_dwordx4 s[20:23], s[4:5], 0x64
	s_mov_b32 s19, s6
                                        ; implicit-def: $vgpr234 : SGPR spill to VGPR lane
	s_load_dword s29, s[4:5], 0xd0
	s_mov_b32 s0, 0
	s_waitcnt lgkmcnt(0)
	s_abs_i32 s1, s3
	v_cvt_f32_u32_e32 v1, s1
	s_sub_i32 s8, 0, s1
	s_abs_i32 s7, s21
	s_xor_b32 s6, s21, s3
	v_rcp_iflag_f32_e32 v1, v1
	s_ashr_i32 s6, s6, 31
	v_cvt_f32_ubyte0_e32 v3, 0
	v_mul_f32_e32 v1, 0x4f7ffffe, v1
	v_cvt_u32_f32_e32 v1, v1
	v_readfirstlane_b32 s9, v1
	s_mul_i32 s8, s8, s9
	s_mul_hi_u32 s8, s9, s8
	s_add_i32 s9, s9, s8
	s_mul_hi_u32 s8, s7, s9
	s_mul_i32 s9, s8, s1
	s_sub_i32 s7, s7, s9
	s_add_i32 s10, s8, 1
	s_sub_i32 s9, s7, s1
	s_cmp_ge_u32 s7, s1
	s_cselect_b32 s8, s10, s8
	s_cselect_b32 s7, s9, s7
	s_add_i32 s9, s8, 1
	s_cmp_ge_u32 s7, s1
	s_cselect_b32 s1, s9, s8
	s_add_i32 s2, s2, 63
	s_xor_b32 s1, s1, s6
	s_ashr_i32 s7, s2, 31
	s_sub_i32 s33, s1, s6
	s_lshr_b32 s1, s7, 26
	s_add_i32 s2, s2, s1
	s_add_i32 s1, s20, 15
	s_lshr_b32 s6, s1, 4
	s_add_i32 s1, s33, 1
	s_ashr_i32 s92, s2, 6
	s_lshr_b32 s2, s1, 31
	s_add_i32 s1, s1, s2
	s_ashr_i32 s1, s1, 1
	v_writelane_b32 v234, s6, 0
	s_mul_i32 s2, s6, s92
	v_writelane_b32 v234, s2, 1
	s_mul_i32 s1, s2, s1
	;; [unrolled: 2-line block ×3, first 2 shown]
	s_mul_i32 s6, s1, s22
	s_ashr_i32 s7, s6, 31
	v_cvt_f32_u32_e32 v1, s29
	v_writelane_b32 v234, s1, 3
	s_mul_i32 s1, s7, s19
	s_mul_hi_u32 s2, s6, s19
	s_add_i32 s1, s2, s1
	s_mul_i32 s8, s6, s19
	s_cmp_lg_u64 s[0:1], 0
	s_cbranch_scc0 .LBB19_2
; %bb.1:
	v_madmk_f32 v2, v3, 0x4f800000, v1
	v_rcp_f32_e32 v2, v2
	s_sub_u32 s0, 0, s29
	s_subb_u32 s9, 0, 0
	s_mov_b64 s[2:3], 0
	v_mul_f32_e32 v2, 0x5f7ffffc, v2
	v_mul_f32_e32 v4, 0x2f800000, v2
	v_trunc_f32_e32 v4, v4
	v_madmk_f32 v2, v4, 0xcf800000, v2
	v_cvt_u32_f32_e32 v4, v4
	v_cvt_u32_f32_e32 v2, v2
	v_readfirstlane_b32 s10, v4
	v_readfirstlane_b32 s11, v2
	s_mul_hi_u32 s13, s0, s11
	s_mul_i32 s14, s0, s10
	s_mul_i32 s12, s9, s11
	s_add_i32 s13, s13, s14
	s_add_i32 s13, s13, s12
	s_mul_i32 s15, s0, s11
	s_mul_hi_u32 s12, s11, s13
	s_mul_i32 s14, s11, s13
	s_mul_hi_u32 s11, s11, s15
	s_add_u32 s11, s11, s14
	s_addc_u32 s12, 0, s12
	s_mul_hi_u32 s16, s10, s15
	s_mul_i32 s15, s10, s15
	s_add_u32 s11, s11, s15
	s_mul_hi_u32 s14, s10, s13
	s_addc_u32 s11, s12, s16
	s_addc_u32 s12, s14, 0
	s_mul_i32 s13, s10, s13
	s_add_u32 s11, s11, s13
	s_addc_u32 s12, 0, s12
	v_add_co_u32_e32 v2, vcc, s11, v2
	s_cmp_lg_u64 vcc, 0
	s_addc_u32 s10, s10, s12
	v_readfirstlane_b32 s12, v2
	s_mul_i32 s11, s0, s10
	s_mul_hi_u32 s13, s0, s12
	s_add_i32 s11, s13, s11
	s_mul_i32 s9, s9, s12
	s_add_i32 s11, s11, s9
	s_mul_i32 s0, s0, s12
	s_mul_hi_u32 s13, s10, s0
	s_mul_i32 s14, s10, s0
	s_mul_i32 s16, s12, s11
	s_mul_hi_u32 s0, s12, s0
	s_mul_hi_u32 s15, s12, s11
	s_add_u32 s0, s0, s16
	s_addc_u32 s12, 0, s15
	s_add_u32 s0, s0, s14
	s_mul_hi_u32 s9, s10, s11
	s_addc_u32 s0, s12, s13
	s_addc_u32 s9, s9, 0
	s_mul_i32 s11, s10, s11
	s_add_u32 s0, s0, s11
	s_addc_u32 s9, 0, s9
	v_add_co_u32_e32 v2, vcc, s0, v2
	s_cmp_lg_u64 vcc, 0
	s_addc_u32 s9, s10, s9
	s_ashr_i32 s10, s1, 31
	s_add_u32 s0, s8, s10
	s_mov_b32 s11, s10
	s_addc_u32 s1, s1, s10
	s_xor_b64 s[0:1], s[0:1], s[10:11]
	v_readfirstlane_b32 s14, v2
	s_mul_i32 s13, s0, s9
	s_mul_hi_u32 s15, s0, s14
	s_mul_hi_u32 s12, s0, s9
	s_add_u32 s13, s15, s13
	s_addc_u32 s12, 0, s12
	s_mul_hi_u32 s16, s1, s14
	s_mul_i32 s14, s1, s14
	s_add_u32 s13, s13, s14
	s_mul_hi_u32 s15, s1, s9
	s_addc_u32 s12, s12, s16
	s_addc_u32 s13, s15, 0
	s_mul_i32 s9, s1, s9
	s_add_u32 s9, s12, s9
	s_addc_u32 s12, 0, s13
	s_add_u32 s13, s9, 1
	s_addc_u32 s14, s12, 0
	s_add_u32 s15, s9, 2
	s_mul_i32 s17, s29, s12
	s_mul_hi_u32 s18, s29, s9
	s_addc_u32 s16, s12, 0
	s_add_i32 s18, s18, s17
	s_mul_i32 s17, s29, s9
	v_mov_b32_e32 v2, s17
	v_sub_co_u32_e32 v2, vcc, s0, v2
	s_cmp_lg_u64 vcc, 0
	s_subb_u32 s0, s1, s18
	v_subrev_co_u32_e32 v4, vcc, s29, v2
	s_cmp_lg_u64 vcc, 0
	s_subb_u32 s1, s0, 0
	v_readfirstlane_b32 s17, v4
	s_cmp_ge_u32 s17, s29
	s_cselect_b32 s17, -1, 0
	s_cmp_eq_u32 s1, 0
	s_cselect_b32 s1, s17, -1
	s_cmp_lg_u32 s1, 0
	s_cselect_b32 s1, s16, s14
	v_readfirstlane_b32 s14, v2
	s_cselect_b32 s13, s15, s13
	s_cmp_ge_u32 s14, s29
	s_cselect_b32 s14, -1, 0
	s_cmp_eq_u32 s0, 0
	s_cselect_b32 s0, s14, -1
	s_cmp_lg_u32 s0, 0
	s_cselect_b32 s1, s1, s12
	s_cselect_b32 s0, s13, s9
	s_xor_b64 s[0:1], s[0:1], s[10:11]
	s_sub_u32 s60, s0, s10
	s_branch .LBB19_3
.LBB19_2:
	s_mov_b64 s[2:3], -1
                                        ; implicit-def: $sgpr60_sgpr61
.LBB19_3:
	s_load_dwordx2 s[0:1], s[4:5], 0x74
	v_cvt_f32_u32_e32 v2, s29
	s_andn2_b64 vcc, exec, s[2:3]
	s_waitcnt lgkmcnt(0)
	v_writelane_b32 v234, s0, 4
	v_writelane_b32 v234, s1, 5
	s_cbranch_vccnz .LBB19_5
; %bb.4:
	v_rcp_iflag_f32_e32 v4, v2
	s_sub_i32 s0, 0, s29
	v_mul_f32_e32 v4, 0x4f7ffffe, v4
	v_cvt_u32_f32_e32 v4, v4
	v_readfirstlane_b32 s1, v4
	s_mul_i32 s0, s0, s1
	s_mul_hi_u32 s0, s1, s0
	s_add_i32 s1, s1, s0
	s_mul_hi_u32 s0, s8, s1
	s_mul_i32 s2, s0, s29
	s_sub_i32 s2, s8, s2
	s_add_i32 s1, s0, 1
	s_sub_i32 s3, s2, s29
	s_cmp_ge_u32 s2, s29
	s_cselect_b32 s0, s1, s0
	s_cselect_b32 s2, s3, s2
	s_add_i32 s1, s0, 1
	s_cmp_ge_u32 s2, s29
	s_cselect_b32 s60, s1, s0
.LBB19_5:
	s_add_i32 s0, s19, 1
	s_mul_i32 s1, s7, s0
	s_mul_hi_u32 s2, s6, s0
	s_add_i32 s3, s2, s1
	s_mov_b32 s2, 0
	s_cmp_lg_u64 s[2:3], 0
	s_mul_i32 s2, s6, s0
	s_cbranch_scc0 .LBB19_280
; %bb.6:
	v_madmk_f32 v1, v3, 0x4f800000, v1
	v_rcp_f32_e32 v1, v1
	s_sub_u32 s6, 0, s29
	s_subb_u32 s7, 0, 0
	v_mul_f32_e32 v1, 0x5f7ffffc, v1
	v_mul_f32_e32 v3, 0x2f800000, v1
	v_trunc_f32_e32 v3, v3
	v_madmk_f32 v1, v3, 0xcf800000, v1
	v_cvt_u32_f32_e32 v3, v3
	v_cvt_u32_f32_e32 v1, v1
	v_readfirstlane_b32 s8, v3
	v_readfirstlane_b32 s9, v1
	s_mul_hi_u32 s11, s6, s9
	s_mul_i32 s12, s6, s8
	s_mul_i32 s10, s7, s9
	s_add_i32 s11, s11, s12
	s_add_i32 s11, s11, s10
	s_mul_i32 s13, s6, s9
	s_mul_hi_u32 s10, s9, s11
	s_mul_i32 s12, s9, s11
	s_mul_hi_u32 s9, s9, s13
	s_add_u32 s9, s9, s12
	s_addc_u32 s10, 0, s10
	s_mul_hi_u32 s14, s8, s13
	s_mul_i32 s13, s8, s13
	s_add_u32 s9, s9, s13
	s_mul_hi_u32 s12, s8, s11
	s_addc_u32 s9, s10, s14
	s_addc_u32 s10, s12, 0
	s_mul_i32 s11, s8, s11
	s_add_u32 s9, s9, s11
	s_addc_u32 s10, 0, s10
	v_add_co_u32_e32 v1, vcc, s9, v1
	s_cmp_lg_u64 vcc, 0
	s_addc_u32 s8, s8, s10
	v_readfirstlane_b32 s10, v1
	s_mul_i32 s9, s6, s8
	s_mul_hi_u32 s11, s6, s10
	s_add_i32 s9, s11, s9
	s_mul_i32 s7, s7, s10
	s_add_i32 s9, s9, s7
	s_mul_i32 s6, s6, s10
	s_mul_hi_u32 s11, s8, s6
	s_mul_i32 s12, s8, s6
	s_mul_i32 s14, s10, s9
	s_mul_hi_u32 s6, s10, s6
	s_mul_hi_u32 s13, s10, s9
	s_add_u32 s6, s6, s14
	s_addc_u32 s10, 0, s13
	s_add_u32 s6, s6, s12
	s_mul_hi_u32 s7, s8, s9
	s_addc_u32 s6, s10, s11
	s_addc_u32 s7, s7, 0
	s_mul_i32 s9, s8, s9
	s_add_u32 s6, s6, s9
	s_addc_u32 s7, 0, s7
	v_add_co_u32_e32 v1, vcc, s6, v1
	s_cmp_lg_u64 vcc, 0
	s_addc_u32 s10, s8, s7
	s_ashr_i32 s6, s3, 31
	s_add_u32 s8, s2, s6
	s_mov_b32 s7, s6
	s_addc_u32 s9, s3, s6
	s_xor_b64 s[8:9], s[8:9], s[6:7]
	v_readfirstlane_b32 s12, v1
	s_mul_i32 s11, s8, s10
	s_mul_hi_u32 s13, s8, s12
	s_mul_hi_u32 s3, s8, s10
	s_add_u32 s11, s13, s11
	s_addc_u32 s3, 0, s3
	s_mul_hi_u32 s14, s9, s12
	s_mul_i32 s12, s9, s12
	s_add_u32 s11, s11, s12
	s_mul_hi_u32 s13, s9, s10
	s_addc_u32 s3, s3, s14
	s_addc_u32 s11, s13, 0
	s_mul_i32 s10, s9, s10
	s_add_u32 s3, s3, s10
	s_addc_u32 s10, 0, s11
	s_add_u32 s11, s3, 1
	s_addc_u32 s12, s10, 0
	s_add_u32 s13, s3, 2
	s_mul_i32 s15, s29, s10
	s_mul_hi_u32 s16, s29, s3
	s_addc_u32 s14, s10, 0
	s_add_i32 s16, s16, s15
	s_mul_i32 s15, s29, s3
	v_mov_b32_e32 v1, s15
	v_sub_co_u32_e32 v1, vcc, s8, v1
	s_cmp_lg_u64 vcc, 0
	s_subb_u32 s8, s9, s16
	v_subrev_co_u32_e32 v3, vcc, s29, v1
	s_cmp_lg_u64 vcc, 0
	s_subb_u32 s9, s8, 0
	v_readfirstlane_b32 s15, v3
	s_cmp_ge_u32 s15, s29
	s_cselect_b32 s15, -1, 0
	s_cmp_eq_u32 s9, 0
	s_cselect_b32 s9, s15, -1
	s_cmp_lg_u32 s9, 0
	s_cselect_b32 s9, s14, s12
	v_readfirstlane_b32 s12, v1
	s_cselect_b32 s11, s13, s11
	s_cmp_ge_u32 s12, s29
	s_cselect_b32 s12, -1, 0
	s_cmp_eq_u32 s8, 0
	s_cselect_b32 s8, s12, -1
	s_cmp_lg_u32 s8, 0
	s_cselect_b32 s9, s9, s10
	s_cselect_b32 s8, s11, s3
	s_xor_b64 s[8:9], s[8:9], s[6:7]
	s_sub_u32 s64, s8, s6
	s_load_dwordx2 s[30:31], s[4:5], 0x5c
	s_cbranch_execnz .LBB19_8
.LBB19_7:
	v_rcp_iflag_f32_e32 v1, v2
	s_sub_i32 s0, 0, s29
	v_mul_f32_e32 v1, 0x4f7ffffe, v1
	v_cvt_u32_f32_e32 v1, v1
	v_readfirstlane_b32 s1, v1
	s_mul_i32 s0, s0, s1
	s_mul_hi_u32 s0, s1, s0
	s_add_i32 s1, s1, s0
	s_mul_hi_u32 s0, s2, s1
	s_mul_i32 s3, s0, s29
	s_sub_i32 s2, s2, s3
	s_add_i32 s1, s0, 1
	s_sub_i32 s3, s2, s29
	s_cmp_ge_u32 s2, s29
	s_cselect_b32 s0, s1, s0
	s_cselect_b32 s2, s3, s2
	s_add_i32 s1, s0, 1
	s_cmp_ge_u32 s2, s29
	s_cselect_b32 s64, s1, s0
.LBB19_8:
	s_abs_i32 s93, s92
	v_cvt_f32_u32_e32 v1, s93
	s_load_dwordx16 s[36:51], s[4:5], 0x0
	s_load_dword s6, s[4:5], 0x40
	s_load_dwordx2 s[2:3], s[4:5], 0x8c
	s_load_dwordx4 s[24:27], s[4:5], 0x98
	s_load_dwordx2 s[0:1], s[4:5], 0xa8
	s_load_dwordx2 s[12:13], s[4:5], 0xb8
	;; [unrolled: 1-line block ×3, first 2 shown]
	s_ashr_i32 s61, s23, 3
	v_rcp_iflag_f32_e32 v1, v1
	s_waitcnt lgkmcnt(0)
	s_ashr_i32 s28, s2, 2
	v_writelane_b32 v234, s0, 6
	v_writelane_b32 v234, s1, 7
	v_mul_f32_e32 v1, 0x4f7ffffe, v1
	v_cvt_u32_f32_e32 v1, v1
	v_readlane_b32 s0, v234, 4
	v_readlane_b32 s1, v234, 5
	s_mov_b32 s1, s3
	s_sub_i32 s2, 0, s93
	v_readfirstlane_b32 s56, v1
	s_ashr_i32 s16, s0, 3
	v_writelane_b32 v234, s0, 8
	s_mul_i32 s2, s2, s56
	v_writelane_b32 v234, s1, 9
	s_ashr_i32 s1, s92, 31
	s_mul_hi_u32 s2, s56, s2
	v_writelane_b32 v234, s1, 10
	s_abs_i32 s1, s60
	s_add_i32 s56, s56, s2
	s_mul_hi_u32 s2, s1, s56
	s_mul_i32 s2, s2, s93
	s_sub_i32 s1, s1, s2
	s_ashr_i32 s34, s13, 1
	s_ashr_i32 s22, s26, 2
	;; [unrolled: 1-line block ×3, first 2 shown]
	s_sub_i32 s2, s1, s93
	s_cmp_ge_u32 s1, s93
	s_cselect_b32 s1, s2, s1
	s_sub_i32 s2, s1, s93
	s_cmp_ge_u32 s1, s93
	s_cselect_b32 s1, s2, s1
	s_xor_b32 s1, s1, s0
	s_sub_i32 s53, s1, s0
	s_sub_i32 s0, s64, s60
	s_add_i32 s2, s0, s53
	s_min_i32 s57, s92, s2
	s_cmp_gt_i32 s64, s60
	s_cselect_b64 s[10:11], -1, 0
	s_cmp_le_i32 s64, s60
	v_cvt_f16_f32_e32 v1, s6
	s_cselect_b64 s[0:1], -1, 0
	s_cmp_gt_i32 s92, s2
	s_cselect_b64 s[2:3], -1, 0
	s_or_b64 s[0:1], s[2:3], s[0:1]
	v_bfe_u32 v57, v0, 10, 10
	s_mov_b32 s67, 0
	s_and_b64 vcc, exec, s[0:1]
	v_pack_b32_f16 v47, v1, v1
	v_lshlrev_b32_e32 v55, 1, v57
	v_lshlrev_b32_e32 v53, 2, v57
	v_lshlrev_b32_e32 v81, 3, v57
	v_lshlrev_b32_e32 v61, 4, v57
	v_and_b32_e32 v83, 1, v57
	s_cbranch_vccz .LBB19_11
; %bb.9:
	s_andn2_b64 vcc, exec, s[10:11]
	s_cbranch_vccz .LBB19_248
.LBB19_10:
	s_endpgm
.LBB19_11:
	v_and_b32_e32 v1, 0x3ff, v0
	v_lshrrev_b32_e32 v2, 3, v1
	v_and_b32_e32 v14, 15, v1
	v_and_b32_e32 v5, 30, v2
	v_mul_u32_u24_e32 v4, 0xf0, v14
	v_lshlrev_b32_e32 v8, 2, v5
	s_cmp_eq_u64 s[44:45], 0
	v_add3_u32 v49, 0, v4, v8
	v_lshrrev_b32_e32 v4, 1, v1
	v_lshlrev_b32_e32 v10, 2, v1
	v_writelane_b32 v234, s29, 11
	s_cselect_b64 s[0:1], -1, 0
	s_movk_i32 s2, 0xf0
	v_lshl_add_u32 v8, v57, 5, v4
	v_and_b32_e32 v16, 4, v10
	v_writelane_b32 v234, s0, 12
	s_cmp_lg_u64 s[46:47], 0
	v_mad_u32_u24 v9, v8, s2, 0
	v_lshlrev_b32_e32 v11, 2, v16
	s_movk_i32 s4, 0xc0
	v_writelane_b32 v234, s1, 13
	s_cselect_b64 s[0:1], -1, 0
	v_and_b32_e32 v7, 0x7f0, v81
	v_add3_u32 v51, v9, v11, s4
	v_lshrrev_b32_e32 v9, 2, v1
	v_writelane_b32 v234, s0, 14
	v_and_b32_e32 v17, 16, v61
	v_and_b32_e32 v18, 60, v9
	v_and_or_b32 v20, v1, 14, v7
	v_writelane_b32 v234, s1, 15
	s_movk_i32 s0, 0x90
	v_lshrrev_b32_e32 v20, 1, v20
	v_add_u16_e32 v21, v18, v17
	v_add_u32_e32 v19, v18, v17
	v_mad_u32_u24 v20, v20, s0, 0
	v_lshrrev_b16_e32 v21, 1, v21
	v_lshl_add_u32 v85, v21, 2, v20
	v_lshl_add_u32 v19, v19, 1, v20
	v_mul_u32_u24_e32 v20, 0x78, v18
	v_and_b32_e32 v22, 8, v81
	s_movk_i32 s0, 0x1e0
	v_add_u32_e32 v12, v61, v9
	v_or_b32_e32 v9, 3, v9
	v_mul_u32_u24_e32 v21, 0xf0, v18
	v_or_b32_e32 v20, v20, v14
	v_mul_u32_u24_e32 v23, 0x1e0, v22
	v_mad_u32_u24 v24, v22, s0, 0
	v_lshlrev_b32_e32 v25, 1, v14
	v_mul_u32_u24_e32 v9, 0xf0, v9
	v_lshlrev_b32_e32 v20, 1, v20
	v_add3_u32 v89, v24, v21, v25
	v_add3_u32 v21, 0, 32, v23
	v_add_u32_e32 v87, v24, v20
	v_add3_u32 v91, v24, v9, v25
	v_add_u32_e32 v100, v21, v20
	v_mad_u32_u24 v24, v18, s2, v21
	v_add3_u32 v102, v21, v9, v25
	v_add3_u32 v21, 0, 64, v23
	s_add_i32 s3, 0, 0x60
	v_add_u32_e32 v103, v21, v20
	v_mad_u32_u24 v23, v18, s2, v21
	v_add3_u32 v105, v21, v9, v25
	v_mov_b32_e32 v21, s3
	s_movk_i32 s1, 0x1e00
	v_mad_u32_u24 v21, v22, s0, v21
	s_add_i32 s3, 0, 0x80
	v_add3_u32 v104, v23, v25, s1
	v_add_u32_e32 v106, v21, v20
	v_mad_u32_u24 v23, v18, s2, v21
	v_add3_u32 v108, v21, v9, v25
	v_mov_b32_e32 v21, s3
	v_mad_u32_u24 v21, v22, s0, v21
	s_add_i32 s3, 0, 0xa0
	v_add3_u32 v107, v23, v25, s1
	v_add_u32_e32 v109, v21, v20
	v_mad_u32_u24 v23, v18, s2, v21
	v_add3_u32 v111, v21, v9, v25
	v_mov_b32_e32 v21, s3
	;; [unrolled: 7-line block ×3, first 2 shown]
	v_mad_u32_u24 v21, v22, s0, v21
	v_mad_u32_u24 v18, v18, s2, v21
	s_lshl_b32 s66, s19, 5
	s_ashr_i32 s35, s34, 31
	s_ashr_i32 s29, s28, 31
	s_ashr_i32 s23, s22, 31
	v_add3_u32 v101, v24, v25, s1
	v_add3_u32 v113, v23, v25, s1
	;; [unrolled: 1-line block ×3, first 2 shown]
	v_and_b32_e32 v18, 12, v10
	s_lshl_b64 s[0:1], s[66:67], 3
	v_add_u32_e32 v6, v81, v2
	v_mad_u32_u24 v13, v12, s2, 0
	s_movk_i32 s63, 0x80
	v_add_u32_e32 v115, v21, v20
	v_add3_u32 v117, v21, v9, v25
	v_lshlrev_b32_e32 v9, 2, v18
	v_and_b32_e32 v20, 28, v10
	s_add_u32 s0, s50, s0
	v_or_b32_e32 v10, v81, v1
	v_mul_u32_u24_e32 v15, 0xf0, v6
	v_add3_u32 v118, v13, v9, s63
	v_lshlrev_b32_e32 v9, 2, v20
	s_addc_u32 s1, s51, s1
	v_lshlrev_b32_e32 v10, 3, v10
	v_lshrrev_b32_e32 v3, 5, v1
	v_add3_u32 v119, 0, v15, v9
	v_add_u32_e32 v9, 0, v11
	v_mov_b32_e32 v11, s1
	v_add_co_u32_e32 v22, vcc, s0, v10
	v_mul_u32_u24_e32 v4, 0xf0, v8
	v_addc_co_u32_e32 v23, vcc, 0, v11, vcc
	v_add_u32_e32 v11, v3, v57
	v_or_b32_e32 v10, v61, v14
	v_add3_u32 v120, v9, v4, s4
	v_add_u32_e32 v9, 4, v11
	v_mad_u32_u24 v10, v10, 60, v5
	v_lshlrev_b32_e32 v4, 1, v9
	v_and_b32_e32 v5, 15, v9
	s_movk_i32 s0, 0x7e0
	v_add_u32_e32 v15, 8, v11
	v_and_or_b32 v13, v4, s0, v5
	v_lshlrev_b32_e32 v4, 1, v15
	v_and_b32_e32 v5, 15, v15
	v_add_u32_e32 v27, 12, v11
	v_and_or_b32 v21, v4, s0, v5
	v_lshlrev_b32_e32 v4, 1, v27
	v_and_b32_e32 v5, 15, v27
	v_and_or_b32 v33, v4, s0, v5
	s_movk_i32 s1, 0x3e0
	v_lshlrev_b32_e32 v4, 1, v11
	v_and_b32_e32 v5, 15, v11
	v_add_u32_e32 v48, 16, v11
	v_and_or_b32 v45, v4, s1, v5
	v_lshlrev_b32_e32 v4, 1, v48
	v_add_u32_e32 v52, 20, v11
	v_and_or_b32 v50, v4, s0, v5
	v_lshlrev_b32_e32 v4, 1, v52
	v_and_b32_e32 v5, 15, v52
	v_add_u32_e32 v56, 24, v11
	v_and_or_b32 v54, v4, s0, v5
	v_lshlrev_b32_e32 v4, 1, v56
	v_and_b32_e32 v5, 15, v56
	;; [unrolled: 4-line block ×3, first 2 shown]
	v_lshrrev_b32_e32 v62, 4, v1
	v_and_or_b32 v60, v4, s0, v5
	v_add_u32_e32 v4, v62, v55
	v_add_u32_e32 v63, 8, v4
	s_movk_i32 s1, 0xfe0
	v_lshlrev_b32_e32 v5, 1, v63
	v_and_b32_e32 v24, 15, v63
	v_and_or_b32 v64, v5, s1, v24
	v_lshlrev_b32_e32 v5, 1, v4
	v_and_b32_e32 v24, 15, v4
	v_add_u32_e32 v66, 16, v4
	v_and_or_b32 v65, v5, s0, v24
	v_lshlrev_b32_e32 v5, 1, v66
	v_add_u32_e32 v68, 24, v4
	v_writelane_b32 v234, s19, 16
	v_and_or_b32 v67, v5, s1, v24
	v_lshlrev_b32_e32 v4, 1, v68
	v_and_b32_e32 v5, 15, v68
	v_and_or_b32 v69, v4, s1, v5
	v_add_u32_e32 v4, v2, v53
	v_readlane_b32 s8, v234, 3
	v_lshlrev_b32_e32 v5, 1, v4
	v_and_b32_e32 v24, 15, v4
	s_abs_i32 s94, s8
	v_and_or_b32 v70, v5, s1, v24
	v_cvt_f32_u32_e32 v5, s94
	v_readlane_b32 s10, v234, 2
	s_abs_i32 s95, s10
	v_cvt_f32_u32_e32 v25, s95
	v_rcp_iflag_f32_e32 v5, v5
	v_add_u32_e32 v71, 16, v4
	s_movk_i32 s0, 0x1fe0
	v_lshlrev_b32_e32 v4, 1, v71
	v_readlane_b32 s9, v234, 1
	v_and_or_b32 v72, v4, s0, v24
	v_mul_f32_e32 v4, 0x4f7ffffe, v5
	s_abs_i32 s62, s9
	s_abs_i32 s65, s12
	v_cvt_u32_f32_e32 v4, v4
	v_rcp_iflag_f32_e32 v5, v25
	v_cvt_f32_u32_e32 v24, s62
	v_cvt_f32_u32_e32 v25, s65
	v_readfirstlane_b32 s5, v4
	s_mov_b32 s0, s12
	v_rcp_iflag_f32_e32 v4, v24
	v_rcp_iflag_f32_e32 v24, v25
	v_writelane_b32 v234, s0, 17
	v_mul_f32_e32 v5, 0x4f7ffffe, v5
	v_mul_f32_e32 v4, 0x4f7ffffe, v4
	;; [unrolled: 1-line block ×3, first 2 shown]
	v_cvt_u32_f32_e32 v4, v4
	v_cvt_u32_f32_e32 v24, v24
	v_writelane_b32 v234, s1, 18
	v_cvt_u32_f32_e32 v5, v5
	s_sub_i32 s0, 0, s65
	v_readfirstlane_b32 s6, v4
	v_mul_lo_u32 v4, s0, v24
	v_mul_hi_u32 v4, v24, v4
	v_add_u32_e32 v121, v24, v4
	v_mul_lo_u32 v4, s22, v8
	v_readfirstlane_b32 s7, v5
	v_ashrrev_i32_e32 v5, 31, v4
	v_and_b32_e32 v26, 1, v1
	v_lshlrev_b64 v[24:25], 2, v[4:5]
	v_lshlrev_b32_e32 v38, 4, v26
	v_add_co_u32_e32 v4, vcc, v38, v24
	v_addc_co_u32_e32 v5, vcc, 0, v25, vcc
	v_mov_b32_e32 v28, s41
	v_add_co_u32_e32 v73, vcc, s40, v4
	v_mul_lo_u32 v4, s22, v12
	v_addc_co_u32_e32 v74, vcc, v5, v28, vcc
	v_ashrrev_i32_e32 v5, 31, v4
	v_and_b32_e32 v28, 3, v1
	v_lshlrev_b32_e32 v40, 4, v28
	v_lshlrev_b64 v[28:29], 2, v[4:5]
	v_add_co_u32_e32 v4, vcc, v40, v28
	v_addc_co_u32_e32 v5, vcc, 0, v29, vcc
	v_mov_b32_e32 v30, s41
	v_add_co_u32_e32 v75, vcc, s40, v4
	v_mul_lo_u32 v4, s22, v6
	v_addc_co_u32_e32 v76, vcc, v5, v30, vcc
	v_ashrrev_i32_e32 v5, 31, v4
	v_and_b32_e32 v32, 7, v1
	v_lshlrev_b64 v[30:31], 2, v[4:5]
	v_lshlrev_b32_e32 v44, 4, v32
	v_add_co_u32_e32 v4, vcc, v44, v30
	v_addc_co_u32_e32 v5, vcc, 0, v31, vcc
	v_add_co_u32_e32 v122, vcc, s40, v4
	v_add_u32_e32 v4, 32, v6
	v_mov_b32_e32 v34, s41
	v_mul_lo_u32 v4, s22, v4
	v_addc_co_u32_e32 v123, vcc, v34, v5, vcc
	v_ashrrev_i32_e32 v5, 31, v4
	v_lshlrev_b64 v[34:35], 2, v[4:5]
	v_add_co_u32_e32 v4, vcc, v44, v34
	v_addc_co_u32_e32 v5, vcc, 0, v35, vcc
	v_mov_b32_e32 v36, s41
	v_add_co_u32_e32 v124, vcc, s40, v4
	v_mul_lo_u32 v4, s28, v8
	v_addc_co_u32_e32 v125, vcc, v36, v5, vcc
	v_ashrrev_i32_e32 v5, 31, v4
	v_lshlrev_b64 v[36:37], 2, v[4:5]
	v_add_co_u32_e32 v4, vcc, v38, v36
	v_addc_co_u32_e32 v5, vcc, 0, v37, vcc
	v_cmp_gt_u32_e64 s[0:1], 64, v8
	v_mov_b32_e32 v8, s39
	v_add_co_u32_e32 v77, vcc, s38, v4
	v_mul_lo_u32 v4, s28, v12
	v_addc_co_u32_e32 v8, vcc, v5, v8, vcc
	v_ashrrev_i32_e32 v5, 31, v4
	v_lshlrev_b64 v[38:39], 2, v[4:5]
	v_add_co_u32_e32 v4, vcc, v40, v38
	v_addc_co_u32_e32 v5, vcc, 0, v39, vcc
	v_mov_b32_e32 v12, s39
	v_add_co_u32_e32 v78, vcc, s38, v4
	v_mul_lo_u32 v4, s28, v6
	v_addc_co_u32_e32 v12, vcc, v5, v12, vcc
	v_ashrrev_i32_e32 v5, 31, v4
	v_lshlrev_b64 v[40:41], 2, v[4:5]
	v_add_co_u32_e32 v5, vcc, v44, v40
	v_addc_co_u32_e32 v42, vcc, 0, v41, vcc
	v_lshl_add_u32 v4, s28, 5, v4
	v_mov_b32_e32 v43, s39
	v_add_co_u32_e32 v126, vcc, s38, v5
	v_ashrrev_i32_e32 v5, 31, v4
	v_addc_co_u32_e32 v127, vcc, v43, v42, vcc
	v_lshlrev_b64 v[42:43], 2, v[4:5]
	v_cmp_eq_u32_e64 s[12:13], 1, v83
	v_add_co_u32_e32 v4, vcc, v44, v42
	v_writelane_b32 v234, s12, 19
	v_addc_co_u32_e32 v5, vcc, 0, v43, vcc
	v_writelane_b32 v234, s13, 20
	v_cmp_gt_u32_e64 s[12:13], 16, v1
	v_add_co_u32_e32 v128, vcc, s38, v4
	v_add_u16_e32 v4, v81, v2
	v_writelane_b32 v234, s12, 21
	v_mov_b32_e32 v44, s39
	v_lshrrev_b16_e32 v130, 1, v4
	v_mad_u32_u24 v4, v6, 60, v32
	v_writelane_b32 v234, s13, 22
	v_cmp_gt_u32_e64 s[12:13], 32, v1
	v_addc_co_u32_e32 v129, vcc, v44, v5, vcc
	v_lshl_add_u32 v131, v4, 2, 0
	v_add_u32_e32 v4, v61, v1
	v_and_b32_e32 v44, 31, v1
	v_writelane_b32 v234, s12, 23
	v_mul_u32_u24_e32 v136, 0xf0, v4
	v_add_u32_e32 v4, v61, v44
	v_writelane_b32 v234, s13, 24
	s_ashr_i32 s8, s8, 31
	v_mul_u32_u24_e32 v137, 0xf0, v4
	v_add_u16_e32 v4, v3, v55
	v_writelane_b32 v234, s8, 25
	s_sub_i32 s8, 0, s94
	v_lshrrev_b16_e32 v139, 1, v4
	v_lshlrev_b32_e32 v4, 1, v1
	s_mul_i32 s8, s8, s5
	v_add_u32_e32 v140, v3, v55
	v_and_b32_e32 v46, 62, v4
	v_add_u16_e32 v3, v3, v57
	s_mul_hi_u32 s8, s5, s8
	v_lshl_add_u32 v141, v46, 1, 0
	v_lshrrev_b16_e32 v148, 1, v3
	v_mul_u32_u24_e32 v3, 60, v45
	s_add_i32 s5, s5, s8
	v_lshl_add_u32 v150, v3, 2, v141
	v_mul_u32_u24_e32 v3, 60, v13
	v_writelane_b32 v234, s5, 26
	s_ashr_i32 s5, s10, 31
	v_lshl_add_u32 v153, v3, 2, v141
	v_mul_u32_u24_e32 v3, 60, v21
	v_writelane_b32 v234, s5, 27
	s_sub_i32 s5, 0, s95
	v_lshl_add_u32 v156, v3, 2, v141
	v_mul_u32_u24_e32 v3, 60, v33
	s_mul_i32 s5, s5, s7
	v_lshl_add_u32 v159, v3, 2, v141
	v_mul_u32_u24_e32 v3, 60, v50
	s_mul_hi_u32 s5, s7, s5
	v_lshl_add_u32 v162, v3, 2, v141
	v_mul_u32_u24_e32 v3, 60, v54
	s_add_i32 s5, s7, s5
	v_lshl_add_u32 v165, v3, 2, v141
	v_mul_u32_u24_e32 v3, 60, v58
	v_writelane_b32 v234, s5, 28
	s_ashr_i32 s5, s9, 31
	v_add_co_u32_e32 v190, vcc, s4, v73
	v_mul_u32_u24_e32 v4, 60, v140
	v_lshl_add_u32 v168, v3, 2, v141
	v_mul_u32_u24_e32 v3, 60, v60
	v_writelane_b32 v234, s5, 29
	s_sub_i32 s5, 0, s62
	v_addc_co_u32_e32 v191, vcc, 0, v74, vcc
	v_lshl_add_u32 v142, v4, 2, v141
	v_add_u32_e32 v4, 16, v140
	v_lshl_add_u32 v171, v3, 2, v141
	v_add_u16_e32 v3, v62, v55
	v_add_u16_e32 v2, v2, v53
	s_mul_i32 s5, s5, s6
	v_add_co_u32_e32 v192, vcc, s63, v75
	v_lshrrev_b32_e32 v143, 1, v4
	v_add_u32_e32 v4, 24, v140
	v_lshrrev_b16_e32 v172, 1, v3
	v_mad_u32_u24 v3, v65, 60, v14
	v_lshrrev_b16_e32 v184, 1, v2
	v_mad_u32_u24 v2, v70, 60, v32
	s_mul_hi_u32 s5, s6, s5
	v_addc_co_u32_e32 v193, vcc, 0, v76, vcc
	v_lshrrev_b32_e32 v144, 1, v4
	v_add_u16_e32 v4, v62, v53
	v_lshl_add_u32 v174, v3, 2, 0
	v_mad_u32_u24 v3, v64, 60, v14
	v_lshl_add_u32 v186, v2, 2, 0
	v_mad_u32_u24 v2, v72, 60, v32
	s_add_i32 s5, s6, s5
	v_add_co_u32_e32 v194, vcc, s4, v77
	v_lshrrev_b16_e32 v145, 1, v4
	v_add_u32_e32 v4, v62, v53
	v_lshrrev_b32_e32 v160, 1, v48
	v_lshrrev_b32_e32 v163, 1, v52
	v_lshl_add_u32 v177, v3, 2, 0
	v_mad_u32_u24 v3, v67, 60, v14
	v_lshl_add_u32 v189, v2, 2, 0
	v_writelane_b32 v234, s5, 30
	s_lshl_b64 s[6:7], s[34:35], 1
	v_addc_co_u32_e32 v195, vcc, 0, v8, vcc
	v_mbcnt_lo_u32_b32 v2, -1, 0
	v_bfe_u32 v48, v1, 4, 1
	v_bfe_u32 v52, v1, 3, 1
	v_mad_u32_u24 v5, v4, 60, v14
	v_add_u32_e32 v4, 16, v4
	v_lshl_add_u32 v180, v3, 2, 0
	v_mad_u32_u24 v3, v69, 60, v14
	v_writelane_b32 v234, s6, 31
	v_add_co_u32_e32 v196, vcc, s63, v78
	v_mbcnt_hi_u32_b32 v198, -1, v2
	v_mul_lo_u32 v2, s16, v48
	v_bfe_u32 v199, v1, 5, 1
	v_mul_lo_u32 v1, s16, v52
	v_add_u32_e32 v202, 8, v140
	v_mad_u32_u24 v132, v7, s2, v49
	v_mul_u32_u24_e32 v133, 0xf0, v17
	v_add_u32_e32 v134, 64, v19
	v_add_u32_e32 v135, 0x44, v19
	v_cmp_eq_u32_e64 s[2:3], 0, v83
	v_lshl_add_u32 v138, v10, 2, 0
	v_lshl_add_u32 v146, v5, 2, 0
	v_lshrrev_b32_e32 v147, 1, v4
	v_mul_u32_u24_e32 v149, 0xf0, v45
	v_lshrrev_b32_e32 v151, 1, v9
	v_mul_u32_u24_e32 v152, 0xf0, v13
	;; [unrolled: 2-line block ×4, first 2 shown]
	v_mul_u32_u24_e32 v161, 0xf0, v50
	v_mul_u32_u24_e32 v164, 0xf0, v54
	v_lshrrev_b32_e32 v166, 1, v56
	v_mul_u32_u24_e32 v167, 0xf0, v58
	v_lshrrev_b32_e32 v169, 1, v59
	v_mul_u32_u24_e32 v170, 0xf0, v60
	v_mul_u32_u24_e32 v173, 0xf0, v65
	v_lshrrev_b32_e32 v175, 1, v63
	v_mul_u32_u24_e32 v176, 0xf0, v64
	v_lshrrev_b32_e32 v178, 1, v66
	;; [unrolled: 2-line block ×3, first 2 shown]
	v_mul_u32_u24_e32 v182, 0xf0, v69
	v_lshl_add_u32 v183, v3, 2, 0
	v_mul_u32_u24_e32 v185, 0xf0, v70
	v_lshrrev_b32_e32 v187, 1, v71
	v_mul_u32_u24_e32 v188, 0xf0, v72
	v_writelane_b32 v234, s7, 32
	s_lshl_b64 s[74:75], s[22:23], 8
	s_lshl_b64 s[76:77], s[28:29], 8
	v_addc_co_u32_e32 v197, vcc, 0, v12, vcc
	s_mov_b32 s9, 0x3fb8aa3b
	s_mov_b32 s35, 0xc2ce8ed0
	;; [unrolled: 1-line block ×5, first 2 shown]
	v_add3_u32 v50, v2, v14, 32
	v_mov_b32_e32 v200, 0
	v_add3_u32 v54, v1, v32, 48
	v_mul_u32_u24_e32 v201, 0x90, v140
	v_add_u32_e32 v203, 0x1e00, v89
	v_add_u32_e32 v204, 32, v89
	;; [unrolled: 1-line block ×8, first 2 shown]
	v_and_b32_e32 v56, 1, v11
	v_lshrrev_b32_e32 v211, 1, v202
	v_mov_b32_e32 v212, 0x7f800000
	v_mad_u64_u32 v[58:59], s[4:5], v199, s16, v[44:45]
	v_lshlrev_b32_e32 v60, 2, v44
	v_writelane_b32 v234, s16, 33
	s_branch .LBB19_14
.LBB19_12:                              ;   in Loop: Header=BB19_14 Depth=1
	s_or_b64 exec, exec, s[18:19]
	s_barrier
.LBB19_13:                              ;   in Loop: Header=BB19_14 Depth=1
	s_add_i32 s4, s60, s92
	s_abs_i32 s6, s4
	s_mul_hi_u32 s7, s6, s56
	s_mul_i32 s7, s7, s93
	s_sub_i32 s6, s6, s7
	s_ashr_i32 s5, s4, 31
	s_sub_i32 s7, s6, s93
	s_cmp_ge_u32 s6, s93
	s_cselect_b32 s6, s7, s6
	s_sub_i32 s7, s6, s93
	s_cmp_ge_u32 s6, s93
	s_cselect_b32 s6, s7, s6
	s_xor_b32 s6, s6, s5
	s_sub_i32 s5, s5, s6
	s_add_i32 s60, s4, s5
	s_sub_i32 s4, s64, s60
	s_min_i32 s57, s92, s4
	s_cmp_gt_i32 s64, s60
	s_cselect_b64 s[10:11], -1, 0
	s_cmp_le_i32 s92, s4
	s_cselect_b64 s[4:5], -1, 0
	s_and_b64 s[4:5], s[4:5], s[10:11]
	s_mov_b32 s53, 0
	s_and_b64 vcc, exec, s[4:5]
	s_cbranch_vccz .LBB19_247
.LBB19_14:                              ; =>This Loop Header: Depth=1
                                        ;     Child Loop BB19_165 Depth 2
                                        ;     Child Loop BB19_49 Depth 2
	s_ashr_i32 s4, s60, 31
	v_readlane_b32 s5, v234, 25
	s_xor_b32 s4, s4, s5
	s_abs_i32 s5, s60
	v_readlane_b32 s6, v234, 26
	s_mul_hi_u32 s6, s5, s6
	s_mul_i32 s7, s6, s94
	s_sub_i32 s5, s5, s7
	s_add_i32 s7, s6, 1
	s_sub_i32 s8, s5, s94
	s_cmp_ge_u32 s5, s94
	s_cselect_b32 s6, s7, s6
	s_cselect_b32 s5, s8, s5
	s_add_i32 s7, s6, 1
	s_cmp_ge_u32 s5, s94
	s_cselect_b32 s5, s7, s6
	s_xor_b32 s5, s5, s4
	s_sub_i32 s4, s5, s4
	v_readlane_b32 s5, v234, 3
	s_mul_i32 s5, s4, s5
	s_sub_i32 s5, s60, s5
	s_ashr_i32 s6, s5, 31
	v_readlane_b32 s7, v234, 27
	s_xor_b32 s6, s6, s7
	s_abs_i32 s7, s5
	v_readlane_b32 s8, v234, 28
	s_mul_hi_u32 s8, s7, s8
	s_mul_i32 s10, s8, s95
	s_sub_i32 s7, s7, s10
	s_add_i32 s10, s8, 1
	s_sub_i32 s11, s7, s95
	s_cmp_ge_u32 s7, s95
	s_cselect_b32 s8, s10, s8
	s_cselect_b32 s7, s11, s7
	s_add_i32 s10, s8, 1
	s_cmp_ge_u32 s7, s95
	s_cselect_b32 s7, s10, s8
	s_xor_b32 s7, s7, s6
	s_sub_i32 s12, s7, s6
	v_readlane_b32 s6, v234, 2
	s_mul_i32 s6, s12, s6
	s_sub_i32 s6, s5, s6
	;; [unrolled: 21-line block ×3, first 2 shown]
	s_ashr_i32 s7, s6, 31
	v_readlane_b32 s8, v234, 10
	s_abs_i32 s6, s6
	s_xor_b32 s7, s7, s8
	s_mul_hi_u32 s8, s6, s56
	s_mul_i32 s10, s8, s93
	s_sub_i32 s6, s6, s10
	s_add_i32 s10, s8, 1
	s_sub_i32 s11, s6, s93
	s_cmp_ge_u32 s6, s93
	s_cselect_b32 s8, s10, s8
	s_cselect_b32 s6, s11, s6
	s_add_i32 s10, s8, 1
	s_cmp_ge_u32 s6, s93
	s_cselect_b32 s6, s10, s8
	v_readlane_b32 s10, v234, 14
	s_xor_b32 s6, s6, s7
	v_readlane_b32 s11, v234, 15
	s_andn2_b64 vcc, exec, s[10:11]
	s_sub_i32 s17, s6, s7
	s_cbranch_vccnz .LBB19_16
; %bb.15:                               ;   in Loop: Header=BB19_14 Depth=1
	v_readlane_b32 s6, v234, 0
	s_mul_i32 s6, s4, s6
	s_add_i32 s6, s17, s6
	s_ashr_i32 s7, s6, 31
	s_lshl_b64 s[6:7], s[6:7], 2
	s_add_u32 s6, s46, s6
	s_addc_u32 s7, s47, s7
	global_load_dword v1, v200, s[6:7]
	s_waitcnt vmcnt(0)
	v_readfirstlane_b32 s6, v1
	s_ashr_i32 s7, s6, 31
	s_lshr_b32 s7, s7, 26
	s_add_i32 s6, s6, s7
	s_ashr_i32 s6, s6, 6
	s_min_i32 s57, s57, s6
.LBB19_16:                              ;   in Loop: Header=BB19_14 Depth=1
	v_readlane_b32 s10, v234, 4
	v_readlane_b32 s11, v234, 5
	s_mul_i32 s6, s12, s33
	s_lshl_b32 s70, s5, 1
	s_mul_i32 s5, s4, s11
	s_add_i32 s14, s70, s6
	s_ashr_i32 s6, s5, 31
	s_add_u32 s5, s36, s5
	s_mul_i32 s7, s14, s10
	s_addc_u32 s6, s37, s6
	s_ashr_i32 s8, s7, 31
	s_add_u32 s88, s5, s7
	s_addc_u32 s16, s6, s8
	s_ashr_i32 s5, s4, 31
	s_mul_i32 s6, s4, s25
	s_mul_hi_u32 s7, s4, s24
	s_add_i32 s6, s7, s6
	s_mul_i32 s7, s5, s24
	v_readlane_b32 s18, v234, 8
	s_add_i32 s26, s6, s7
	s_mul_i32 s8, s4, s24
	v_readlane_b32 s19, v234, 9
	s_add_u32 s6, s38, s8
	s_mul_i32 s7, s12, s19
	s_addc_u32 s10, s39, s26
	s_ashr_i32 s72, s7, 31
	s_add_u32 s6, s6, s7
	s_addc_u32 s59, s10, s72
	s_abs_i32 s10, s4
	s_mul_i32 s13, s20, s21
	v_mul_hi_u32 v1, s10, v121
	s_mul_i32 s13, s13, s4
	v_mul_lo_u32 v1, v1, s65
	s_add_i32 s13, s14, s13
	v_sub_u32_e32 v1, s10, v1
	s_mul_i32 s66, s13, 56
	v_subrev_u32_e32 v2, s65, v1
	v_cmp_le_u32_e32 vcc, s65, v1
	s_lshl_b64 s[18:19], s[66:67], 3
	v_cndmask_b32_e32 v1, v1, v2, vcc
	s_add_u32 s68, s48, s18
	v_subrev_u32_e32 v2, s65, v1
	v_cmp_le_u32_e32 vcc, s65, v1
	s_addc_u32 s69, s49, s19
	v_readlane_b32 s18, v234, 6
	v_cndmask_b32_e32 v1, v1, v2, vcc
	v_readlane_b32 s19, v234, 7
	v_xor_b32_e32 v1, s5, v1
	s_mul_i32 s13, s4, s19
	s_mul_hi_u32 s15, s4, s18
	v_subrev_u32_e32 v1, s5, v1
	s_add_i32 s13, s15, s13
	s_mul_i32 s5, s5, s18
	s_add_i32 s5, s13, s5
	s_mul_i32 s4, s4, s18
	s_add_u32 s13, s40, s4
	s_mul_i32 s66, s12, s27
	s_addc_u32 s15, s41, s5
	s_ashr_i32 s73, s66, 31
	s_add_u32 s71, s13, s66
	s_addc_u32 s58, s15, s73
	s_ashr_i32 s15, s14, 31
	s_lshl_b64 s[12:13], s[14:15], 2
	v_ashrrev_i32_e32 v2, 31, v1
	v_mul_lo_u32 v3, v1, s55
	v_mul_hi_u32 v4, v1, s54
	s_add_u32 s14, s44, s12
	v_add_u32_e32 v3, v4, v3
	v_mul_lo_u32 v2, v2, s54
	v_mul_lo_u32 v1, v1, s54
	s_addc_u32 s15, s45, s13
	v_readlane_b32 s12, v234, 12
	v_add_u32_e32 v17, v3, v2
	v_mov_b32_e32 v2, s43
	v_add_co_u32_e64 v62, s[10:11], s42, v1
	v_readlane_b32 s13, v234, 13
	v_addc_co_u32_e64 v59, vcc, v2, v17, s[10:11]
	s_and_b64 s[12:13], s[12:13], exec
	v_or_b32_e32 v19, s70, v199
	s_cselect_b32 s79, 0, s15
	s_cselect_b32 s78, 0, s14
	s_cmp_lg_u32 s53, 0
	v_cmp_gt_i32_e32 vcc, s33, v19
	s_cbranch_scc0 .LBB19_45
; %bb.17:                               ;   in Loop: Header=BB19_14 Depth=1
	s_lshl_b32 s52, s17, 4
	v_add_u32_e32 v1, s52, v139
	v_cmp_le_i32_e64 s[12:13], s20, v1
	s_xor_b64 s[14:15], vcc, -1
	s_or_b64 s[12:13], s[12:13], s[14:15]
	s_and_saveexec_b64 s[18:19], s[12:13]
	s_xor_b64 s[12:13], exec, s[18:19]
	s_cbranch_execz .LBB19_19
; %bb.18:                               ;   in Loop: Header=BB19_14 Depth=1
	ds_write_b32 v142, v200
                                        ; implicit-def: $vgpr1
.LBB19_19:                              ;   in Loop: Header=BB19_14 Depth=1
	s_andn2_saveexec_b64 s[12:13], s[12:13]
	s_cbranch_execz .LBB19_21
; %bb.20:                               ;   in Loop: Header=BB19_14 Depth=1
	v_mad_u64_u32 v[2:3], s[18:19], v1, s61, v[58:59]
	v_ashrrev_i32_e32 v3, 31, v2
	v_lshlrev_b64 v[2:3], 3, v[2:3]
	v_mov_b32_e32 v1, s16
	v_add_co_u32_e32 v2, vcc, s88, v2
	v_addc_co_u32_e32 v3, vcc, v1, v3, vcc
	global_load_dwordx2 v[2:3], v[2:3], off
	s_waitcnt vmcnt(0)
	v_cvt_f16_f32_e32 v1, v2
	v_cvt_f16_f32_e32 v2, v3
	v_pack_b32_f16 v1, v1, v2
	v_pk_mul_f16 v1, v47, v1
	ds_write_b32 v142, v1
.LBB19_21:                              ;   in Loop: Header=BB19_14 Depth=1
	s_or_b64 exec, exec, s[12:13]
	v_add_u32_e32 v1, s52, v211
	v_cmp_le_i32_e32 vcc, s20, v1
	s_or_b64 s[12:13], vcc, s[14:15]
	s_and_saveexec_b64 s[18:19], s[12:13]
	s_xor_b64 s[12:13], exec, s[18:19]
	s_cbranch_execz .LBB19_23
; %bb.22:                               ;   in Loop: Header=BB19_14 Depth=1
	ds_write_b32 v142, v200 offset:1920
                                        ; implicit-def: $vgpr1
.LBB19_23:                              ;   in Loop: Header=BB19_14 Depth=1
	s_andn2_saveexec_b64 s[12:13], s[12:13]
	s_cbranch_execz .LBB19_25
; %bb.24:                               ;   in Loop: Header=BB19_14 Depth=1
	v_mad_u64_u32 v[2:3], s[18:19], v1, s61, v[58:59]
	v_ashrrev_i32_e32 v3, 31, v2
	v_lshlrev_b64 v[2:3], 3, v[2:3]
	v_mov_b32_e32 v1, s16
	v_add_co_u32_e32 v2, vcc, s88, v2
	v_addc_co_u32_e32 v3, vcc, v1, v3, vcc
	global_load_dwordx2 v[2:3], v[2:3], off
	s_waitcnt vmcnt(0)
	v_cvt_f16_f32_e32 v1, v2
	v_cvt_f16_f32_e32 v2, v3
	v_pack_b32_f16 v1, v1, v2
	v_pk_mul_f16 v1, v47, v1
	ds_write_b32 v142, v1 offset:1920
.LBB19_25:                              ;   in Loop: Header=BB19_14 Depth=1
	s_or_b64 exec, exec, s[12:13]
	v_add_u32_e32 v1, s52, v143
	v_cmp_le_i32_e32 vcc, s20, v1
	s_or_b64 s[12:13], vcc, s[14:15]
	s_and_saveexec_b64 s[18:19], s[12:13]
	s_xor_b64 s[12:13], exec, s[18:19]
	s_cbranch_execz .LBB19_27
; %bb.26:                               ;   in Loop: Header=BB19_14 Depth=1
	ds_write_b32 v142, v200 offset:3840
                                        ; implicit-def: $vgpr1
.LBB19_27:                              ;   in Loop: Header=BB19_14 Depth=1
	s_andn2_saveexec_b64 s[12:13], s[12:13]
	s_cbranch_execz .LBB19_29
; %bb.28:                               ;   in Loop: Header=BB19_14 Depth=1
	v_mad_u64_u32 v[2:3], s[18:19], v1, s61, v[58:59]
	v_ashrrev_i32_e32 v3, 31, v2
	v_lshlrev_b64 v[2:3], 3, v[2:3]
	v_mov_b32_e32 v1, s16
	v_add_co_u32_e32 v2, vcc, s88, v2
	v_addc_co_u32_e32 v3, vcc, v1, v3, vcc
	global_load_dwordx2 v[2:3], v[2:3], off
	s_waitcnt vmcnt(0)
	v_cvt_f16_f32_e32 v1, v2
	v_cvt_f16_f32_e32 v2, v3
	v_pack_b32_f16 v1, v1, v2
	v_pk_mul_f16 v1, v47, v1
	ds_write_b32 v142, v1 offset:3840
.LBB19_29:                              ;   in Loop: Header=BB19_14 Depth=1
	;; [unrolled: 28-line block ×3, first 2 shown]
	s_or_b64 exec, exec, s[12:13]
	v_or_b32_e32 v1, s70, v48
	v_cmp_gt_i32_e64 s[14:15], s33, v1
	v_add_u32_e32 v1, s52, v145
	s_xor_b64 s[12:13], s[14:15], -1
	v_cmp_le_i32_e32 vcc, s20, v1
	s_or_b64 s[18:19], vcc, s[12:13]
	s_and_saveexec_b64 s[80:81], s[18:19]
	s_xor_b64 s[18:19], exec, s[80:81]
	s_cbranch_execz .LBB19_35
; %bb.34:                               ;   in Loop: Header=BB19_14 Depth=1
	ds_write_b32 v146, v200 offset:128
                                        ; implicit-def: $vgpr1
.LBB19_35:                              ;   in Loop: Header=BB19_14 Depth=1
	s_andn2_saveexec_b64 s[18:19], s[18:19]
	s_cbranch_execz .LBB19_37
; %bb.36:                               ;   in Loop: Header=BB19_14 Depth=1
	v_mad_u64_u32 v[2:3], s[80:81], v1, s61, v[50:51]
	v_ashrrev_i32_e32 v3, 31, v2
	v_lshlrev_b64 v[2:3], 3, v[2:3]
	v_mov_b32_e32 v1, s16
	v_add_co_u32_e32 v2, vcc, s88, v2
	v_addc_co_u32_e32 v3, vcc, v1, v3, vcc
	global_load_dwordx2 v[2:3], v[2:3], off
	s_waitcnt vmcnt(0)
	v_cvt_f16_f32_e32 v1, v2
	v_cvt_f16_f32_e32 v2, v3
	v_pack_b32_f16 v1, v1, v2
	v_pk_mul_f16 v1, v47, v1
	ds_write_b32 v146, v1 offset:128
.LBB19_37:                              ;   in Loop: Header=BB19_14 Depth=1
	s_or_b64 exec, exec, s[18:19]
	v_add_u32_e32 v1, s52, v147
	v_cmp_le_i32_e32 vcc, s20, v1
	s_or_b64 s[12:13], vcc, s[12:13]
	s_and_saveexec_b64 s[18:19], s[12:13]
	s_xor_b64 s[12:13], exec, s[18:19]
	s_cbranch_execz .LBB19_39
; %bb.38:                               ;   in Loop: Header=BB19_14 Depth=1
	ds_write_b32 v146, v200 offset:3968
                                        ; implicit-def: $vgpr1
.LBB19_39:                              ;   in Loop: Header=BB19_14 Depth=1
	s_andn2_saveexec_b64 s[12:13], s[12:13]
	s_cbranch_execz .LBB19_41
; %bb.40:                               ;   in Loop: Header=BB19_14 Depth=1
	v_mad_u64_u32 v[2:3], s[18:19], v1, s61, v[50:51]
	v_ashrrev_i32_e32 v3, 31, v2
	v_lshlrev_b64 v[2:3], 3, v[2:3]
	v_mov_b32_e32 v1, s16
	v_add_co_u32_e32 v2, vcc, s88, v2
	v_addc_co_u32_e32 v3, vcc, v1, v3, vcc
	global_load_dwordx2 v[2:3], v[2:3], off
	s_waitcnt vmcnt(0)
	v_cvt_f16_f32_e32 v1, v2
	v_cvt_f16_f32_e32 v2, v3
	v_pack_b32_f16 v1, v1, v2
	v_pk_mul_f16 v1, v47, v1
	ds_write_b32 v146, v1 offset:3968
.LBB19_41:                              ;   in Loop: Header=BB19_14 Depth=1
	s_or_b64 exec, exec, s[12:13]
	v_add_u32_e32 v1, s52, v130
	v_or_b32_e32 v2, s70, v52
	v_cmp_gt_i32_e32 vcc, s20, v1
	v_cmp_gt_i32_e64 s[12:13], s33, v2
	s_and_b64 s[80:81], vcc, s[12:13]
	v_mov_b32_e32 v2, 0
	s_and_saveexec_b64 s[18:19], s[80:81]
	s_cbranch_execz .LBB19_43
; %bb.42:                               ;   in Loop: Header=BB19_14 Depth=1
	v_mad_u64_u32 v[2:3], s[80:81], v1, s61, v[54:55]
	v_ashrrev_i32_e32 v3, 31, v2
	v_lshlrev_b64 v[2:3], 3, v[2:3]
	v_mov_b32_e32 v1, s16
	v_add_co_u32_e32 v2, vcc, s88, v2
	v_addc_co_u32_e32 v3, vcc, v1, v3, vcc
	global_load_dwordx2 v[2:3], v[2:3], off
	s_waitcnt vmcnt(0)
	v_cvt_f16_f32_e32 v1, v2
	v_cvt_f16_f32_e32 v2, v3
	v_pack_b32_f16 v1, v1, v2
	v_pk_mul_f16 v2, v47, v1
.LBB19_43:                              ;   in Loop: Header=BB19_14 Depth=1
	s_or_b64 exec, exec, s[18:19]
	ds_write_b32 v131, v2 offset:192
	s_waitcnt lgkmcnt(0)
	s_barrier
	ds_read2_b64 v[10:13], v132 offset1:4
	ds_read2_b64 v[6:9], v132 offset0:8 offset1:12
	ds_read2_b64 v[2:5], v132 offset0:16 offset1:20
	ds_read_b64 v[64:65], v132 offset:192
	s_add_i32 s82, s57, -1
	v_add_u32_e32 v73, s52, v140
	v_add_u32_e32 v67, s52, v202
	s_cmp_gt_i32 s82, s53
	v_mul_hi_u32 v74, s30, v73
	v_mul_hi_u32 v72, s30, v67
	s_waitcnt lgkmcnt(0)
	s_barrier
	s_cbranch_scc1 .LBB19_46
; %bb.44:                               ;   in Loop: Header=BB19_14 Depth=1
	v_add_u32_e32 v1, v73, v74
	v_lshrrev_b32_e32 v1, s31, v1
	v_mul_lo_u32 v1, v1, s20
	v_sub_u32_e32 v1, v73, v1
	v_mad_i64_i32 v[68:69], s[18:19], v1, s34, 0
	v_add_u32_e32 v1, v67, v72
	v_lshrrev_b32_e32 v1, s31, v1
	v_mul_lo_u32 v1, v1, s20
	v_sub_u32_e32 v1, v67, v1
	v_mad_i64_i32 v[70:71], s[18:19], v1, s34, 0
	s_mov_b64 s[18:19], 0
	s_mov_b32 s80, 0xfeffffff
	s_mov_b32 s83, 0
	;; [unrolled: 1-line block ×3, first 2 shown]
	s_branch .LBB19_47
.LBB19_45:                              ;   in Loop: Header=BB19_14 Depth=1
	s_cbranch_execz .LBB19_13
	s_branch .LBB19_134
.LBB19_46:                              ;   in Loop: Header=BB19_14 Depth=1
	s_mov_b64 s[18:19], -1
                                        ; implicit-def: $sgpr81
                                        ; implicit-def: $sgpr83
                                        ; implicit-def: $sgpr80
                                        ; implicit-def: $vgpr68_vgpr69
                                        ; implicit-def: $vgpr70_vgpr71
.LBB19_47:                              ;   in Loop: Header=BB19_14 Depth=1
	s_andn2_b64 vcc, exec, s[18:19]
	v_mov_b32_e32 v95, s81
	v_mov_b32_e32 v45, s83
	;; [unrolled: 1-line block ×16, first 2 shown]
	s_cbranch_vccnz .LBB19_55
; %bb.48:                               ;   in Loop: Header=BB19_14 Depth=1
	v_lshlrev_b32_e32 v1, 1, v46
	v_add_co_u32_e32 v21, vcc, v62, v1
	v_add_u32_e32 v1, v73, v74
	v_lshrrev_b32_e32 v1, s31, v1
	v_mul_lo_u32 v1, v1, s20
	v_sub_u32_e32 v1, v73, v1
	v_mad_i64_i32 v[68:69], s[18:19], v1, s34, 0
	v_add_u32_e32 v1, v67, v72
	v_lshrrev_b32_e32 v1, s31, v1
	v_mul_lo_u32 v1, v1, s20
	v_sub_u32_e32 v1, v67, v1
	v_mad_i64_i32 v[70:71], s[18:19], v1, s34, 0
	v_and_b32_e32 v1, 64, v198
	v_addc_co_u32_e32 v63, vcc, 0, v59, vcc
	v_add_u32_e32 v1, 64, v1
	v_xor_b32_e32 v15, 32, v198
	v_cmp_lt_i32_e32 vcc, v15, v1
	v_cndmask_b32_e32 v15, v198, v15, vcc
	v_lshlrev_b32_e32 v67, 2, v15
	v_xor_b32_e32 v15, 16, v198
	v_cmp_lt_i32_e32 vcc, v15, v1
	v_cndmask_b32_e32 v1, v198, v15, vcc
	v_mov_b32_e32 v93, 0
	v_lshlrev_b32_e32 v80, 2, v1
	s_lshl_b32 s18, s53, 6
	v_mov_b32_e32 v99, 0
	v_mov_b32_e32 v213, 0xfeffffff
	;; [unrolled: 1-line block ×15, first 2 shown]
.LBB19_49:                              ;   Parent Loop BB19_14 Depth=1
                                        ; =>  This Inner Loop Header: Depth=2
	s_ashr_i32 s19, s18, 31
	s_lshl_b64 s[80:81], s[18:19], 1
	v_add_co_u32_e32 v45, vcc, s80, v21
	v_mov_b32_e32 v66, s81
	v_addc_co_u32_e32 v66, vcc, v63, v66, vcc
	v_lshlrev_b64 v[72:73], 1, v[68:69]
	v_add_co_u32_e32 v72, vcc, v45, v72
	v_addc_co_u32_e32 v73, vcc, v66, v73, vcc
	global_load_dword v72, v[72:73], off
	v_add_u32_e32 v74, v141, v201
	s_mul_hi_i32 s81, s18, s28
	s_mul_i32 s80, s18, s28
	s_lshl_b64 s[80:81], s[80:81], 2
	s_add_u32 s19, s6, s80
	s_addc_u32 s83, s59, s81
	s_waitcnt vmcnt(0)
	ds_write_b32 v74, v72 offset:15360
	v_lshlrev_b64 v[72:73], 1, v[70:71]
	v_add_co_u32_e32 v72, vcc, v45, v72
	v_addc_co_u32_e32 v73, vcc, v66, v73, vcc
	global_load_dword v45, v[72:73], off
	s_waitcnt vmcnt(0)
	ds_write_b32 v74, v45 offset:16512
	s_and_saveexec_b64 s[80:81], s[0:1]
	s_cbranch_execz .LBB19_51
; %bb.50:                               ;   in Loop: Header=BB19_49 Depth=2
	v_mov_b32_e32 v45, s83
	v_add_co_u32_e32 v66, vcc, s19, v36
	v_addc_co_u32_e32 v45, vcc, v45, v37, vcc
	v_lshlrev_b32_e32 v72, 2, v16
	v_add_co_u32_e32 v72, vcc, v66, v72
	v_addc_co_u32_e32 v73, vcc, 0, v45, vcc
	global_load_dwordx4 v[72:75], v[72:73], off offset:192
	s_waitcnt vmcnt(0)
	ds_write_b128 v51, v[72:75]
.LBB19_51:                              ;   in Loop: Header=BB19_49 Depth=2
	s_or_b64 exec, exec, s[80:81]
	v_add_co_u32_e32 v45, vcc, s19, v38
	v_mov_b32_e32 v66, s83
	v_addc_co_u32_e32 v66, vcc, v66, v39, vcc
	v_lshlrev_b32_e32 v98, 2, v18
	v_add_co_u32_e32 v72, vcc, v45, v98
	v_addc_co_u32_e32 v73, vcc, 0, v66, vcc
	global_load_dwordx4 v[72:75], v[72:73], off offset:128
	v_add_co_u32_e32 v45, vcc, s19, v40
	v_mov_b32_e32 v66, s83
	v_addc_co_u32_e32 v66, vcc, v66, v41, vcc
	v_lshlrev_b32_e32 v97, 2, v20
	s_mul_hi_i32 s81, s18, s22
	s_mul_i32 s80, s18, s22
	s_lshl_b64 s[80:81], s[80:81], 2
	s_waitcnt vmcnt(0)
	ds_write_b128 v118, v[72:75]
	v_add_co_u32_e32 v72, vcc, v45, v97
	v_addc_co_u32_e32 v73, vcc, 0, v66, vcc
	global_load_dwordx4 v[72:75], v[72:73], off
	v_add_co_u32_e32 v45, vcc, s19, v42
	v_mov_b32_e32 v66, s83
	v_addc_co_u32_e32 v66, vcc, v66, v43, vcc
	s_add_u32 s83, s71, s80
	s_addc_u32 s19, s58, s81
	s_waitcnt vmcnt(0)
	ds_write_b128 v119, v[72:75]
	v_add_co_u32_e32 v72, vcc, v45, v97
	v_addc_co_u32_e32 v73, vcc, 0, v66, vcc
	global_load_dwordx4 v[72:75], v[72:73], off
	v_add_u32_e32 v45, v49, v133
	v_add_u32_e32 v66, 0x1800, v45
	s_waitcnt vmcnt(0)
	ds_write_b128 v210, v[72:75]
	s_waitcnt lgkmcnt(0)
	s_barrier
	ds_read2_b64 v[72:75], v45 offset1:4
	s_waitcnt lgkmcnt(0)
	v_mfma_f32_16x16x16f16 v[76:79], v[72:73], v[10:11], 0
	v_mfma_f32_16x16x16f16 v[72:75], v[74:75], v[12:13], v[76:79]
	s_nop 7
	s_nop 1
	ds_read2_b64 v[76:79], v45 offset0:8 offset1:12
	s_waitcnt lgkmcnt(0)
	v_mfma_f32_16x16x16f16 v[72:75], v[76:77], v[6:7], v[72:75]
	v_mfma_f32_16x16x16f16 v[72:75], v[78:79], v[8:9], v[72:75]
	ds_read2_b64 v[76:79], v45 offset0:16 offset1:20
	s_waitcnt lgkmcnt(0)
	v_mfma_f32_16x16x16f16 v[72:75], v[76:77], v[2:3], v[72:75]
	ds_read_b64 v[76:77], v45 offset:192
	v_mfma_f32_16x16x16f16 v[72:75], v[78:79], v[4:5], v[72:75]
	s_waitcnt lgkmcnt(0)
	v_mfma_f32_16x16x16f16 v[72:75], v[76:77], v[64:65], v[72:75]
	ds_read2_b64 v[76:79], v66 offset0:192 offset1:196
	s_waitcnt lgkmcnt(0)
	v_mfma_f32_16x16x16f16 v[214:217], v[76:77], v[10:11], 0
	v_mfma_f32_16x16x16f16 v[76:79], v[78:79], v[12:13], v[214:217]
	s_nop 7
	s_nop 1
	ds_read2_b64 v[214:217], v66 offset0:200 offset1:204
	s_waitcnt lgkmcnt(0)
	v_mfma_f32_16x16x16f16 v[76:79], v[214:215], v[6:7], v[76:79]
	v_mfma_f32_16x16x16f16 v[76:79], v[216:217], v[8:9], v[76:79]
	ds_read2_b64 v[214:217], v66 offset0:208 offset1:212
	s_waitcnt lgkmcnt(0)
	v_mfma_f32_16x16x16f16 v[76:79], v[214:215], v[2:3], v[76:79]
	ds_read_b64 v[214:215], v45 offset:7872
	v_add_u32_e32 v45, 0x3c00, v85
	s_waitcnt lgkmcnt(0)
	s_barrier
	v_mfma_f32_16x16x16f16 v[76:79], v[216:217], v[4:5], v[76:79]
	v_mfma_f32_16x16x16f16 v[214:217], v[214:215], v[64:65], v[76:79]
	s_nop 7
	s_nop 1
	ds_read2_b32 v[76:77], v45 offset1:1
	ds_read_b32 v45, v134 offset:15360
	ds_read_b32 v66, v135 offset:15360
	s_waitcnt lgkmcnt(2)
	v_cvt_f32_f16_e32 v78, v77
	v_cvt_f32_f16_sdwa v79, v77 dst_sel:DWORD dst_unused:UNUSED_PAD src0_sel:WORD_1
	v_pk_add_f32 v[74:75], v[74:75], v[78:79]
	v_cvt_f32_f16_e32 v78, v76
	v_cvt_f32_f16_sdwa v79, v76 dst_sel:DWORD dst_unused:UNUSED_PAD src0_sel:WORD_1
	v_add_f32_e32 v77, 0x40051340, v74
	v_add_f32_e32 v218, 0x40051340, v75
	s_waitcnt lgkmcnt(1)
	v_cvt_f32_f16_e32 v76, v45
	v_pk_add_f32 v[78:79], v[72:73], v[78:79]
	v_add_f32_e32 v72, 0x40051340, v78
	v_add_f32_e32 v73, 0x40051340, v79
	v_max3_f32 v72, v213, v72, v73
	v_max3_f32 v218, v72, v77, v218
	v_cvt_f32_f16_sdwa v77, v45 dst_sel:DWORD dst_unused:UNUSED_PAD src0_sel:WORD_1
	s_waitcnt lgkmcnt(0)
	v_cvt_f32_f16_sdwa v73, v66 dst_sel:DWORD dst_unused:UNUSED_PAD src0_sel:WORD_1
	v_cvt_f32_f16_e32 v72, v66
	v_pk_add_f32 v[76:77], v[214:215], v[76:77]
	v_add_f32_e32 v45, 0x40051340, v76
	v_pk_add_f32 v[72:73], v[216:217], v[72:73]
	v_add_f32_e32 v214, 0x40051340, v77
	v_add_f32_e32 v66, 0x40051340, v72
	;; [unrolled: 1-line block ×3, first 2 shown]
	v_max3_f32 v45, v218, v45, v214
	v_max3_f32 v45, v45, v66, v216
	ds_bpermute_b32 v66, v67, v45
	s_waitcnt lgkmcnt(0)
	v_max_f32_e32 v66, v66, v66
	v_max_f32_e32 v45, v45, v66
	ds_bpermute_b32 v66, v80, v45
	s_and_saveexec_b64 s[80:81], s[0:1]
	s_cbranch_execz .LBB19_53
; %bb.52:                               ;   in Loop: Header=BB19_49 Depth=2
	v_mov_b32_e32 v214, s19
	v_add_co_u32_e32 v215, vcc, s83, v24
	v_addc_co_u32_e32 v216, vcc, v214, v25, vcc
	v_lshlrev_b32_e32 v214, 2, v16
	v_add_co_u32_e32 v214, vcc, v215, v214
	v_addc_co_u32_e32 v215, vcc, 0, v216, vcc
	global_load_dwordx4 v[214:217], v[214:215], off offset:192
	s_waitcnt vmcnt(0)
	ds_write_b128 v51, v[214:217]
.LBB19_53:                              ;   in Loop: Header=BB19_49 Depth=2
	s_or_b64 exec, exec, s[80:81]
	s_waitcnt lgkmcnt(0)
	v_max_f32_e32 v66, v66, v66
	v_max_f32_e32 v45, v45, v45
	;; [unrolled: 1-line block ×3, first 2 shown]
	v_pk_add_f32 v[78:79], v[78:79], v[66:67] op_sel_hi:[1,0] neg_lo:[0,1] neg_hi:[0,1]
	v_mul_f32_e32 v45, 0x3fb8aa3b, v79
	v_fma_f32 v214, v79, s9, -v45
	v_rndne_f32_e32 v215, v45
	v_fmac_f32_e32 v214, 0x32a5705f, v79
	v_sub_f32_e32 v45, v45, v215
	v_add_f32_e32 v45, v45, v214
	v_exp_f32_e32 v45, v45
	v_cvt_i32_f32_e32 v214, v215
	v_cmp_ngt_f32_e32 vcc, s35, v79
	v_pk_add_f32 v[74:75], v[74:75], v[66:67] op_sel_hi:[1,0] neg_lo:[0,1] neg_hi:[0,1]
	v_pk_add_f32 v[72:73], v[72:73], v[66:67] op_sel_hi:[1,0] neg_lo:[0,1] neg_hi:[0,1]
	v_ldexp_f32 v45, v45, v214
	v_cndmask_b32_e32 v45, 0, v45, vcc
	v_cmp_nlt_f32_e32 vcc, s89, v79
	v_cndmask_b32_e32 v214, v212, v45, vcc
	v_mul_f32_e32 v45, 0x3fb8aa3b, v78
	v_fma_f32 v79, v78, s9, -v45
	v_rndne_f32_e32 v215, v45
	v_fmac_f32_e32 v79, 0x32a5705f, v78
	v_sub_f32_e32 v45, v45, v215
	v_add_f32_e32 v45, v45, v79
	v_exp_f32_e32 v45, v45
	v_cvt_i32_f32_e32 v79, v215
	v_cmp_ngt_f32_e32 vcc, s35, v78
	s_add_i32 s53, s53, 1
	s_add_i32 s18, s18, 64
	v_ldexp_f32 v45, v45, v79
	v_cndmask_b32_e32 v45, 0, v45, vcc
	v_cmp_nlt_f32_e32 vcc, s89, v78
	v_cndmask_b32_e32 v215, v212, v45, vcc
	v_mul_f32_e32 v45, 0x3fb8aa3b, v75
	v_fma_f32 v78, v75, s9, -v45
	v_rndne_f32_e32 v79, v45
	v_fmac_f32_e32 v78, 0x32a5705f, v75
	v_sub_f32_e32 v45, v45, v79
	v_add_f32_e32 v45, v45, v78
	v_exp_f32_e32 v45, v45
	v_cvt_i32_f32_e32 v78, v79
	v_cmp_ngt_f32_e32 vcc, s35, v75
	s_cmp_lt_i32 s53, s82
	v_ldexp_f32 v45, v45, v78
	v_cndmask_b32_e32 v45, 0, v45, vcc
	v_cmp_nlt_f32_e32 vcc, s89, v75
	v_cndmask_b32_e32 v216, v212, v45, vcc
	v_mul_f32_e32 v45, 0x3fb8aa3b, v74
	v_fma_f32 v75, v74, s9, -v45
	v_rndne_f32_e32 v78, v45
	v_fmac_f32_e32 v75, 0x32a5705f, v74
	v_sub_f32_e32 v45, v45, v78
	v_add_f32_e32 v45, v45, v75
	v_exp_f32_e32 v45, v45
	v_cvt_i32_f32_e32 v75, v78
	v_cmp_ngt_f32_e32 vcc, s35, v74
	v_ldexp_f32 v45, v45, v75
	v_cndmask_b32_e32 v45, 0, v45, vcc
	v_cmp_nlt_f32_e32 vcc, s89, v74
	v_pk_add_f32 v[74:75], v[76:77], v[66:67] op_sel_hi:[1,0] neg_lo:[0,1] neg_hi:[0,1]
	v_cndmask_b32_e32 v217, v212, v45, vcc
	v_mul_f32_e32 v45, 0x3fb8aa3b, v75
	v_fma_f32 v76, v75, s9, -v45
	v_rndne_f32_e32 v77, v45
	v_fmac_f32_e32 v76, 0x32a5705f, v75
	v_sub_f32_e32 v45, v45, v77
	v_add_f32_e32 v45, v45, v76
	v_exp_f32_e32 v45, v45
	v_cvt_i32_f32_e32 v76, v77
	v_cmp_ngt_f32_e32 vcc, s35, v75
	v_ldexp_f32 v45, v45, v76
	v_cndmask_b32_e32 v45, 0, v45, vcc
	v_cmp_nlt_f32_e32 vcc, s89, v75
	v_cndmask_b32_e32 v75, v212, v45, vcc
	v_mul_f32_e32 v45, 0x3fb8aa3b, v74
	v_fma_f32 v76, v74, s9, -v45
	v_rndne_f32_e32 v77, v45
	v_fmac_f32_e32 v76, 0x32a5705f, v74
	v_sub_f32_e32 v45, v45, v77
	v_add_f32_e32 v45, v45, v76
	v_exp_f32_e32 v45, v45
	v_cvt_i32_f32_e32 v76, v77
	v_cmp_ngt_f32_e32 vcc, s35, v74
	v_ldexp_f32 v45, v45, v76
	v_cndmask_b32_e32 v45, 0, v45, vcc
	v_cmp_nlt_f32_e32 vcc, s89, v74
	;; [unrolled: 13-line block ×4, first 2 shown]
	v_sub_f32_e32 v72, v213, v66
	v_mul_f32_e32 v76, 0x3fb8aa3b, v72
	v_fma_f32 v77, v72, s9, -v76
	v_rndne_f32_e32 v78, v76
	v_fmac_f32_e32 v77, 0x32a5705f, v72
	v_sub_f32_e32 v76, v76, v78
	v_add_f32_e32 v76, v76, v77
	v_exp_f32_e32 v76, v76
	v_cvt_i32_f32_e32 v77, v78
	v_cndmask_b32_e32 v218, v212, v45, vcc
	v_add_f32_e32 v45, v215, v214
	v_add_f32_e32 v45, v217, v45
	;; [unrolled: 1-line block ×4, first 2 shown]
	v_ldexp_f32 v76, v76, v77
	v_cmp_ngt_f32_e32 vcc, s35, v72
	v_add_f32_e32 v45, v75, v45
	v_cndmask_b32_e32 v76, 0, v76, vcc
	v_cmp_nlt_f32_e32 vcc, s89, v72
	v_add_f32_e32 v45, v218, v45
	v_cndmask_b32_e32 v76, v212, v76, vcc
	v_cmp_le_f32_e32 vcc, s90, v72
	v_add_f32_e32 v45, v73, v45
	v_cndmask_b32_e32 v72, 0, v76, vcc
	v_fmac_f32_e32 v45, v99, v72
	v_cvt_f16_f32_e32 v72, v72
	v_cvt_f16_f32_e32 v74, v74
	;; [unrolled: 1-line block ×3, first 2 shown]
	v_pk_mul_f16 v15, v72, v15 op_sel_hi:[0,1]
	v_pk_mul_f16 v1, v72, v1 op_sel_hi:[0,1]
	;; [unrolled: 1-line block ×14, first 2 shown]
	v_cvt_f16_f32_e32 v72, v75
	v_cvt_f16_f32_e32 v75, v215
	;; [unrolled: 1-line block ×3, first 2 shown]
	v_mov_b32_e32 v94, s19
	v_pack_b32_f16 v72, v74, v72
	v_cvt_f16_f32_e32 v74, v218
	v_pack_b32_f16 v73, v74, v73
	v_cvt_f16_f32_e32 v74, v214
	;; [unrolled: 2-line block ×3, first 2 shown]
	v_pack_b32_f16 v75, v93, v75
	v_add_co_u32_e32 v93, vcc, s83, v28
	v_addc_co_u32_e32 v95, vcc, v94, v29, vcc
	v_add_co_u32_e32 v94, vcc, v93, v98
	v_addc_co_u32_e32 v95, vcc, 0, v95, vcc
	global_load_dwordx4 v[214:217], v[94:95], off offset:128
	v_add_co_u32_e32 v93, vcc, s83, v30
	v_mov_b32_e32 v94, s19
	v_addc_co_u32_e32 v95, vcc, v94, v31, vcc
	v_add_co_u32_e32 v94, vcc, v93, v97
	v_addc_co_u32_e32 v95, vcc, 0, v95, vcc
	v_add_co_u32_e32 v93, vcc, s83, v34
	s_waitcnt vmcnt(0)
	ds_write_b128 v118, v[214:217]
	global_load_dwordx4 v[214:217], v[94:95], off
	v_mov_b32_e32 v94, s19
	v_addc_co_u32_e32 v95, vcc, v94, v35, vcc
	v_add_co_u32_e32 v94, vcc, v93, v97
	v_addc_co_u32_e32 v95, vcc, 0, v95, vcc
	global_load_dwordx4 v[94:97], v[94:95], off
	s_waitcnt vmcnt(1)
	ds_write_b128 v119, v[214:217]
	s_waitcnt vmcnt(0)
	ds_write_b128 v210, v[94:97]
	s_waitcnt lgkmcnt(0)
	s_barrier
	ds_read_u16 v93, v89 offset:240
	ds_read_u16 v98, v89 offset:480
	v_cvt_f32_f16_e32 v96, v1
	v_cvt_f32_f16_sdwa v97, v1 dst_sel:DWORD dst_unused:UNUSED_PAD src0_sel:WORD_1
	ds_read_u16 v1, v91
	ds_read_u16 v213, v91 offset:32
	v_cvt_f32_f16_e32 v94, v15
	v_cvt_f32_f16_sdwa v95, v15 dst_sel:DWORD dst_unused:UNUSED_PAD src0_sel:WORD_1
	s_waitcnt lgkmcnt(1)
	v_perm_b32 v99, v1, v98, s91
	ds_read_u16 v1, v87
	ds_read_u16 v214, v87 offset:32
	s_waitcnt lgkmcnt(1)
	v_perm_b32 v98, v93, v1, s91
	s_nop 1
	v_mfma_f32_16x16x16f16 v[94:97], v[98:99], v[74:75], v[94:97]
	ds_read_u16 v98, v87 offset:7680
	ds_read_u16 v215, v203 offset:240
	;; [unrolled: 1-line block ×4, first 2 shown]
	s_waitcnt lgkmcnt(2)
	v_perm_b32 v98, v215, v98, s91
	s_waitcnt lgkmcnt(0)
	v_perm_b32 v99, v216, v99, s91
	s_nop 2
	v_cvt_f16_f32_e32 v1, v94
	v_cvt_f16_f32_e32 v15, v95
	;; [unrolled: 1-line block ×4, first 2 shown]
	v_cvt_f32_f16_e32 v94, v1
	v_cvt_f32_f16_e32 v95, v15
	;; [unrolled: 1-line block ×4, first 2 shown]
	s_nop 1
	v_mfma_f32_16x16x16f16 v[94:97], v[98:99], v[72:73], v[94:97]
	s_nop 7
	s_nop 2
	v_cvt_f16_f32_e32 v1, v94
	v_cvt_f16_f32_e32 v15, v95
	;; [unrolled: 1-line block ×4, first 2 shown]
	v_cvt_f32_f16_sdwa v95, v33 dst_sel:DWORD dst_unused:UNUSED_PAD src0_sel:WORD_1
	v_pack_b32_f16 v15, v1, v15
	v_cvt_f32_f16_e32 v96, v27
	v_pack_b32_f16 v1, v93, v94
	ds_read_u16 v93, v204 offset:240
	ds_read_u16 v98, v204 offset:480
	v_cvt_f32_f16_e32 v94, v33
	v_cvt_f32_f16_sdwa v97, v27 dst_sel:DWORD dst_unused:UNUSED_PAD src0_sel:WORD_1
	s_waitcnt lgkmcnt(0)
	v_perm_b32 v99, v213, v98, s91
	v_perm_b32 v98, v93, v214, s91
	s_nop 1
	v_mfma_f32_16x16x16f16 v[94:97], v[98:99], v[74:75], v[94:97]
	ds_read_u16 v98, v100 offset:7680
	ds_read_u16 v213, v101 offset:240
	ds_read_u16 v99, v101 offset:480
	ds_read_u16 v214, v102 offset:7680
	s_waitcnt lgkmcnt(2)
	v_perm_b32 v98, v213, v98, s91
	s_waitcnt lgkmcnt(0)
	v_perm_b32 v99, v214, v99, s91
	s_nop 2
	v_cvt_f16_f32_e32 v27, v94
	v_cvt_f16_f32_e32 v33, v95
	v_cvt_f16_f32_e32 v93, v96
	v_cvt_f16_f32_e32 v97, v97
	v_cvt_f32_f16_e32 v94, v27
	v_cvt_f32_f16_e32 v95, v33
	v_cvt_f32_f16_e32 v96, v93
	v_cvt_f32_f16_e32 v97, v97
	s_nop 1
	v_mfma_f32_16x16x16f16 v[94:97], v[98:99], v[72:73], v[94:97]
	s_nop 7
	s_nop 2
	v_cvt_f16_f32_e32 v27, v94
	v_cvt_f16_f32_e32 v33, v95
	v_cvt_f16_f32_e32 v93, v96
	v_cvt_f16_f32_e32 v94, v97
	v_cvt_f32_f16_sdwa v95, v84 dst_sel:DWORD dst_unused:UNUSED_PAD src0_sel:WORD_1
	v_pack_b32_f16 v33, v27, v33
	v_cvt_f32_f16_e32 v96, v82
	v_pack_b32_f16 v27, v93, v94
	ds_read_u16 v93, v87 offset:64
	ds_read_u16 v98, v205 offset:240
	ds_read_u16 v99, v205 offset:480
	ds_read_u16 v213, v91 offset:64
	v_cvt_f32_f16_e32 v94, v84
	v_cvt_f32_f16_sdwa v97, v82 dst_sel:DWORD dst_unused:UNUSED_PAD src0_sel:WORD_1
	s_waitcnt lgkmcnt(2)
	v_perm_b32 v98, v98, v93, s91
	s_waitcnt lgkmcnt(0)
	v_perm_b32 v99, v213, v99, s91
	s_nop 1
	v_mfma_f32_16x16x16f16 v[94:97], v[98:99], v[74:75], v[94:97]
	ds_read_u16 v98, v103 offset:7680
	ds_read_u16 v213, v104 offset:240
	ds_read_u16 v99, v104 offset:480
	ds_read_u16 v214, v105 offset:7680
	s_waitcnt lgkmcnt(2)
	v_perm_b32 v98, v213, v98, s91
	s_waitcnt lgkmcnt(0)
	v_perm_b32 v99, v214, v99, s91
	s_nop 2
	v_cvt_f16_f32_e32 v82, v94
	v_cvt_f16_f32_e32 v84, v95
	v_cvt_f16_f32_e32 v93, v96
	v_cvt_f16_f32_e32 v97, v97
	v_cvt_f32_f16_e32 v94, v82
	v_cvt_f32_f16_e32 v95, v84
	v_cvt_f32_f16_e32 v96, v93
	v_cvt_f32_f16_e32 v97, v97
	s_nop 1
	v_mfma_f32_16x16x16f16 v[94:97], v[98:99], v[72:73], v[94:97]
	s_nop 7
	s_nop 2
	v_cvt_f16_f32_e32 v82, v94
	v_cvt_f16_f32_e32 v84, v95
	v_cvt_f16_f32_e32 v93, v96
	v_cvt_f16_f32_e32 v94, v97
	v_cvt_f32_f16_sdwa v95, v88 dst_sel:DWORD dst_unused:UNUSED_PAD src0_sel:WORD_1
	v_pack_b32_f16 v84, v82, v84
	v_cvt_f32_f16_e32 v96, v86
	v_pack_b32_f16 v82, v93, v94
	ds_read_u16 v93, v87 offset:96
	ds_read_u16 v98, v206 offset:240
	ds_read_u16 v99, v206 offset:480
	ds_read_u16 v213, v91 offset:96
	v_cvt_f32_f16_e32 v94, v88
	v_cvt_f32_f16_sdwa v97, v86 dst_sel:DWORD dst_unused:UNUSED_PAD src0_sel:WORD_1
	s_waitcnt lgkmcnt(2)
	v_perm_b32 v98, v98, v93, s91
	s_waitcnt lgkmcnt(0)
	;; [unrolled: 41-line block ×3, first 2 shown]
	v_perm_b32 v93, v213, v93, s91
	s_nop 1
	v_mfma_f32_16x16x16f16 v[92:95], v[92:93], v[74:75], v[94:97]
	s_nop 6
	ds_read_u16 v96, v109 offset:7680
	ds_read_u16 v98, v110 offset:240
	;; [unrolled: 1-line block ×4, first 2 shown]
	s_waitcnt lgkmcnt(2)
	v_perm_b32 v96, v98, v96, s91
	s_waitcnt lgkmcnt(0)
	v_perm_b32 v97, v99, v97, s91
	v_cvt_f16_f32_e32 v90, v92
	v_cvt_f16_f32_e32 v93, v93
	;; [unrolled: 1-line block ×4, first 2 shown]
	v_cvt_f32_f16_e32 v92, v90
	v_cvt_f32_f16_e32 v93, v93
	;; [unrolled: 1-line block ×4, first 2 shown]
	s_nop 1
	v_mfma_f32_16x16x16f16 v[92:95], v[96:97], v[72:73], v[92:95]
	v_cvt_f32_f16_e32 v96, v78
	v_cvt_f32_f16_sdwa v97, v78 dst_sel:DWORD dst_unused:UNUSED_PAD src0_sel:WORD_1
	s_nop 7
	s_nop 0
	v_cvt_f16_f32_e32 v90, v92
	v_cvt_f16_f32_e32 v92, v93
	;; [unrolled: 1-line block ×4, first 2 shown]
	v_cvt_f32_f16_sdwa v95, v79 dst_sel:DWORD dst_unused:UNUSED_PAD src0_sel:WORD_1
	v_pack_b32_f16 v92, v90, v92
	v_pack_b32_f16 v90, v93, v94
	ds_read_u16 v93, v87 offset:160
	ds_read_u16 v98, v208 offset:240
	;; [unrolled: 1-line block ×4, first 2 shown]
	v_cvt_f32_f16_e32 v94, v79
	s_waitcnt lgkmcnt(2)
	v_perm_b32 v78, v98, v93, s91
	s_waitcnt lgkmcnt(0)
	v_perm_b32 v79, v213, v99, s91
	ds_read_u16 v98, v112 offset:7680
	ds_read_u16 v99, v113 offset:240
	;; [unrolled: 1-line block ×4, first 2 shown]
	v_mfma_f32_16x16x16f16 v[94:97], v[78:79], v[74:75], v[94:97]
	s_nop 7
	s_nop 2
	v_cvt_f16_f32_e32 v78, v94
	v_cvt_f16_f32_e32 v79, v95
	;; [unrolled: 1-line block ×4, first 2 shown]
	v_cvt_f32_f16_e32 v94, v78
	v_cvt_f32_f16_e32 v95, v79
	s_waitcnt lgkmcnt(0)
	v_perm_b32 v79, v214, v213, s91
	v_perm_b32 v78, v99, v98, s91
	v_cvt_f32_f16_e32 v96, v93
	v_cvt_f32_f16_e32 v97, v97
	;; [unrolled: 1-line block ×3, first 2 shown]
	v_cvt_f32_f16_sdwa v99, v76 dst_sel:DWORD dst_unused:UNUSED_PAD src0_sel:WORD_1
	v_mfma_f32_16x16x16f16 v[94:97], v[78:79], v[72:73], v[94:97]
	s_nop 7
	s_nop 2
	v_cvt_f16_f32_e32 v78, v94
	v_cvt_f16_f32_e32 v79, v95
	v_cvt_f16_f32_e32 v94, v96
	v_cvt_f16_f32_e32 v95, v97
	v_cvt_f32_f16_e32 v96, v77
	v_pack_b32_f16 v93, v78, v79
	v_cvt_f32_f16_sdwa v97, v77 dst_sel:DWORD dst_unused:UNUSED_PAD src0_sel:WORD_1
	v_pack_b32_f16 v94, v94, v95
	ds_read_u16 v78, v87 offset:192
	ds_read_u16 v79, v209 offset:240
	;; [unrolled: 1-line block ×4, first 2 shown]
	s_waitcnt lgkmcnt(2)
	v_perm_b32 v76, v79, v78, s91
	s_waitcnt lgkmcnt(0)
	v_perm_b32 v77, v213, v95, s91
	s_nop 1
	v_mfma_f32_16x16x16f16 v[74:77], v[76:77], v[74:75], v[96:99]
	ds_read_u16 v78, v115 offset:7680
	ds_read_u16 v95, v116 offset:240
	;; [unrolled: 1-line block ×3, first 2 shown]
	s_nop 3
	ds_read_u16 v96, v117 offset:7680
	s_waitcnt lgkmcnt(0)
	s_barrier
	v_perm_b32 v78, v95, v78, s91
	v_perm_b32 v79, v96, v79, s91
	v_cvt_f16_f32_e32 v74, v74
	v_cvt_f16_f32_e32 v75, v75
	;; [unrolled: 1-line block ×4, first 2 shown]
	v_cvt_f32_f16_e32 v74, v74
	v_cvt_f32_f16_e32 v75, v75
	;; [unrolled: 1-line block ×4, first 2 shown]
	s_nop 1
	v_mfma_f32_16x16x16f16 v[72:75], v[78:79], v[72:73], v[74:77]
	s_nop 7
	s_nop 2
	v_cvt_f16_f32_e32 v72, v72
	v_cvt_f16_f32_e32 v73, v73
	;; [unrolled: 1-line block ×4, first 2 shown]
	v_pack_b32_f16 v96, v72, v73
	v_pack_b32_f16 v95, v74, v75
	s_cbranch_scc0 .LBB19_55
; %bb.54:                               ;   in Loop: Header=BB19_49 Depth=2
	v_mov_b32_e32 v99, v45
	v_mov_b32_e32 v213, v66
	s_branch .LBB19_49
.LBB19_55:                              ;   in Loop: Header=BB19_14 Depth=1
	s_lshl_b32 s18, s53, 6
	s_ashr_i32 s19, s18, 31
	s_lshl_b64 s[80:81], s[18:19], 1
	v_mov_b32_e32 v21, s81
	v_add_co_u32_e32 v63, vcc, s80, v62
	v_addc_co_u32_e32 v21, vcc, v59, v21, vcc
	v_lshlrev_b32_e32 v67, 1, v46
	v_add_co_u32_e32 v63, vcc, v63, v67
	v_addc_co_u32_e32 v21, vcc, 0, v21, vcc
	v_lshlrev_b64 v[68:69], 1, v[68:69]
	v_add_co_u32_e32 v68, vcc, v63, v68
	v_addc_co_u32_e32 v69, vcc, v21, v69, vcc
	v_lshlrev_b64 v[70:71], 1, v[70:71]
	v_add_co_u32_e32 v70, vcc, v63, v70
	v_addc_co_u32_e32 v71, vcc, v21, v71, vcc
	global_load_dword v21, v[68:69], off
	global_load_dword v63, v[70:71], off
	s_mul_hi_i32 s81, s28, s18
	s_mul_i32 s80, s28, s18
	s_lshl_b64 s[80:81], s[80:81], 2
	s_add_u32 s53, s6, s80
	v_add_u32_e32 v67, v141, v201
	s_addc_u32 s19, s59, s81
	s_waitcnt vmcnt(1)
	ds_write_b32 v67, v21 offset:15360
	s_waitcnt vmcnt(0)
	ds_write_b32 v67, v63 offset:16512
	s_and_saveexec_b64 s[80:81], s[0:1]
	s_cbranch_execz .LBB19_57
; %bb.56:                               ;   in Loop: Header=BB19_14 Depth=1
	v_mov_b32_e32 v21, s19
	v_add_co_u32_e32 v63, vcc, s53, v36
	v_addc_co_u32_e32 v21, vcc, v21, v37, vcc
	v_lshlrev_b32_e32 v67, 2, v16
	v_add_co_u32_e32 v68, vcc, v63, v67
	v_addc_co_u32_e32 v69, vcc, 0, v21, vcc
	global_load_dwordx4 v[68:71], v[68:69], off offset:192
	s_waitcnt vmcnt(0)
	ds_write_b128 v120, v[68:71]
.LBB19_57:                              ;   in Loop: Header=BB19_14 Depth=1
	s_or_b64 exec, exec, s[80:81]
	v_add_co_u32_e32 v21, vcc, s53, v38
	v_mov_b32_e32 v63, s19
	v_addc_co_u32_e32 v63, vcc, v63, v39, vcc
	v_lshlrev_b32_e32 v68, 2, v18
	v_add_co_u32_e32 v70, vcc, v21, v68
	v_addc_co_u32_e32 v71, vcc, 0, v63, vcc
	global_load_dwordx4 v[70:73], v[70:71], off offset:128
	v_add_co_u32_e32 v21, vcc, s53, v40
	v_mov_b32_e32 v63, s19
	v_addc_co_u32_e32 v63, vcc, v63, v41, vcc
	v_lshlrev_b32_e32 v67, 2, v20
	s_waitcnt vmcnt(0)
	ds_write_b128 v118, v[70:73]
	v_add_co_u32_e32 v70, vcc, v21, v67
	v_addc_co_u32_e32 v71, vcc, 0, v63, vcc
	global_load_dwordx4 v[70:73], v[70:71], off
	v_add_co_u32_e32 v21, vcc, s53, v42
	v_mov_b32_e32 v63, s19
	v_addc_co_u32_e32 v63, vcc, v63, v43, vcc
	s_mul_hi_i32 s19, s18, s22
	s_mul_i32 s18, s18, s22
	s_lshl_b64 s[18:19], s[18:19], 2
	s_add_u32 s80, s71, s18
	s_addc_u32 s53, s58, s19
	s_waitcnt vmcnt(0)
	ds_write_b128 v119, v[70:73]
	v_add_co_u32_e32 v70, vcc, v21, v67
	v_addc_co_u32_e32 v71, vcc, 0, v63, vcc
	global_load_dwordx4 v[70:73], v[70:71], off
	v_add_u32_e32 v21, v49, v133
	v_add_u32_e32 v63, 0x1800, v21
	s_waitcnt vmcnt(0)
	ds_write_b128 v210, v[70:73]
	s_waitcnt lgkmcnt(0)
	s_barrier
	ds_read2_b64 v[70:73], v21 offset1:4
	s_waitcnt lgkmcnt(0)
	v_mfma_f32_16x16x16f16 v[74:77], v[70:71], v[10:11], 0
	v_mfma_f32_16x16x16f16 v[70:73], v[72:73], v[12:13], v[74:77]
	s_nop 7
	s_nop 1
	ds_read2_b64 v[74:77], v21 offset0:8 offset1:12
	s_waitcnt lgkmcnt(0)
	v_mfma_f32_16x16x16f16 v[70:73], v[74:75], v[6:7], v[70:73]
	v_mfma_f32_16x16x16f16 v[70:73], v[76:77], v[8:9], v[70:73]
	ds_read2_b64 v[74:77], v21 offset0:16 offset1:20
	s_waitcnt lgkmcnt(0)
	v_mfma_f32_16x16x16f16 v[70:73], v[74:75], v[2:3], v[70:73]
	ds_read_b64 v[74:75], v21 offset:192
	v_mfma_f32_16x16x16f16 v[70:73], v[76:77], v[4:5], v[70:73]
	s_waitcnt lgkmcnt(0)
	v_mfma_f32_16x16x16f16 v[70:73], v[74:75], v[64:65], v[70:73]
	ds_read2_b64 v[74:77], v63 offset0:192 offset1:196
	s_waitcnt lgkmcnt(0)
	v_mfma_f32_16x16x16f16 v[214:217], v[74:75], v[10:11], 0
	v_mfma_f32_16x16x16f16 v[10:13], v[76:77], v[12:13], v[214:217]
	ds_read2_b64 v[74:77], v63 offset0:200 offset1:204
	s_waitcnt lgkmcnt(0)
	v_mfma_f32_16x16x16f16 v[10:13], v[74:75], v[6:7], v[10:13]
	v_mfma_f32_16x16x16f16 v[6:9], v[76:77], v[8:9], v[10:13]
	s_nop 7
	s_nop 1
	ds_read2_b64 v[10:13], v63 offset0:208 offset1:212
	s_waitcnt lgkmcnt(0)
	v_mfma_f32_16x16x16f16 v[6:9], v[10:11], v[2:3], v[6:9]
	v_mfma_f32_16x16x16f16 v[2:5], v[12:13], v[4:5], v[6:9]
	s_nop 7
	s_nop 1
	ds_read_b64 v[6:7], v21 offset:7872
	s_waitcnt lgkmcnt(0)
	v_mfma_f32_16x16x16f16 v[74:77], v[6:7], v[64:65], v[2:5]
	s_nop 6
	v_add_u32_e32 v2, 0x3c00, v85
	v_and_b32_e32 v3, 64, v198
	s_barrier
	ds_read2_b32 v[4:5], v2 offset1:1
	ds_read_b32 v2, v134 offset:15360
	ds_read_b32 v12, v135 offset:15360
	v_add_u32_e32 v6, 64, v3
	v_xor_b32_e32 v3, 32, v198
	v_cmp_lt_i32_e32 vcc, v3, v6
	v_xor_b32_e32 v7, 16, v198
	v_cndmask_b32_e32 v3, v198, v3, vcc
	v_cmp_lt_i32_e32 vcc, v7, v6
	v_cndmask_b32_e32 v6, v198, v7, vcc
	s_waitcnt lgkmcnt(2)
	v_cvt_f32_f16_e32 v8, v4
	v_cvt_f32_f16_sdwa v9, v4 dst_sel:DWORD dst_unused:UNUSED_PAD src0_sel:WORD_1
	v_lshlrev_b32_e32 v21, 2, v6
	v_cvt_f32_f16_e32 v6, v5
	v_cvt_f32_f16_sdwa v7, v5 dst_sel:DWORD dst_unused:UNUSED_PAD src0_sel:WORD_1
	v_pk_add_f32 v[10:11], v[70:71], v[8:9]
	v_add_f32_e32 v4, 0x40051340, v10
	v_add_f32_e32 v8, 0x40051340, v11
	v_pk_add_f32 v[6:7], v[72:73], v[6:7]
	v_add_f32_e32 v5, 0x40051340, v6
	v_add_f32_e32 v13, 0x40051340, v7
	v_max3_f32 v4, v66, v4, v8
	s_waitcnt lgkmcnt(1)
	v_cvt_f32_f16_sdwa v9, v2 dst_sel:DWORD dst_unused:UNUSED_PAD src0_sel:WORD_1
	v_cvt_f32_f16_e32 v8, v2
	v_max3_f32 v13, v4, v5, v13
	s_waitcnt lgkmcnt(0)
	v_cvt_f32_f16_sdwa v5, v12 dst_sel:DWORD dst_unused:UNUSED_PAD src0_sel:WORD_1
	v_cvt_f32_f16_e32 v4, v12
	v_pk_add_f32 v[8:9], v[74:75], v[8:9]
	v_add_f32_e32 v2, 0x40051340, v8
	v_add_f32_e32 v64, 0x40051340, v9
	v_pk_add_f32 v[4:5], v[76:77], v[4:5]
	v_add_f32_e32 v12, 0x40051340, v4
	v_add_f32_e32 v63, 0x40051340, v5
	v_max3_f32 v2, v13, v2, v64
	v_lshlrev_b32_e32 v3, 2, v3
	v_max3_f32 v2, v2, v12, v63
	ds_bpermute_b32 v12, v3, v2
	s_waitcnt lgkmcnt(0)
	v_max_f32_e32 v12, v12, v12
	v_max_f32_e32 v2, v2, v12
	ds_bpermute_b32 v12, v21, v2
	s_and_saveexec_b64 s[18:19], s[0:1]
	s_cbranch_execz .LBB19_59
; %bb.58:                               ;   in Loop: Header=BB19_14 Depth=1
	v_mov_b32_e32 v13, s53
	v_add_co_u32_e32 v63, vcc, s80, v24
	v_addc_co_u32_e32 v13, vcc, v13, v25, vcc
	v_lshlrev_b32_e32 v64, 2, v16
	v_add_co_u32_e32 v64, vcc, v63, v64
	v_addc_co_u32_e32 v65, vcc, 0, v13, vcc
	global_load_dwordx4 v[70:73], v[64:65], off offset:192
	s_waitcnt vmcnt(0)
	ds_write_b128 v51, v[70:73]
.LBB19_59:                              ;   in Loop: Header=BB19_14 Depth=1
	s_or_b64 exec, exec, s[18:19]
	s_waitcnt lgkmcnt(0)
	v_max_f32_e32 v12, v12, v12
	v_max_f32_e32 v2, v2, v2
	;; [unrolled: 1-line block ×3, first 2 shown]
	v_pk_add_f32 v[10:11], v[10:11], v[2:3] op_sel_hi:[1,0] neg_lo:[0,1] neg_hi:[0,1]
	v_mul_f32_e32 v12, 0x3fb8aa3b, v11
	v_fma_f32 v13, v11, s9, -v12
	v_rndne_f32_e32 v63, v12
	v_fmac_f32_e32 v13, 0x32a5705f, v11
	v_sub_f32_e32 v12, v12, v63
	v_add_f32_e32 v12, v12, v13
	v_exp_f32_e32 v12, v12
	v_cvt_i32_f32_e32 v13, v63
	v_cmp_ngt_f32_e32 vcc, s35, v11
	v_pk_add_f32 v[6:7], v[6:7], v[2:3] op_sel_hi:[1,0] neg_lo:[0,1] neg_hi:[0,1]
	v_pk_add_f32 v[4:5], v[4:5], v[2:3] op_sel_hi:[1,0] neg_lo:[0,1] neg_hi:[0,1]
	v_ldexp_f32 v12, v12, v13
	v_cndmask_b32_e32 v12, 0, v12, vcc
	v_cmp_nlt_f32_e32 vcc, s89, v11
	v_mul_f32_e32 v11, 0x3fb8aa3b, v10
	v_cndmask_b32_e32 v64, v212, v12, vcc
	v_fma_f32 v12, v10, s9, -v11
	v_rndne_f32_e32 v13, v11
	v_fmac_f32_e32 v12, 0x32a5705f, v10
	v_sub_f32_e32 v11, v11, v13
	v_add_f32_e32 v11, v11, v12
	v_exp_f32_e32 v11, v11
	v_cvt_i32_f32_e32 v12, v13
	v_cmp_ngt_f32_e32 vcc, s35, v10
	s_cmp_eq_u64 s[78:79], 0
	s_cselect_b64 s[18:19], -1, 0
	v_ldexp_f32 v11, v11, v12
	v_cndmask_b32_e32 v11, 0, v11, vcc
	v_cmp_nlt_f32_e32 vcc, s89, v10
	v_mul_f32_e32 v10, 0x3fb8aa3b, v7
	v_cndmask_b32_e32 v65, v212, v11, vcc
	v_fma_f32 v11, v7, s9, -v10
	v_rndne_f32_e32 v12, v10
	v_fmac_f32_e32 v11, 0x32a5705f, v7
	v_sub_f32_e32 v10, v10, v12
	v_add_f32_e32 v10, v10, v11
	v_exp_f32_e32 v10, v10
	v_cvt_i32_f32_e32 v11, v12
	v_cmp_ngt_f32_e32 vcc, s35, v7
	v_ldexp_f32 v10, v10, v11
	v_cndmask_b32_e32 v10, 0, v10, vcc
	v_cmp_nlt_f32_e32 vcc, s89, v7
	v_mul_f32_e32 v7, 0x3fb8aa3b, v6
	v_cndmask_b32_e32 v69, v212, v10, vcc
	v_fma_f32 v10, v6, s9, -v7
	v_rndne_f32_e32 v11, v7
	v_fmac_f32_e32 v10, 0x32a5705f, v6
	v_sub_f32_e32 v7, v7, v11
	v_add_f32_e32 v7, v7, v10
	v_exp_f32_e32 v7, v7
	v_cvt_i32_f32_e32 v10, v11
	v_cmp_ngt_f32_e32 vcc, s35, v6
	v_ldexp_f32 v7, v7, v10
	v_cndmask_b32_e32 v7, 0, v7, vcc
	v_cmp_nlt_f32_e32 vcc, s89, v6
	v_cndmask_b32_e32 v70, v212, v7, vcc
	v_pk_add_f32 v[6:7], v[8:9], v[2:3] op_sel_hi:[1,0] neg_lo:[0,1] neg_hi:[0,1]
	v_mul_f32_e32 v8, 0x3fb8aa3b, v7
	v_fma_f32 v9, v7, s9, -v8
	v_rndne_f32_e32 v10, v8
	v_fmac_f32_e32 v9, 0x32a5705f, v7
	v_sub_f32_e32 v8, v8, v10
	v_add_f32_e32 v8, v8, v9
	v_exp_f32_e32 v8, v8
	v_cvt_i32_f32_e32 v9, v10
	v_cmp_ngt_f32_e32 vcc, s35, v7
	v_ldexp_f32 v8, v8, v9
	v_cndmask_b32_e32 v8, 0, v8, vcc
	v_cmp_nlt_f32_e32 vcc, s89, v7
	v_mul_f32_e32 v7, 0x3fb8aa3b, v6
	v_cndmask_b32_e32 v71, v212, v8, vcc
	v_fma_f32 v8, v6, s9, -v7
	v_rndne_f32_e32 v9, v7
	v_fmac_f32_e32 v8, 0x32a5705f, v6
	v_sub_f32_e32 v7, v7, v9
	v_add_f32_e32 v7, v7, v8
	v_exp_f32_e32 v7, v7
	v_cvt_i32_f32_e32 v8, v9
	v_cmp_ngt_f32_e32 vcc, s35, v6
	v_ldexp_f32 v7, v7, v8
	v_cndmask_b32_e32 v7, 0, v7, vcc
	v_cmp_nlt_f32_e32 vcc, s89, v6
	v_mul_f32_e32 v6, 0x3fb8aa3b, v5
	v_cndmask_b32_e32 v72, v212, v7, vcc
	v_fma_f32 v7, v5, s9, -v6
	v_rndne_f32_e32 v8, v6
	v_fmac_f32_e32 v7, 0x32a5705f, v5
	v_sub_f32_e32 v6, v6, v8
	v_add_f32_e32 v6, v6, v7
	v_exp_f32_e32 v6, v6
	v_cvt_i32_f32_e32 v7, v8
	v_cmp_ngt_f32_e32 vcc, s35, v5
	v_ldexp_f32 v6, v6, v7
	v_cndmask_b32_e32 v6, 0, v6, vcc
	v_cmp_nlt_f32_e32 vcc, s89, v5
	v_cndmask_b32_e32 v5, v212, v6, vcc
	v_mul_f32_e32 v6, 0x3fb8aa3b, v4
	v_fma_f32 v7, v4, s9, -v6
	v_rndne_f32_e32 v8, v6
	v_fmac_f32_e32 v7, 0x32a5705f, v4
	v_sub_f32_e32 v6, v6, v8
	v_add_f32_e32 v6, v6, v7
	v_exp_f32_e32 v6, v6
	v_cvt_i32_f32_e32 v7, v8
	v_cmp_ngt_f32_e32 vcc, s35, v4
	v_ldexp_f32 v6, v6, v7
	v_cndmask_b32_e32 v6, 0, v6, vcc
	v_cmp_nlt_f32_e32 vcc, s89, v4
	v_add_f32_e32 v4, v65, v64
	v_add_f32_e32 v4, v70, v4
	;; [unrolled: 1-line block ×4, first 2 shown]
	v_cndmask_b32_e32 v73, v212, v6, vcc
	v_add_f32_e32 v4, v71, v4
	v_add_f32_e32 v4, v73, v4
	;; [unrolled: 1-line block ×3, first 2 shown]
	v_sub_f32_e32 v4, v66, v2
	v_mul_f32_e32 v6, 0x3fb8aa3b, v4
	v_fma_f32 v7, v4, s9, -v6
	v_rndne_f32_e32 v8, v6
	v_fmac_f32_e32 v7, 0x32a5705f, v4
	v_sub_f32_e32 v6, v6, v8
	v_add_f32_e32 v6, v6, v7
	v_exp_f32_e32 v6, v6
	v_cvt_i32_f32_e32 v7, v8
	v_cmp_ngt_f32_e32 vcc, s35, v4
	v_cvt_f16_f32_e32 v64, v64
	v_cvt_f16_f32_e32 v65, v65
	v_ldexp_f32 v6, v6, v7
	v_cndmask_b32_e32 v6, 0, v6, vcc
	v_cmp_nlt_f32_e32 vcc, s89, v4
	v_cndmask_b32_e32 v6, v212, v6, vcc
	v_cmp_le_f32_e32 vcc, s90, v4
	v_cndmask_b32_e32 v4, 0, v6, vcc
	v_fmac_f32_e32 v63, v45, v4
	v_cvt_f16_f32_e32 v4, v4
	v_pack_b32_f16 v64, v65, v64
	v_cvt_f16_f32_e32 v65, v69
	v_cvt_f16_f32_e32 v69, v70
	v_pk_mul_f16 v6, v4, v15 op_sel_hi:[0,1]
	v_pk_mul_f16 v1, v4, v1 op_sel_hi:[0,1]
	;; [unrolled: 1-line block ×14, first 2 shown]
	v_cvt_f16_f32_e32 v4, v71
	v_cvt_f16_f32_e32 v71, v72
	;; [unrolled: 1-line block ×3, first 2 shown]
	v_pack_b32_f16 v65, v69, v65
	v_add_co_u32_e32 v69, vcc, s80, v28
	v_pack_b32_f16 v4, v71, v4
	v_cvt_f16_f32_e32 v71, v73
	v_mov_b32_e32 v70, s53
	v_addc_co_u32_e32 v70, vcc, v70, v29, vcc
	v_add_co_u32_e32 v68, vcc, v69, v68
	v_addc_co_u32_e32 v69, vcc, 0, v70, vcc
	v_pack_b32_f16 v5, v71, v5
	global_load_dwordx4 v[68:71], v[68:69], off offset:128
	ds_bpermute_b32 v3, v3, v63
	s_waitcnt lgkmcnt(0)
	v_add_f32_e32 v3, v63, v3
	s_waitcnt vmcnt(0)
	ds_write_b128 v118, v[68:71]
	v_add_co_u32_e32 v68, vcc, s80, v30
	v_mov_b32_e32 v69, s53
	v_addc_co_u32_e32 v69, vcc, v69, v31, vcc
	v_add_co_u32_e32 v68, vcc, v68, v67
	v_addc_co_u32_e32 v69, vcc, 0, v69, vcc
	global_load_dwordx4 v[68:71], v[68:69], off
	s_waitcnt vmcnt(0)
	ds_write_b128 v119, v[68:71]
	v_add_co_u32_e32 v68, vcc, s80, v34
	v_mov_b32_e32 v69, s53
	v_addc_co_u32_e32 v69, vcc, v69, v35, vcc
	v_add_co_u32_e32 v68, vcc, v68, v67
	v_addc_co_u32_e32 v69, vcc, 0, v69, vcc
	global_load_dwordx4 v[68:71], v[68:69], off
	s_xor_b64 s[80:81], s[2:3], -1
	s_or_b64 s[18:19], s[80:81], s[18:19]
	s_waitcnt vmcnt(0)
	ds_write_b128 v210, v[68:71]
	s_waitcnt lgkmcnt(0)
	s_barrier
	ds_read_u16 v67, v89 offset:240
	ds_read_u16 v72, v89 offset:480
	v_cvt_f32_f16_e32 v70, v1
	v_cvt_f32_f16_sdwa v71, v1 dst_sel:DWORD dst_unused:UNUSED_PAD src0_sel:WORD_1
	ds_read_u16 v1, v91
	ds_read_u16 v74, v91 offset:32
	v_cvt_f32_f16_e32 v68, v6
	v_cvt_f32_f16_sdwa v69, v6 dst_sel:DWORD dst_unused:UNUSED_PAD src0_sel:WORD_1
	s_waitcnt lgkmcnt(1)
	v_perm_b32 v73, v1, v72, s91
	ds_read_u16 v1, v87
	ds_read_u16 v75, v87 offset:32
	s_waitcnt lgkmcnt(1)
	v_perm_b32 v72, v67, v1, s91
	s_nop 1
	v_mfma_f32_16x16x16f16 v[68:71], v[72:73], v[64:65], v[68:71]
	ds_read_u16 v72, v87 offset:7680
	ds_read_u16 v76, v203 offset:240
	ds_read_u16 v73, v203 offset:480
	ds_read_u16 v77, v91 offset:7680
	s_waitcnt lgkmcnt(2)
	v_perm_b32 v72, v76, v72, s91
	s_waitcnt lgkmcnt(0)
	v_perm_b32 v73, v77, v73, s91
	s_nop 2
	v_cvt_f16_f32_e32 v1, v68
	v_cvt_f16_f32_e32 v6, v69
	;; [unrolled: 1-line block ×4, first 2 shown]
	v_cvt_f32_f16_e32 v68, v1
	v_cvt_f32_f16_e32 v69, v6
	;; [unrolled: 1-line block ×4, first 2 shown]
	s_nop 1
	v_mfma_f32_16x16x16f16 v[68:71], v[72:73], v[4:5], v[68:71]
	s_nop 7
	s_nop 2
	v_cvt_f16_f32_e32 v1, v68
	v_cvt_f16_f32_e32 v6, v69
	v_cvt_f16_f32_e32 v67, v70
	v_cvt_f16_f32_e32 v68, v71
	v_cvt_f32_f16_sdwa v69, v8 dst_sel:DWORD dst_unused:UNUSED_PAD src0_sel:WORD_1
	v_pack_b32_f16 v6, v1, v6
	v_cvt_f32_f16_e32 v70, v7
	v_pack_b32_f16 v1, v67, v68
	ds_read_u16 v67, v204 offset:240
	ds_read_u16 v72, v204 offset:480
	v_cvt_f32_f16_e32 v68, v8
	v_cvt_f32_f16_sdwa v71, v7 dst_sel:DWORD dst_unused:UNUSED_PAD src0_sel:WORD_1
	s_waitcnt lgkmcnt(0)
	v_perm_b32 v73, v74, v72, s91
	v_perm_b32 v72, v67, v75, s91
	s_nop 1
	v_mfma_f32_16x16x16f16 v[68:71], v[72:73], v[64:65], v[68:71]
	ds_read_u16 v72, v100 offset:7680
	ds_read_u16 v74, v101 offset:240
	ds_read_u16 v73, v101 offset:480
	ds_read_u16 v75, v102 offset:7680
	s_waitcnt lgkmcnt(2)
	v_perm_b32 v72, v74, v72, s91
	s_waitcnt lgkmcnt(0)
	v_perm_b32 v73, v75, v73, s91
	s_nop 2
	v_cvt_f16_f32_e32 v7, v68
	v_cvt_f16_f32_e32 v8, v69
	v_cvt_f16_f32_e32 v67, v70
	v_cvt_f16_f32_e32 v71, v71
	v_cvt_f32_f16_e32 v68, v7
	v_cvt_f32_f16_e32 v69, v8
	v_cvt_f32_f16_e32 v70, v67
	v_cvt_f32_f16_e32 v71, v71
	s_nop 1
	v_mfma_f32_16x16x16f16 v[68:71], v[72:73], v[4:5], v[68:71]
	s_nop 7
	s_nop 2
	v_cvt_f16_f32_e32 v7, v68
	v_cvt_f16_f32_e32 v8, v69
	v_cvt_f16_f32_e32 v67, v70
	v_cvt_f16_f32_e32 v68, v71
	v_cvt_f32_f16_sdwa v69, v10 dst_sel:DWORD dst_unused:UNUSED_PAD src0_sel:WORD_1
	v_pack_b32_f16 v8, v7, v8
	v_cvt_f32_f16_e32 v70, v9
	v_pack_b32_f16 v7, v67, v68
	ds_read_u16 v67, v87 offset:64
	ds_read_u16 v72, v205 offset:240
	ds_read_u16 v73, v205 offset:480
	ds_read_u16 v74, v91 offset:64
	v_cvt_f32_f16_e32 v68, v10
	v_cvt_f32_f16_sdwa v71, v9 dst_sel:DWORD dst_unused:UNUSED_PAD src0_sel:WORD_1
	s_waitcnt lgkmcnt(2)
	v_perm_b32 v72, v72, v67, s91
	s_waitcnt lgkmcnt(0)
	v_perm_b32 v73, v74, v73, s91
	s_nop 1
	v_mfma_f32_16x16x16f16 v[68:71], v[72:73], v[64:65], v[68:71]
	ds_read_u16 v72, v103 offset:7680
	ds_read_u16 v74, v104 offset:240
	ds_read_u16 v73, v104 offset:480
	ds_read_u16 v75, v105 offset:7680
	s_waitcnt lgkmcnt(2)
	v_perm_b32 v72, v74, v72, s91
	s_waitcnt lgkmcnt(0)
	v_perm_b32 v73, v75, v73, s91
	s_nop 2
	v_cvt_f16_f32_e32 v9, v68
	v_cvt_f16_f32_e32 v10, v69
	v_cvt_f16_f32_e32 v67, v70
	v_cvt_f16_f32_e32 v71, v71
	v_cvt_f32_f16_e32 v68, v9
	v_cvt_f32_f16_e32 v69, v10
	v_cvt_f32_f16_e32 v70, v67
	v_cvt_f32_f16_e32 v71, v71
	s_nop 1
	v_mfma_f32_16x16x16f16 v[68:71], v[72:73], v[4:5], v[68:71]
	s_nop 7
	s_nop 2
	v_cvt_f16_f32_e32 v9, v68
	v_cvt_f16_f32_e32 v10, v69
	v_cvt_f16_f32_e32 v67, v70
	v_cvt_f16_f32_e32 v68, v71
	v_cvt_f32_f16_sdwa v69, v12 dst_sel:DWORD dst_unused:UNUSED_PAD src0_sel:WORD_1
	v_pack_b32_f16 v10, v9, v10
	v_cvt_f32_f16_e32 v70, v11
	v_pack_b32_f16 v9, v67, v68
	ds_read_u16 v67, v87 offset:96
	ds_read_u16 v72, v206 offset:240
	ds_read_u16 v73, v206 offset:480
	ds_read_u16 v74, v91 offset:96
	v_cvt_f32_f16_e32 v68, v12
	v_cvt_f32_f16_sdwa v71, v11 dst_sel:DWORD dst_unused:UNUSED_PAD src0_sel:WORD_1
	s_waitcnt lgkmcnt(2)
	v_perm_b32 v72, v72, v67, s91
	s_waitcnt lgkmcnt(0)
	;; [unrolled: 41-line block ×3, first 2 shown]
	v_perm_b32 v67, v74, v67, s91
	s_nop 1
	v_mfma_f32_16x16x16f16 v[66:69], v[66:67], v[64:65], v[68:71]
	s_nop 6
	ds_read_u16 v70, v109 offset:7680
	ds_read_u16 v72, v110 offset:240
	;; [unrolled: 1-line block ×4, first 2 shown]
	s_waitcnt lgkmcnt(2)
	v_perm_b32 v70, v72, v70, s91
	s_waitcnt lgkmcnt(0)
	v_perm_b32 v71, v73, v71, s91
	v_cvt_f16_f32_e32 v13, v66
	v_cvt_f16_f32_e32 v67, v67
	;; [unrolled: 1-line block ×4, first 2 shown]
	v_cvt_f32_f16_e32 v66, v13
	v_cvt_f32_f16_e32 v67, v67
	;; [unrolled: 1-line block ×4, first 2 shown]
	s_nop 1
	v_mfma_f32_16x16x16f16 v[66:69], v[70:71], v[4:5], v[66:69]
	v_cvt_f32_f16_e32 v70, v15
	v_cvt_f32_f16_sdwa v71, v15 dst_sel:DWORD dst_unused:UNUSED_PAD src0_sel:WORD_1
	s_nop 7
	s_nop 0
	v_cvt_f16_f32_e32 v13, v66
	v_cvt_f16_f32_e32 v66, v67
	;; [unrolled: 1-line block ×4, first 2 shown]
	v_cvt_f32_f16_sdwa v69, v45 dst_sel:DWORD dst_unused:UNUSED_PAD src0_sel:WORD_1
	v_pack_b32_f16 v66, v13, v66
	v_pack_b32_f16 v13, v67, v68
	ds_read_u16 v67, v87 offset:160
	ds_read_u16 v72, v208 offset:240
	;; [unrolled: 1-line block ×4, first 2 shown]
	v_cvt_f32_f16_e32 v68, v45
	s_waitcnt lgkmcnt(2)
	v_perm_b32 v72, v72, v67, s91
	s_waitcnt lgkmcnt(0)
	v_perm_b32 v73, v74, v73, s91
	s_nop 1
	v_mfma_f32_16x16x16f16 v[68:71], v[72:73], v[64:65], v[68:71]
	ds_read_u16 v72, v112 offset:7680
	ds_read_u16 v74, v113 offset:240
	;; [unrolled: 1-line block ×4, first 2 shown]
	s_waitcnt lgkmcnt(2)
	v_perm_b32 v72, v74, v72, s91
	s_waitcnt lgkmcnt(0)
	v_perm_b32 v73, v75, v73, s91
	s_nop 2
	v_cvt_f16_f32_e32 v15, v68
	v_cvt_f16_f32_e32 v45, v69
	;; [unrolled: 1-line block ×4, first 2 shown]
	v_cvt_f32_f16_e32 v68, v15
	v_cvt_f32_f16_e32 v69, v45
	;; [unrolled: 1-line block ×4, first 2 shown]
	s_nop 1
	v_mfma_f32_16x16x16f16 v[68:71], v[72:73], v[4:5], v[68:71]
	v_cvt_f32_f16_e32 v72, v27
	v_cvt_f32_f16_sdwa v73, v27 dst_sel:DWORD dst_unused:UNUSED_PAD src0_sel:WORD_1
	s_nop 7
	s_nop 0
	v_cvt_f16_f32_e32 v15, v68
	v_cvt_f16_f32_e32 v45, v69
	;; [unrolled: 1-line block ×4, first 2 shown]
	v_cvt_f32_f16_e32 v70, v33
	v_pack_b32_f16 v68, v15, v45
	v_cvt_f32_f16_sdwa v71, v33 dst_sel:DWORD dst_unused:UNUSED_PAD src0_sel:WORD_1
	v_pack_b32_f16 v15, v67, v69
	ds_read_u16 v45, v87 offset:192
	ds_read_u16 v67, v209 offset:240
	;; [unrolled: 1-line block ×4, first 2 shown]
	s_waitcnt lgkmcnt(0)
	v_perm_b32 v75, v74, v69, s91
	v_perm_b32 v74, v67, v45, s91
	s_nop 1
	v_mfma_f32_16x16x16f16 v[70:73], v[74:75], v[64:65], v[70:73]
	ds_read_u16 v67, v115 offset:7680
	ds_read_u16 v69, v116 offset:240
	ds_read_u16 v65, v116 offset:480
	ds_read_u16 v74, v117 offset:7680
	s_waitcnt lgkmcnt(0)
	s_barrier
	v_perm_b32 v65, v74, v65, s91
	s_nop 3
	v_cvt_f16_f32_e32 v64, v73
	v_cvt_f16_f32_e32 v27, v70
	;; [unrolled: 1-line block ×4, first 2 shown]
	v_cvt_f32_f16_e32 v73, v64
	v_perm_b32 v64, v69, v67, s91
	v_cvt_f32_f16_e32 v70, v27
	v_cvt_f32_f16_e32 v71, v33
	;; [unrolled: 1-line block ×3, first 2 shown]
	s_nop 1
	v_mfma_f32_16x16x16f16 v[70:73], v[64:65], v[4:5], v[70:73]
	s_nop 7
	s_nop 2
	v_cvt_f16_f32_e32 v4, v70
	v_cvt_f16_f32_e32 v5, v71
	;; [unrolled: 1-line block ×4, first 2 shown]
	v_pack_b32_f16 v4, v4, v5
	v_pack_b32_f16 v5, v27, v33
	ds_bpermute_b32 v27, v21, v3
	s_waitcnt lgkmcnt(0)
	v_add_f32_e32 v3, v3, v27
	s_and_saveexec_b64 s[80:81], s[18:19]
	s_xor_b64 s[18:19], exec, s[80:81]
	s_andn2_saveexec_b64 s[18:19], s[18:19]
	s_cbranch_execz .LBB19_61
; %bb.60:                               ;   in Loop: Header=BB19_14 Depth=1
	v_lshlrev_b32_e32 v27, 2, v26
	global_load_dword v27, v27, s[78:79]
	v_max_f32_e32 v45, v2, v2
	s_waitcnt vmcnt(0)
	v_max_f32_e32 v33, v27, v27
	v_max_f32_e32 v64, v45, v33
	v_sub_f32_e32 v2, v2, v64
	v_mul_f32_e32 v33, 0x3fb8aa3b, v2
	v_fma_f32 v45, v2, s9, -v33
	v_rndne_f32_e32 v63, v33
	v_fmac_f32_e32 v45, 0x32a5705f, v2
	v_sub_f32_e32 v33, v33, v63
	v_add_f32_e32 v33, v33, v45
	v_exp_f32_e32 v33, v33
	v_cvt_i32_f32_e32 v45, v63
	v_cmp_ngt_f32_e32 vcc, s35, v2
	v_sub_f32_e32 v27, v27, v64
	v_ldexp_f32 v33, v33, v45
	v_cndmask_b32_e32 v33, 0, v33, vcc
	v_cmp_nlt_f32_e32 vcc, s89, v2
	v_cndmask_b32_e32 v33, v212, v33, vcc
	v_cmp_le_f32_e32 vcc, s90, v2
	v_cndmask_b32_e32 v2, 0, v33, vcc
	v_cvt_f16_f32_e32 v33, v2
	v_cmp_ngt_f32_e32 vcc, s35, v27
	v_pk_mul_f16 v6, v33, v6 op_sel_hi:[0,1]
	v_pk_mul_f16 v1, v33, v1 op_sel_hi:[0,1]
	;; [unrolled: 1-line block ×14, first 2 shown]
	v_mul_f32_e32 v33, 0x3fb8aa3b, v27
	v_fma_f32 v45, v27, s9, -v33
	v_rndne_f32_e32 v63, v33
	v_fmac_f32_e32 v45, 0x32a5705f, v27
	v_sub_f32_e32 v33, v33, v63
	v_add_f32_e32 v33, v33, v45
	v_exp_f32_e32 v33, v33
	v_cvt_i32_f32_e32 v45, v63
	v_ldexp_f32 v33, v33, v45
	v_cndmask_b32_e32 v33, 0, v33, vcc
	v_cmp_nlt_f32_e32 vcc, s89, v27
	v_cndmask_b32_e32 v65, v212, v33, vcc
	v_fmac_f32_e32 v65, v3, v2
	v_pk_mov_b32 v[2:3], v[64:65], v[64:65] op_sel:[0,1]
.LBB19_61:                              ;   in Loop: Header=BB19_14 Depth=1
	s_or_b64 exec, exec, s[18:19]
	s_mov_b64 s[18:19], exec
	v_readlane_b32 s80, v234, 21
	v_readlane_b32 s81, v234, 22
	s_and_b64 s[80:81], s[18:19], s[80:81]
	s_mov_b64 exec, s[80:81]
	s_cbranch_execz .LBB19_63
; %bb.62:                               ;   in Loop: Header=BB19_14 Depth=1
	v_add_u32_e32 v27, 0, v136
	ds_write2_b32 v27, v2, v3 offset0:56 offset1:57
.LBB19_63:                              ;   in Loop: Header=BB19_14 Depth=1
	s_or_b64 exec, exec, s[18:19]
	s_waitcnt lgkmcnt(0)
	s_barrier
	s_mov_b64 s[18:19], exec
	v_readlane_b32 s80, v234, 19
	v_readlane_b32 s81, v234, 20
	s_and_b64 s[80:81], s[18:19], s[80:81]
	s_xor_b64 s[18:19], s[80:81], s[18:19]
	s_mov_b64 exec, s[80:81]
	s_cbranch_execz .LBB19_65
; %bb.64:                               ;   in Loop: Header=BB19_14 Depth=1
	s_barrier
	s_waitcnt lgkmcnt(0)
                                        ; implicit-def: $vgpr21
.LBB19_65:                              ;   in Loop: Header=BB19_14 Depth=1
	s_andn2_saveexec_b64 s[18:19], s[18:19]
	s_cbranch_execz .LBB19_71
; %bb.66:                               ;   in Loop: Header=BB19_14 Depth=1
	v_add_u32_e32 v3, 0, v137
	ds_read_b64 v[70:71], v3 offset:224
	s_waitcnt lgkmcnt(0)
	s_barrier
	ds_bpermute_b32 v2, v21, v70
	v_max_f32_e32 v27, v70, v70
	s_waitcnt lgkmcnt(0)
	v_max_f32_e32 v2, v2, v2
	v_max_f32_e32 v2, v27, v2
	v_sub_f32_e32 v27, v70, v2
	v_mul_f32_e32 v33, 0x3fb8aa3b, v27
	v_fma_f32 v45, v27, s9, -v33
	v_rndne_f32_e32 v63, v33
	v_fmac_f32_e32 v45, 0x32a5705f, v27
	v_sub_f32_e32 v33, v33, v63
	v_add_f32_e32 v33, v33, v45
	v_cvt_i32_f32_e32 v63, v63
	v_exp_f32_e32 v33, v33
	v_cmp_ngt_f32_e32 vcc, s35, v27
	v_ldexp_f32 v33, v33, v63
	v_cndmask_b32_e32 v33, 0, v33, vcc
	v_cmp_nlt_f32_e32 vcc, s89, v27
	v_cndmask_b32_e32 v64, v212, v33, vcc
	v_mul_f32_e32 v27, v71, v64
	ds_bpermute_b32 v65, v21, v27
	s_waitcnt lgkmcnt(0)
	v_fmac_f32_e32 v65, v71, v64
	s_mov_b64 s[80:81], exec
	v_readlane_b32 s82, v234, 23
	v_readlane_b32 s83, v234, 24
	s_and_b64 s[82:83], s[80:81], s[82:83]
	s_mov_b64 exec, s[82:83]
	s_cbranch_execz .LBB19_68
; %bb.67:                               ;   in Loop: Header=BB19_14 Depth=1
	ds_write_b64 v3, v[64:65] offset:224
.LBB19_68:                              ;   in Loop: Header=BB19_14 Depth=1
	s_or_b64 exec, exec, s[80:81]
	s_mov_b64 s[80:81], exec
	v_readlane_b32 s82, v234, 21
	v_readlane_b32 s83, v234, 22
	s_and_b64 s[82:83], s[80:81], s[82:83]
	s_mov_b64 exec, s[82:83]
	s_cbranch_execz .LBB19_70
; %bb.69:                               ;   in Loop: Header=BB19_14 Depth=1
	v_mov_b32_e32 v3, v65
	global_store_dwordx2 v[22:23], v[2:3], off
.LBB19_70:                              ;   in Loop: Header=BB19_14 Depth=1
	s_or_b64 exec, exec, s[80:81]
.LBB19_71:                              ;   in Loop: Header=BB19_14 Depth=1
	s_or_b64 exec, exec, s[18:19]
	ds_write2_b32 v138, v6, v1 offset1:1
	ds_write2_b32 v138, v8, v7 offset0:8 offset1:9
	ds_write2_b32 v138, v10, v9 offset0:16 offset1:17
	;; [unrolled: 1-line block ×6, first 2 shown]
	s_waitcnt lgkmcnt(0)
	s_barrier
	s_and_saveexec_b64 s[80:81], s[2:3]
	s_cbranch_execz .LBB19_133
; %bb.72:                               ;   in Loop: Header=BB19_14 Depth=1
	v_add_u32_e32 v2, s52, v148
	v_or_b32_e32 v1, s70, v56
	v_cmp_gt_i32_e64 s[18:19], s20, v2
	v_cmp_gt_i32_e32 vcc, s33, v1
	s_and_b64 s[18:19], s[18:19], vcc
	v_mov_b32_e32 v1, 0x47
	s_and_saveexec_b64 s[82:83], s[18:19]
	s_cbranch_execz .LBB19_74
; %bb.73:                               ;   in Loop: Header=BB19_14 Depth=1
	v_add_u32_e32 v1, 0, v149
	v_add_u32_e32 v1, 0xe0, v1
	ds_read2st64_b32 v[4:5], v1 offset1:15
	ds_read2st64_b32 v[6:7], v150 offset1:15
	v_mad_u64_u32 v[2:3], s[18:19], v2, s21, v[56:57]
	v_mad_u64_u32 v[2:3], s[18:19], v2, 56, v[44:45]
	s_waitcnt lgkmcnt(0)
	v_cvt_f32_f16_sdwa v9, v6 dst_sel:DWORD dst_unused:UNUSED_PAD src0_sel:WORD_1
	v_cvt_f32_f16_e32 v8, v6
	v_cvt_f32_f16_sdwa v11, v7 dst_sel:DWORD dst_unused:UNUSED_PAD src0_sel:WORD_1
	v_cvt_f32_f16_e32 v10, v7
	v_ashrrev_i32_e32 v3, 31, v2
	v_lshlrev_b64 v[2:3], 3, v[2:3]
	v_add_co_u32_e64 v2, s[18:19], s68, v2
	v_mov_b32_e32 v1, s69
	v_pk_fma_f32 v[8:9], v[4:5], v[8:9], 0 op_sel_hi:[0,1,0]
	v_mov_b32_e32 v4, v5
	v_addc_co_u32_e64 v3, s[18:19], v1, v3, s[18:19]
	v_pk_fma_f32 v[4:5], v[4:5], v[10:11], v[8:9] op_sel_hi:[0,1,1]
	v_mov_b32_e32 v1, 0
	global_store_dwordx2 v[2:3], v[4:5], off
.LBB19_74:                              ;   in Loop: Header=BB19_14 Depth=1
	s_or_b64 exec, exec, s[82:83]
	s_movk_i32 s18, 0x47
	v_cmp_gt_i32_e64 s[18:19], s18, v1
	s_mov_b64 s[84:85], -1
	s_and_saveexec_b64 s[82:83], s[18:19]
; %bb.75:                               ;   in Loop: Header=BB19_14 Depth=1
	v_cmp_eq_u32_e64 s[18:19], 0, v1
	s_orn2_b64 s[84:85], s[18:19], exec
; %bb.76:                               ;   in Loop: Header=BB19_14 Depth=1
	s_or_b64 exec, exec, s[82:83]
	s_and_saveexec_b64 s[82:83], s[84:85]
	s_cbranch_execz .LBB19_109
; %bb.77:                               ;   in Loop: Header=BB19_14 Depth=1
	v_add_u32_e32 v2, s52, v151
	v_cmp_gt_i32_e64 s[18:19], s20, v2
	s_and_b64 s[18:19], s[18:19], vcc
	v_mov_b32_e32 v1, 0x47
	s_and_saveexec_b64 s[84:85], s[18:19]
	s_cbranch_execz .LBB19_79
; %bb.78:                               ;   in Loop: Header=BB19_14 Depth=1
	v_add_u32_e32 v1, 0, v152
	v_add_u32_e32 v1, 0xe0, v1
	ds_read2st64_b32 v[4:5], v1 offset1:15
	ds_read2st64_b32 v[6:7], v153 offset1:15
	v_mad_u64_u32 v[2:3], s[18:19], v2, s21, v[56:57]
	v_mad_u64_u32 v[2:3], s[18:19], v2, 56, v[44:45]
	s_waitcnt lgkmcnt(0)
	v_cvt_f32_f16_sdwa v9, v6 dst_sel:DWORD dst_unused:UNUSED_PAD src0_sel:WORD_1
	v_cvt_f32_f16_e32 v8, v6
	v_cvt_f32_f16_sdwa v11, v7 dst_sel:DWORD dst_unused:UNUSED_PAD src0_sel:WORD_1
	v_cvt_f32_f16_e32 v10, v7
	v_ashrrev_i32_e32 v3, 31, v2
	v_lshlrev_b64 v[2:3], 3, v[2:3]
	v_add_co_u32_e64 v2, s[18:19], s68, v2
	v_mov_b32_e32 v1, s69
	v_pk_fma_f32 v[8:9], v[4:5], v[8:9], 0 op_sel_hi:[0,1,0]
	v_mov_b32_e32 v4, v5
	v_addc_co_u32_e64 v3, s[18:19], v1, v3, s[18:19]
	v_pk_fma_f32 v[4:5], v[4:5], v[10:11], v[8:9] op_sel_hi:[0,1,1]
	v_mov_b32_e32 v1, 0
	global_store_dwordx2 v[2:3], v[4:5], off
.LBB19_79:                              ;   in Loop: Header=BB19_14 Depth=1
	s_or_b64 exec, exec, s[84:85]
	s_movk_i32 s18, 0x47
	v_cmp_gt_i32_e64 s[18:19], s18, v1
	s_mov_b64 s[84:85], -1
	s_and_saveexec_b64 s[86:87], s[18:19]
; %bb.80:                               ;   in Loop: Header=BB19_14 Depth=1
	v_cmp_eq_u32_e64 s[18:19], 0, v1
	s_orn2_b64 s[84:85], s[18:19], exec
; %bb.81:                               ;   in Loop: Header=BB19_14 Depth=1
	s_or_b64 exec, exec, s[86:87]
	s_and_b64 exec, exec, s[84:85]
	s_cbranch_execz .LBB19_109
; %bb.82:                               ;   in Loop: Header=BB19_14 Depth=1
	v_add_u32_e32 v2, s52, v154
	v_cmp_gt_i32_e64 s[18:19], s20, v2
	s_and_b64 s[18:19], s[18:19], vcc
	v_mov_b32_e32 v1, 0x47
	s_and_saveexec_b64 s[84:85], s[18:19]
	s_cbranch_execz .LBB19_84
; %bb.83:                               ;   in Loop: Header=BB19_14 Depth=1
	v_add_u32_e32 v1, 0, v155
	v_add_u32_e32 v1, 0xe0, v1
	ds_read2st64_b32 v[4:5], v1 offset1:15
	ds_read2st64_b32 v[6:7], v156 offset1:15
	v_mad_u64_u32 v[2:3], s[18:19], v2, s21, v[56:57]
	v_mad_u64_u32 v[2:3], s[18:19], v2, 56, v[44:45]
	s_waitcnt lgkmcnt(0)
	v_cvt_f32_f16_sdwa v9, v6 dst_sel:DWORD dst_unused:UNUSED_PAD src0_sel:WORD_1
	v_cvt_f32_f16_e32 v8, v6
	v_cvt_f32_f16_sdwa v11, v7 dst_sel:DWORD dst_unused:UNUSED_PAD src0_sel:WORD_1
	v_cvt_f32_f16_e32 v10, v7
	v_ashrrev_i32_e32 v3, 31, v2
	v_lshlrev_b64 v[2:3], 3, v[2:3]
	v_add_co_u32_e64 v2, s[18:19], s68, v2
	v_mov_b32_e32 v1, s69
	v_pk_fma_f32 v[8:9], v[4:5], v[8:9], 0 op_sel_hi:[0,1,0]
	v_mov_b32_e32 v4, v5
	v_addc_co_u32_e64 v3, s[18:19], v1, v3, s[18:19]
	v_pk_fma_f32 v[4:5], v[4:5], v[10:11], v[8:9] op_sel_hi:[0,1,1]
	v_mov_b32_e32 v1, 0
	global_store_dwordx2 v[2:3], v[4:5], off
.LBB19_84:                              ;   in Loop: Header=BB19_14 Depth=1
	s_or_b64 exec, exec, s[84:85]
	s_movk_i32 s18, 0x47
	v_cmp_gt_i32_e64 s[18:19], s18, v1
	s_mov_b64 s[84:85], -1
	s_and_saveexec_b64 s[86:87], s[18:19]
; %bb.85:                               ;   in Loop: Header=BB19_14 Depth=1
	v_cmp_eq_u32_e64 s[18:19], 0, v1
	s_orn2_b64 s[84:85], s[18:19], exec
; %bb.86:                               ;   in Loop: Header=BB19_14 Depth=1
	s_or_b64 exec, exec, s[86:87]
	s_and_b64 exec, exec, s[84:85]
	;; [unrolled: 42-line block ×4, first 2 shown]
	s_cbranch_execz .LBB19_109
; %bb.97:                               ;   in Loop: Header=BB19_14 Depth=1
	v_add_u32_e32 v2, s52, v163
	v_cmp_gt_i32_e64 s[18:19], s20, v2
	s_and_b64 s[18:19], s[18:19], vcc
	v_mov_b32_e32 v1, 0x47
	s_and_saveexec_b64 s[84:85], s[18:19]
	s_cbranch_execz .LBB19_99
; %bb.98:                               ;   in Loop: Header=BB19_14 Depth=1
	v_add_u32_e32 v1, 0, v164
	v_add_u32_e32 v1, 0xe0, v1
	ds_read2st64_b32 v[4:5], v1 offset1:15
	ds_read2st64_b32 v[6:7], v165 offset1:15
	v_mad_u64_u32 v[2:3], s[18:19], v2, s21, v[56:57]
	v_mad_u64_u32 v[2:3], s[18:19], v2, 56, v[44:45]
	s_waitcnt lgkmcnt(0)
	v_cvt_f32_f16_sdwa v9, v6 dst_sel:DWORD dst_unused:UNUSED_PAD src0_sel:WORD_1
	v_cvt_f32_f16_e32 v8, v6
	v_cvt_f32_f16_sdwa v11, v7 dst_sel:DWORD dst_unused:UNUSED_PAD src0_sel:WORD_1
	v_cvt_f32_f16_e32 v10, v7
	v_ashrrev_i32_e32 v3, 31, v2
	v_lshlrev_b64 v[2:3], 3, v[2:3]
	v_add_co_u32_e64 v2, s[18:19], s68, v2
	v_mov_b32_e32 v1, s69
	v_pk_fma_f32 v[8:9], v[4:5], v[8:9], 0 op_sel_hi:[0,1,0]
	v_mov_b32_e32 v4, v5
	v_addc_co_u32_e64 v3, s[18:19], v1, v3, s[18:19]
	v_pk_fma_f32 v[4:5], v[4:5], v[10:11], v[8:9] op_sel_hi:[0,1,1]
	v_mov_b32_e32 v1, 0
	global_store_dwordx2 v[2:3], v[4:5], off
.LBB19_99:                              ;   in Loop: Header=BB19_14 Depth=1
	s_or_b64 exec, exec, s[84:85]
	s_movk_i32 s18, 0x47
	v_cmp_gt_i32_e64 s[18:19], s18, v1
	s_mov_b64 s[84:85], -1
	s_and_saveexec_b64 s[86:87], s[18:19]
; %bb.100:                              ;   in Loop: Header=BB19_14 Depth=1
	v_cmp_eq_u32_e64 s[18:19], 0, v1
	s_orn2_b64 s[84:85], s[18:19], exec
; %bb.101:                              ;   in Loop: Header=BB19_14 Depth=1
	s_or_b64 exec, exec, s[86:87]
	s_and_b64 exec, exec, s[84:85]
	s_cbranch_execz .LBB19_109
; %bb.102:                              ;   in Loop: Header=BB19_14 Depth=1
	v_add_u32_e32 v2, s52, v166
	v_cmp_gt_i32_e64 s[18:19], s20, v2
	s_and_b64 s[18:19], s[18:19], vcc
	v_mov_b32_e32 v1, 0x47
	s_and_saveexec_b64 s[84:85], s[18:19]
	s_cbranch_execz .LBB19_104
; %bb.103:                              ;   in Loop: Header=BB19_14 Depth=1
	v_add_u32_e32 v1, 0, v167
	v_add_u32_e32 v1, 0xe0, v1
	ds_read2st64_b32 v[4:5], v1 offset1:15
	ds_read2st64_b32 v[6:7], v168 offset1:15
	v_mad_u64_u32 v[2:3], s[18:19], v2, s21, v[56:57]
	v_mad_u64_u32 v[2:3], s[18:19], v2, 56, v[44:45]
	s_waitcnt lgkmcnt(0)
	v_cvt_f32_f16_sdwa v9, v6 dst_sel:DWORD dst_unused:UNUSED_PAD src0_sel:WORD_1
	v_cvt_f32_f16_e32 v8, v6
	v_cvt_f32_f16_sdwa v11, v7 dst_sel:DWORD dst_unused:UNUSED_PAD src0_sel:WORD_1
	v_cvt_f32_f16_e32 v10, v7
	v_ashrrev_i32_e32 v3, 31, v2
	v_lshlrev_b64 v[2:3], 3, v[2:3]
	v_add_co_u32_e64 v2, s[18:19], s68, v2
	v_mov_b32_e32 v1, s69
	v_pk_fma_f32 v[8:9], v[4:5], v[8:9], 0 op_sel_hi:[0,1,0]
	v_mov_b32_e32 v4, v5
	v_addc_co_u32_e64 v3, s[18:19], v1, v3, s[18:19]
	v_pk_fma_f32 v[4:5], v[4:5], v[10:11], v[8:9] op_sel_hi:[0,1,1]
	v_mov_b32_e32 v1, 0
	global_store_dwordx2 v[2:3], v[4:5], off
.LBB19_104:                             ;   in Loop: Header=BB19_14 Depth=1
	s_or_b64 exec, exec, s[84:85]
	s_movk_i32 s18, 0x47
	v_cmp_gt_i32_e64 s[18:19], s18, v1
	s_mov_b64 s[84:85], -1
	s_and_saveexec_b64 s[86:87], s[18:19]
; %bb.105:                              ;   in Loop: Header=BB19_14 Depth=1
	v_cmp_eq_u32_e64 s[18:19], 0, v1
	s_orn2_b64 s[84:85], s[18:19], exec
; %bb.106:                              ;   in Loop: Header=BB19_14 Depth=1
	s_or_b64 exec, exec, s[86:87]
	s_and_b64 exec, exec, s[84:85]
	s_cbranch_execz .LBB19_109
; %bb.107:                              ;   in Loop: Header=BB19_14 Depth=1
	v_add_u32_e32 v1, s52, v169
	v_cmp_gt_i32_e64 s[18:19], s20, v1
	s_and_b64 s[18:19], s[18:19], vcc
	s_and_b64 exec, exec, s[18:19]
	s_cbranch_execz .LBB19_109
; %bb.108:                              ;   in Loop: Header=BB19_14 Depth=1
	v_mad_u64_u32 v[2:3], s[18:19], v1, s21, v[56:57]
	v_add_u32_e32 v1, 0, v170
	v_add_u32_e32 v1, 0xe0, v1
	ds_read2st64_b32 v[4:5], v1 offset1:15
	ds_read2st64_b32 v[6:7], v171 offset1:15
	v_mad_u64_u32 v[2:3], s[18:19], v2, 56, v[44:45]
	v_ashrrev_i32_e32 v3, 31, v2
	v_lshlrev_b64 v[2:3], 3, v[2:3]
	s_waitcnt lgkmcnt(0)
	v_cvt_f32_f16_sdwa v9, v6 dst_sel:DWORD dst_unused:UNUSED_PAD src0_sel:WORD_1
	v_cvt_f32_f16_e32 v8, v6
	v_cvt_f32_f16_sdwa v11, v7 dst_sel:DWORD dst_unused:UNUSED_PAD src0_sel:WORD_1
	v_cvt_f32_f16_e32 v10, v7
	v_add_co_u32_e32 v2, vcc, s68, v2
	v_mov_b32_e32 v1, s69
	v_pk_fma_f32 v[8:9], v[4:5], v[8:9], 0 op_sel_hi:[0,1,0]
	v_mov_b32_e32 v4, v5
	v_addc_co_u32_e32 v3, vcc, v1, v3, vcc
	v_pk_fma_f32 v[4:5], v[4:5], v[10:11], v[8:9] op_sel_hi:[0,1,1]
	global_store_dwordx2 v[2:3], v[4:5], off
.LBB19_109:                             ;   in Loop: Header=BB19_14 Depth=1
	s_or_b64 exec, exec, s[82:83]
	v_add_u32_e32 v2, s52, v172
	v_cmp_gt_i32_e32 vcc, s20, v2
	s_and_b64 s[82:83], vcc, s[14:15]
	v_mov_b32_e32 v1, 0x47
	s_and_saveexec_b64 s[18:19], s[82:83]
	s_cbranch_execz .LBB19_111
; %bb.110:                              ;   in Loop: Header=BB19_14 Depth=1
	v_add_u32_e32 v4, 0x80, v174
	ds_read2st64_b32 v[4:5], v4 offset1:15
	v_mad_u64_u32 v[2:3], s[82:83], v2, s21, v[48:49]
	v_mul_lo_u32 v1, v2, 56
	v_add_u32_e32 v2, 0, v173
	v_add_u32_e32 v2, 0xe0, v2
	ds_read2st64_b32 v[2:3], v2 offset1:15
	s_waitcnt lgkmcnt(1)
	v_cvt_f32_f16_sdwa v9, v4 dst_sel:DWORD dst_unused:UNUSED_PAD src0_sel:WORD_1
	v_cvt_f32_f16_e32 v8, v4
	v_ashrrev_i32_e32 v7, 31, v1
	v_add_co_u32_e32 v6, vcc, v1, v14
	v_cvt_f32_f16_sdwa v11, v5 dst_sel:DWORD dst_unused:UNUSED_PAD src0_sel:WORD_1
	v_cvt_f32_f16_e32 v10, v5
	v_addc_co_u32_e32 v7, vcc, 0, v7, vcc
	v_lshlrev_b64 v[6:7], 3, v[6:7]
	v_add_co_u32_e32 v6, vcc, s68, v6
	v_mov_b32_e32 v1, s69
	s_waitcnt lgkmcnt(0)
	v_pk_fma_f32 v[8:9], v[2:3], v[8:9], 0 op_sel_hi:[0,1,0]
	v_mov_b32_e32 v2, v3
	v_addc_co_u32_e32 v7, vcc, v1, v7, vcc
	v_pk_fma_f32 v[2:3], v[2:3], v[10:11], v[8:9] op_sel_hi:[0,1,1]
	v_mov_b32_e32 v1, 0
	global_store_dwordx2 v[6:7], v[2:3], off offset:256
.LBB19_111:                             ;   in Loop: Header=BB19_14 Depth=1
	s_or_b64 exec, exec, s[18:19]
	s_movk_i32 s18, 0x47
	v_cmp_gt_i32_e32 vcc, s18, v1
	s_mov_b64 s[82:83], -1
	s_and_saveexec_b64 s[18:19], vcc
; %bb.112:                              ;   in Loop: Header=BB19_14 Depth=1
	v_cmp_eq_u32_e32 vcc, 0, v1
	s_orn2_b64 s[82:83], vcc, exec
; %bb.113:                              ;   in Loop: Header=BB19_14 Depth=1
	s_or_b64 exec, exec, s[18:19]
	s_and_saveexec_b64 s[18:19], s[82:83]
	s_cbranch_execz .LBB19_126
; %bb.114:                              ;   in Loop: Header=BB19_14 Depth=1
	v_add_u32_e32 v2, s52, v175
	v_cmp_gt_i32_e32 vcc, s20, v2
	s_and_b64 s[84:85], vcc, s[14:15]
	v_mov_b32_e32 v1, 0x47
	s_and_saveexec_b64 s[82:83], s[84:85]
	s_cbranch_execz .LBB19_116
; %bb.115:                              ;   in Loop: Header=BB19_14 Depth=1
	v_add_u32_e32 v4, 0x80, v177
	ds_read2st64_b32 v[4:5], v4 offset1:15
	v_mad_u64_u32 v[2:3], s[84:85], v2, s21, v[48:49]
	v_mul_lo_u32 v1, v2, 56
	v_add_u32_e32 v2, 0, v176
	v_add_u32_e32 v2, 0xe0, v2
	ds_read2st64_b32 v[2:3], v2 offset1:15
	s_waitcnt lgkmcnt(1)
	v_cvt_f32_f16_sdwa v9, v4 dst_sel:DWORD dst_unused:UNUSED_PAD src0_sel:WORD_1
	v_cvt_f32_f16_e32 v8, v4
	v_ashrrev_i32_e32 v7, 31, v1
	v_add_co_u32_e32 v6, vcc, v1, v14
	v_cvt_f32_f16_sdwa v11, v5 dst_sel:DWORD dst_unused:UNUSED_PAD src0_sel:WORD_1
	v_cvt_f32_f16_e32 v10, v5
	v_addc_co_u32_e32 v7, vcc, 0, v7, vcc
	v_lshlrev_b64 v[6:7], 3, v[6:7]
	v_add_co_u32_e32 v6, vcc, s68, v6
	v_mov_b32_e32 v1, s69
	s_waitcnt lgkmcnt(0)
	v_pk_fma_f32 v[8:9], v[2:3], v[8:9], 0 op_sel_hi:[0,1,0]
	v_mov_b32_e32 v2, v3
	v_addc_co_u32_e32 v7, vcc, v1, v7, vcc
	v_pk_fma_f32 v[2:3], v[2:3], v[10:11], v[8:9] op_sel_hi:[0,1,1]
	v_mov_b32_e32 v1, 0
	global_store_dwordx2 v[6:7], v[2:3], off offset:256
.LBB19_116:                             ;   in Loop: Header=BB19_14 Depth=1
	s_or_b64 exec, exec, s[82:83]
	s_movk_i32 s53, 0x47
	v_cmp_gt_i32_e32 vcc, s53, v1
	s_mov_b64 s[82:83], -1
	s_and_saveexec_b64 s[84:85], vcc
; %bb.117:                              ;   in Loop: Header=BB19_14 Depth=1
	v_cmp_eq_u32_e32 vcc, 0, v1
	s_orn2_b64 s[82:83], vcc, exec
; %bb.118:                              ;   in Loop: Header=BB19_14 Depth=1
	s_or_b64 exec, exec, s[84:85]
	s_and_b64 exec, exec, s[82:83]
	s_cbranch_execz .LBB19_126
; %bb.119:                              ;   in Loop: Header=BB19_14 Depth=1
	v_add_u32_e32 v2, s52, v178
	v_cmp_gt_i32_e32 vcc, s20, v2
	s_and_b64 s[84:85], vcc, s[14:15]
	v_mov_b32_e32 v1, 0x47
	s_and_saveexec_b64 s[82:83], s[84:85]
	s_cbranch_execz .LBB19_121
; %bb.120:                              ;   in Loop: Header=BB19_14 Depth=1
	v_add_u32_e32 v4, 0x80, v180
	ds_read2st64_b32 v[4:5], v4 offset1:15
	v_mad_u64_u32 v[2:3], s[84:85], v2, s21, v[48:49]
	v_mul_lo_u32 v1, v2, 56
	v_add_u32_e32 v2, 0, v179
	v_add_u32_e32 v2, 0xe0, v2
	ds_read2st64_b32 v[2:3], v2 offset1:15
	s_waitcnt lgkmcnt(1)
	v_cvt_f32_f16_sdwa v9, v4 dst_sel:DWORD dst_unused:UNUSED_PAD src0_sel:WORD_1
	v_cvt_f32_f16_e32 v8, v4
	v_ashrrev_i32_e32 v7, 31, v1
	v_add_co_u32_e32 v6, vcc, v1, v14
	v_cvt_f32_f16_sdwa v11, v5 dst_sel:DWORD dst_unused:UNUSED_PAD src0_sel:WORD_1
	v_cvt_f32_f16_e32 v10, v5
	v_addc_co_u32_e32 v7, vcc, 0, v7, vcc
	v_lshlrev_b64 v[6:7], 3, v[6:7]
	v_add_co_u32_e32 v6, vcc, s68, v6
	v_mov_b32_e32 v1, s69
	s_waitcnt lgkmcnt(0)
	v_pk_fma_f32 v[8:9], v[2:3], v[8:9], 0 op_sel_hi:[0,1,0]
	v_mov_b32_e32 v2, v3
	v_addc_co_u32_e32 v7, vcc, v1, v7, vcc
	v_pk_fma_f32 v[2:3], v[2:3], v[10:11], v[8:9] op_sel_hi:[0,1,1]
	v_mov_b32_e32 v1, 0
	global_store_dwordx2 v[6:7], v[2:3], off offset:256
.LBB19_121:                             ;   in Loop: Header=BB19_14 Depth=1
	s_or_b64 exec, exec, s[82:83]
	v_cmp_gt_i32_e32 vcc, s53, v1
	s_mov_b64 s[82:83], -1
	s_and_saveexec_b64 s[84:85], vcc
; %bb.122:                              ;   in Loop: Header=BB19_14 Depth=1
	v_cmp_eq_u32_e32 vcc, 0, v1
	s_orn2_b64 s[82:83], vcc, exec
; %bb.123:                              ;   in Loop: Header=BB19_14 Depth=1
	s_or_b64 exec, exec, s[84:85]
	s_and_b64 exec, exec, s[82:83]
	s_cbranch_execz .LBB19_126
; %bb.124:                              ;   in Loop: Header=BB19_14 Depth=1
	v_add_u32_e32 v1, s52, v181
	v_cmp_gt_i32_e32 vcc, s20, v1
	s_and_b64 s[14:15], vcc, s[14:15]
	s_and_b64 exec, exec, s[14:15]
	s_cbranch_execz .LBB19_126
; %bb.125:                              ;   in Loop: Header=BB19_14 Depth=1
	v_add_u32_e32 v4, 0x80, v183
	ds_read2st64_b32 v[4:5], v4 offset1:15
	v_mad_u64_u32 v[2:3], s[14:15], v1, s21, v[48:49]
	v_mul_lo_u32 v1, v2, 56
	v_add_u32_e32 v2, 0, v182
	v_add_u32_e32 v2, 0xe0, v2
	ds_read2st64_b32 v[2:3], v2 offset1:15
	s_waitcnt lgkmcnt(1)
	v_cvt_f32_f16_sdwa v9, v4 dst_sel:DWORD dst_unused:UNUSED_PAD src0_sel:WORD_1
	v_cvt_f32_f16_e32 v8, v4
	v_ashrrev_i32_e32 v7, 31, v1
	v_add_co_u32_e32 v6, vcc, v1, v14
	v_cvt_f32_f16_sdwa v11, v5 dst_sel:DWORD dst_unused:UNUSED_PAD src0_sel:WORD_1
	v_cvt_f32_f16_e32 v10, v5
	v_addc_co_u32_e32 v7, vcc, 0, v7, vcc
	v_lshlrev_b64 v[6:7], 3, v[6:7]
	v_add_co_u32_e32 v6, vcc, s68, v6
	v_mov_b32_e32 v1, s69
	s_waitcnt lgkmcnt(0)
	v_pk_fma_f32 v[8:9], v[2:3], v[8:9], 0 op_sel_hi:[0,1,0]
	v_mov_b32_e32 v2, v3
	v_addc_co_u32_e32 v7, vcc, v1, v7, vcc
	v_pk_fma_f32 v[2:3], v[2:3], v[10:11], v[8:9] op_sel_hi:[0,1,1]
	global_store_dwordx2 v[6:7], v[2:3], off offset:256
.LBB19_126:                             ;   in Loop: Header=BB19_14 Depth=1
	s_or_b64 exec, exec, s[18:19]
	v_add_u32_e32 v2, s52, v184
	v_cmp_gt_i32_e32 vcc, s20, v2
	s_and_b64 s[18:19], vcc, s[12:13]
	v_mov_b32_e32 v1, 0x47
	s_and_saveexec_b64 s[14:15], s[18:19]
	s_cbranch_execz .LBB19_128
; %bb.127:                              ;   in Loop: Header=BB19_14 Depth=1
	v_add_u32_e32 v4, 0xc0, v186
	ds_read2st64_b32 v[4:5], v4 offset1:15
	v_mad_u64_u32 v[2:3], s[18:19], v2, s21, v[52:53]
	v_mul_lo_u32 v1, v2, 56
	v_add_u32_e32 v2, 0, v185
	v_add_u32_e32 v2, 0xe0, v2
	ds_read2st64_b32 v[2:3], v2 offset1:15
	s_waitcnt lgkmcnt(1)
	v_cvt_f32_f16_sdwa v9, v4 dst_sel:DWORD dst_unused:UNUSED_PAD src0_sel:WORD_1
	v_cvt_f32_f16_e32 v8, v4
	v_ashrrev_i32_e32 v6, 31, v1
	v_cvt_f32_f16_sdwa v11, v5 dst_sel:DWORD dst_unused:UNUSED_PAD src0_sel:WORD_1
	v_cvt_f32_f16_e32 v10, v5
	v_or_b32_e32 v7, 0, v6
	v_or_b32_e32 v6, v1, v32
	v_lshlrev_b64 v[6:7], 3, v[6:7]
	v_add_co_u32_e32 v6, vcc, s68, v6
	v_mov_b32_e32 v1, s69
	s_waitcnt lgkmcnt(0)
	v_pk_fma_f32 v[8:9], v[2:3], v[8:9], 0 op_sel_hi:[0,1,0]
	v_mov_b32_e32 v2, v3
	v_addc_co_u32_e32 v7, vcc, v1, v7, vcc
	v_pk_fma_f32 v[2:3], v[2:3], v[10:11], v[8:9] op_sel_hi:[0,1,1]
	v_mov_b32_e32 v1, 0
	global_store_dwordx2 v[6:7], v[2:3], off offset:384
.LBB19_128:                             ;   in Loop: Header=BB19_14 Depth=1
	s_or_b64 exec, exec, s[14:15]
	s_movk_i32 s14, 0x47
	v_cmp_gt_i32_e32 vcc, s14, v1
	s_mov_b64 s[14:15], -1
	s_and_saveexec_b64 s[18:19], vcc
; %bb.129:                              ;   in Loop: Header=BB19_14 Depth=1
	v_cmp_eq_u32_e32 vcc, 0, v1
	s_orn2_b64 s[14:15], vcc, exec
; %bb.130:                              ;   in Loop: Header=BB19_14 Depth=1
	s_or_b64 exec, exec, s[18:19]
	s_and_b64 exec, exec, s[14:15]
	s_cbranch_execz .LBB19_133
; %bb.131:                              ;   in Loop: Header=BB19_14 Depth=1
	v_add_u32_e32 v1, s52, v187
	v_cmp_gt_i32_e32 vcc, s20, v1
	s_and_b64 s[12:13], vcc, s[12:13]
	s_and_b64 exec, exec, s[12:13]
	s_cbranch_execz .LBB19_133
; %bb.132:                              ;   in Loop: Header=BB19_14 Depth=1
	v_add_u32_e32 v4, 0xc0, v189
	ds_read2st64_b32 v[4:5], v4 offset1:15
	v_mad_u64_u32 v[2:3], s[12:13], v1, s21, v[52:53]
	v_mul_lo_u32 v1, v2, 56
	v_add_u32_e32 v2, 0, v188
	v_add_u32_e32 v2, 0xe0, v2
	ds_read2st64_b32 v[2:3], v2 offset1:15
	s_waitcnt lgkmcnt(1)
	v_cvt_f32_f16_sdwa v9, v4 dst_sel:DWORD dst_unused:UNUSED_PAD src0_sel:WORD_1
	v_cvt_f32_f16_e32 v8, v4
	v_ashrrev_i32_e32 v6, 31, v1
	v_cvt_f32_f16_sdwa v11, v5 dst_sel:DWORD dst_unused:UNUSED_PAD src0_sel:WORD_1
	v_cvt_f32_f16_e32 v10, v5
	v_or_b32_e32 v7, 0, v6
	v_or_b32_e32 v6, v1, v32
	v_lshlrev_b64 v[6:7], 3, v[6:7]
	v_add_co_u32_e32 v6, vcc, s68, v6
	v_mov_b32_e32 v1, s69
	s_waitcnt lgkmcnt(0)
	v_pk_fma_f32 v[8:9], v[2:3], v[8:9], 0 op_sel_hi:[0,1,0]
	v_mov_b32_e32 v2, v3
	v_addc_co_u32_e32 v7, vcc, v1, v7, vcc
	v_pk_fma_f32 v[2:3], v[2:3], v[10:11], v[8:9] op_sel_hi:[0,1,1]
	global_store_dwordx2 v[6:7], v[2:3], off offset:384
.LBB19_133:                             ;   in Loop: Header=BB19_14 Depth=1
	s_or_b64 exec, exec, s[80:81]
	s_barrier
	s_branch .LBB19_13
.LBB19_134:                             ;   in Loop: Header=BB19_14 Depth=1
	s_lshl_b32 s84, s17, 4
	v_add_u32_e32 v1, s84, v139
	v_cmp_gt_i32_e64 s[12:13], s33, v19
	v_cmp_le_i32_e32 vcc, s20, v1
	s_xor_b64 s[12:13], s[12:13], -1
	s_or_b64 s[14:15], vcc, s[12:13]
	s_and_saveexec_b64 s[18:19], s[14:15]
	s_xor_b64 s[14:15], exec, s[18:19]
	s_cbranch_execz .LBB19_136
; %bb.135:                              ;   in Loop: Header=BB19_14 Depth=1
	ds_write_b32 v142, v200
                                        ; implicit-def: $vgpr1
.LBB19_136:                             ;   in Loop: Header=BB19_14 Depth=1
	s_andn2_saveexec_b64 s[14:15], s[14:15]
	s_cbranch_execz .LBB19_138
; %bb.137:                              ;   in Loop: Header=BB19_14 Depth=1
	v_mad_u64_u32 v[2:3], s[18:19], v1, s61, v[58:59]
	v_ashrrev_i32_e32 v3, 31, v2
	v_lshlrev_b64 v[2:3], 3, v[2:3]
	v_mov_b32_e32 v1, s16
	v_add_co_u32_e32 v2, vcc, s88, v2
	v_addc_co_u32_e32 v3, vcc, v1, v3, vcc
	global_load_dwordx2 v[2:3], v[2:3], off
	s_waitcnt vmcnt(0)
	v_cvt_f16_f32_e32 v1, v2
	v_cvt_f16_f32_e32 v2, v3
	v_pack_b32_f16 v1, v1, v2
	v_pk_mul_f16 v1, v47, v1
	ds_write_b32 v142, v1
.LBB19_138:                             ;   in Loop: Header=BB19_14 Depth=1
	s_or_b64 exec, exec, s[14:15]
	v_add_u32_e32 v1, s84, v211
	v_cmp_le_i32_e32 vcc, s20, v1
	s_or_b64 s[14:15], vcc, s[12:13]
	s_and_saveexec_b64 s[18:19], s[14:15]
	s_xor_b64 s[14:15], exec, s[18:19]
	s_cbranch_execz .LBB19_140
; %bb.139:                              ;   in Loop: Header=BB19_14 Depth=1
	ds_write_b32 v142, v200 offset:1920
                                        ; implicit-def: $vgpr1
.LBB19_140:                             ;   in Loop: Header=BB19_14 Depth=1
	s_andn2_saveexec_b64 s[14:15], s[14:15]
	s_cbranch_execz .LBB19_142
; %bb.141:                              ;   in Loop: Header=BB19_14 Depth=1
	v_mad_u64_u32 v[2:3], s[18:19], v1, s61, v[58:59]
	v_ashrrev_i32_e32 v3, 31, v2
	v_lshlrev_b64 v[2:3], 3, v[2:3]
	v_mov_b32_e32 v1, s16
	v_add_co_u32_e32 v2, vcc, s88, v2
	v_addc_co_u32_e32 v3, vcc, v1, v3, vcc
	global_load_dwordx2 v[2:3], v[2:3], off
	s_waitcnt vmcnt(0)
	v_cvt_f16_f32_e32 v1, v2
	v_cvt_f16_f32_e32 v2, v3
	v_pack_b32_f16 v1, v1, v2
	v_pk_mul_f16 v1, v47, v1
	ds_write_b32 v142, v1 offset:1920
.LBB19_142:                             ;   in Loop: Header=BB19_14 Depth=1
	s_or_b64 exec, exec, s[14:15]
	v_add_u32_e32 v1, s84, v143
	v_cmp_le_i32_e32 vcc, s20, v1
	s_or_b64 s[14:15], vcc, s[12:13]
	s_and_saveexec_b64 s[18:19], s[14:15]
	s_xor_b64 s[14:15], exec, s[18:19]
	s_cbranch_execz .LBB19_144
; %bb.143:                              ;   in Loop: Header=BB19_14 Depth=1
	ds_write_b32 v142, v200 offset:3840
                                        ; implicit-def: $vgpr1
.LBB19_144:                             ;   in Loop: Header=BB19_14 Depth=1
	s_andn2_saveexec_b64 s[14:15], s[14:15]
	s_cbranch_execz .LBB19_146
; %bb.145:                              ;   in Loop: Header=BB19_14 Depth=1
	v_mad_u64_u32 v[2:3], s[18:19], v1, s61, v[58:59]
	v_ashrrev_i32_e32 v3, 31, v2
	v_lshlrev_b64 v[2:3], 3, v[2:3]
	v_mov_b32_e32 v1, s16
	v_add_co_u32_e32 v2, vcc, s88, v2
	v_addc_co_u32_e32 v3, vcc, v1, v3, vcc
	global_load_dwordx2 v[2:3], v[2:3], off
	s_waitcnt vmcnt(0)
	v_cvt_f16_f32_e32 v1, v2
	v_cvt_f16_f32_e32 v2, v3
	v_pack_b32_f16 v1, v1, v2
	v_pk_mul_f16 v1, v47, v1
	ds_write_b32 v142, v1 offset:3840
.LBB19_146:                             ;   in Loop: Header=BB19_14 Depth=1
	s_or_b64 exec, exec, s[14:15]
	v_add_u32_e32 v1, s84, v144
	v_cmp_le_i32_e32 vcc, s20, v1
	s_or_b64 s[12:13], vcc, s[12:13]
	s_and_saveexec_b64 s[14:15], s[12:13]
	s_xor_b64 s[12:13], exec, s[14:15]
	s_cbranch_execz .LBB19_148
; %bb.147:                              ;   in Loop: Header=BB19_14 Depth=1
	ds_write_b32 v142, v200 offset:5760
                                        ; implicit-def: $vgpr1
.LBB19_148:                             ;   in Loop: Header=BB19_14 Depth=1
	s_andn2_saveexec_b64 s[12:13], s[12:13]
	s_cbranch_execz .LBB19_150
; %bb.149:                              ;   in Loop: Header=BB19_14 Depth=1
	v_mad_u64_u32 v[2:3], s[14:15], v1, s61, v[58:59]
	v_ashrrev_i32_e32 v3, 31, v2
	v_lshlrev_b64 v[2:3], 3, v[2:3]
	v_mov_b32_e32 v1, s16
	v_add_co_u32_e32 v2, vcc, s88, v2
	v_addc_co_u32_e32 v3, vcc, v1, v3, vcc
	global_load_dwordx2 v[2:3], v[2:3], off
	s_waitcnt vmcnt(0)
	v_cvt_f16_f32_e32 v1, v2
	v_cvt_f16_f32_e32 v2, v3
	v_pack_b32_f16 v1, v1, v2
	v_pk_mul_f16 v1, v47, v1
	ds_write_b32 v142, v1 offset:5760
.LBB19_150:                             ;   in Loop: Header=BB19_14 Depth=1
	s_or_b64 exec, exec, s[12:13]
	v_or_b32_e32 v1, s70, v48
	v_cmp_gt_i32_e64 s[14:15], s33, v1
	v_add_u32_e32 v1, s84, v145
	s_xor_b64 s[12:13], s[14:15], -1
	v_cmp_le_i32_e32 vcc, s20, v1
	s_or_b64 s[18:19], vcc, s[12:13]
	s_and_saveexec_b64 s[52:53], s[18:19]
	s_xor_b64 s[18:19], exec, s[52:53]
	s_cbranch_execz .LBB19_152
; %bb.151:                              ;   in Loop: Header=BB19_14 Depth=1
	ds_write_b32 v146, v200 offset:128
                                        ; implicit-def: $vgpr1
.LBB19_152:                             ;   in Loop: Header=BB19_14 Depth=1
	s_andn2_saveexec_b64 s[18:19], s[18:19]
	s_cbranch_execz .LBB19_154
; %bb.153:                              ;   in Loop: Header=BB19_14 Depth=1
	v_mad_u64_u32 v[2:3], s[52:53], v1, s61, v[50:51]
	v_ashrrev_i32_e32 v3, 31, v2
	v_lshlrev_b64 v[2:3], 3, v[2:3]
	v_mov_b32_e32 v1, s16
	v_add_co_u32_e32 v2, vcc, s88, v2
	v_addc_co_u32_e32 v3, vcc, v1, v3, vcc
	global_load_dwordx2 v[2:3], v[2:3], off
	s_waitcnt vmcnt(0)
	v_cvt_f16_f32_e32 v1, v2
	v_cvt_f16_f32_e32 v2, v3
	v_pack_b32_f16 v1, v1, v2
	v_pk_mul_f16 v1, v47, v1
	ds_write_b32 v146, v1 offset:128
.LBB19_154:                             ;   in Loop: Header=BB19_14 Depth=1
	s_or_b64 exec, exec, s[18:19]
	v_add_u32_e32 v1, s84, v147
	v_cmp_le_i32_e32 vcc, s20, v1
	s_or_b64 s[12:13], vcc, s[12:13]
	s_and_saveexec_b64 s[18:19], s[12:13]
	s_xor_b64 s[12:13], exec, s[18:19]
	s_cbranch_execz .LBB19_156
; %bb.155:                              ;   in Loop: Header=BB19_14 Depth=1
	ds_write_b32 v146, v200 offset:3968
                                        ; implicit-def: $vgpr1
.LBB19_156:                             ;   in Loop: Header=BB19_14 Depth=1
	s_andn2_saveexec_b64 s[12:13], s[12:13]
	s_cbranch_execz .LBB19_158
; %bb.157:                              ;   in Loop: Header=BB19_14 Depth=1
	v_mad_u64_u32 v[2:3], s[18:19], v1, s61, v[50:51]
	v_ashrrev_i32_e32 v3, 31, v2
	v_lshlrev_b64 v[2:3], 3, v[2:3]
	v_mov_b32_e32 v1, s16
	v_add_co_u32_e32 v2, vcc, s88, v2
	v_addc_co_u32_e32 v3, vcc, v1, v3, vcc
	global_load_dwordx2 v[2:3], v[2:3], off
	s_waitcnt vmcnt(0)
	v_cvt_f16_f32_e32 v1, v2
	v_cvt_f16_f32_e32 v2, v3
	v_pack_b32_f16 v1, v1, v2
	v_pk_mul_f16 v1, v47, v1
	ds_write_b32 v146, v1 offset:3968
.LBB19_158:                             ;   in Loop: Header=BB19_14 Depth=1
	s_or_b64 exec, exec, s[12:13]
	v_add_u32_e32 v1, s84, v130
	v_or_b32_e32 v2, s70, v52
	v_cmp_gt_i32_e32 vcc, s20, v1
	v_cmp_gt_i32_e64 s[12:13], s33, v2
	s_and_b64 s[52:53], vcc, s[12:13]
	v_mov_b32_e32 v2, 0
	s_and_saveexec_b64 s[18:19], s[52:53]
	s_cbranch_execz .LBB19_160
; %bb.159:                              ;   in Loop: Header=BB19_14 Depth=1
	v_mad_u64_u32 v[2:3], s[52:53], v1, s61, v[54:55]
	v_ashrrev_i32_e32 v3, 31, v2
	v_lshlrev_b64 v[2:3], 3, v[2:3]
	v_mov_b32_e32 v1, s16
	v_add_co_u32_e32 v2, vcc, s88, v2
	v_addc_co_u32_e32 v3, vcc, v1, v3, vcc
	global_load_dwordx2 v[2:3], v[2:3], off
	s_waitcnt vmcnt(0)
	v_cvt_f16_f32_e32 v1, v2
	v_cvt_f16_f32_e32 v2, v3
	v_pack_b32_f16 v1, v1, v2
	v_pk_mul_f16 v2, v47, v1
.LBB19_160:                             ;   in Loop: Header=BB19_14 Depth=1
	s_or_b64 exec, exec, s[18:19]
	ds_write_b32 v131, v2 offset:192
	s_waitcnt lgkmcnt(0)
	s_barrier
	ds_read2_b64 v[10:13], v132 offset1:4
	ds_read2_b64 v[6:9], v132 offset0:8 offset1:12
	ds_read2_b64 v[2:5], v132 offset0:16 offset1:20
	ds_read_b64 v[66:67], v132 offset:192
	s_cmp_gt_i32 s57, 1
	s_waitcnt lgkmcnt(0)
	s_barrier
	s_cbranch_scc1 .LBB19_162
; %bb.161:                              ;   in Loop: Header=BB19_14 Depth=1
	v_add_u32_e32 v1, s84, v140
	v_mul_hi_u32 v15, s30, v1
	v_add_u32_e32 v15, v1, v15
	v_lshrrev_b32_e32 v15, s31, v15
	v_mul_lo_u32 v15, v15, s20
	v_sub_u32_e32 v1, v1, v15
	v_mad_i64_i32 v[68:69], s[16:17], v1, s34, 0
	v_add_u32_e32 v1, s84, v202
	v_mul_hi_u32 v15, s30, v1
	v_add_u32_e32 v15, v1, v15
	v_lshrrev_b32_e32 v15, s31, v15
	v_mul_lo_u32 v15, v15, s20
	v_sub_u32_e32 v1, v1, v15
	v_mad_i64_i32 v[70:71], s[16:17], v1, s34, 0
	s_mov_b64 s[18:19], 0
	s_mov_b32 s17, 0xfeffffff
	s_mov_b32 s52, 0
	;; [unrolled: 1-line block ×3, first 2 shown]
	s_branch .LBB19_163
.LBB19_162:                             ;   in Loop: Header=BB19_14 Depth=1
	s_mov_b64 s[18:19], -1
                                        ; implicit-def: $sgpr16
                                        ; implicit-def: $sgpr52
                                        ; implicit-def: $sgpr17
                                        ; implicit-def: $vgpr68_vgpr69
                                        ; implicit-def: $vgpr70_vgpr71
.LBB19_163:                             ;   in Loop: Header=BB19_14 Depth=1
	s_andn2_b64 vcc, exec, s[18:19]
	v_mov_b32_e32 v224, s16
	v_mov_b32_e32 v77, s52
	;; [unrolled: 1-line block ×16, first 2 shown]
	s_cbranch_vccnz .LBB19_171
; %bb.164:                              ;   in Loop: Header=BB19_14 Depth=1
	v_add_u32_e32 v1, s84, v140
	v_mul_hi_u32 v15, s30, v1
	v_add_u32_e32 v15, v1, v15
	v_lshrrev_b32_e32 v15, s31, v15
	v_mul_lo_u32 v15, v15, s20
	v_sub_u32_e32 v1, v1, v15
	v_add_u32_e32 v15, s84, v202
	v_mul_hi_u32 v19, s30, v15
	v_add_u32_e32 v19, v15, v19
	v_lshrrev_b32_e32 v19, s31, v19
	v_mul_lo_u32 v19, v19, s20
	v_sub_u32_e32 v15, v15, v19
	v_and_b32_e32 v19, 64, v198
	v_add_u32_e32 v19, 64, v19
	v_xor_b32_e32 v21, 32, v198
	v_cmp_lt_i32_e32 vcc, v21, v19
	v_cndmask_b32_e32 v21, v198, v21, vcc
	v_lshlrev_b32_e32 v214, 2, v21
	v_xor_b32_e32 v21, 16, v198
	v_cmp_lt_i32_e32 vcc, v21, v19
	v_cndmask_b32_e32 v19, v198, v21, vcc
	v_lshlrev_b32_e32 v215, 2, v19
	v_mov_b32_e32 v19, s43
	v_mad_i64_i32 v[68:69], s[18:19], v1, s34, 0
	v_mad_i64_i32 v[70:71], s[18:19], v15, s34, 0
	v_addc_co_u32_e64 v63, vcc, v19, v17, s[10:11]
	v_readlane_b32 s10, v234, 31
	v_readlane_b32 s11, v234, 32
	s_mov_b32 s18, s10
	v_mov_b32_e32 v19, s5
	v_add_co_u32_e32 v76, vcc, s4, v190
	v_mad_i64_i32 v[72:73], s[10:11], s18, v1, v[62:63]
	v_addc_co_u32_e32 v1, vcc, v191, v19, vcc
	v_add_co_u32_e32 v78, vcc, s4, v192
	v_mad_i64_i32 v[74:75], s[10:11], s18, v15, v[62:63]
	v_addc_co_u32_e32 v15, vcc, v193, v19, vcc
	v_add_co_u32_e32 v80, vcc, s4, v122
	v_addc_co_u32_e32 v17, vcc, v123, v19, vcc
	v_add_co_u32_e32 v82, vcc, s4, v124
	v_addc_co_u32_e32 v19, vcc, v125, v19, vcc
	v_mov_b32_e32 v45, s26
	v_add_co_u32_e32 v84, vcc, s8, v194
	v_addc_co_u32_e32 v21, vcc, v195, v45, vcc
	v_add_co_u32_e32 v86, vcc, s8, v196
	v_addc_co_u32_e32 v27, vcc, v197, v45, vcc
	;; [unrolled: 2-line block ×3, first 2 shown]
	s_add_i32 s16, s57, -1
	v_add_co_u32_e32 v90, vcc, s8, v128
	v_mov_b32_e32 v222, 0
	v_addc_co_u32_e32 v45, vcc, v129, v45, vcc
	v_mov_b32_e32 v226, 0
	v_mov_b32_e32 v227, 0xfeffffff
	s_mov_b32 s4, s16
	v_mov_b32_e32 v223, 0
	v_mov_b32_e32 v221, 0
	;; [unrolled: 1-line block ×13, first 2 shown]
.LBB19_165:                             ;   Parent Loop BB19_14 Depth=1
                                        ; =>  This Inner Loop Header: Depth=2
	v_add_co_u32_e32 v92, vcc, v72, v60
	v_addc_co_u32_e32 v93, vcc, 0, v73, vcc
	global_load_dword v64, v[92:93], off
	v_add_co_u32_e32 v92, vcc, v74, v60
	v_addc_co_u32_e32 v93, vcc, 0, v75, vcc
	global_load_dword v77, v[92:93], off
	v_add_u32_e32 v92, v141, v201
	s_waitcnt vmcnt(1)
	ds_write_b32 v92, v64 offset:15360
	s_waitcnt vmcnt(0)
	ds_write_b32 v92, v77 offset:16512
	s_and_saveexec_b64 s[10:11], s[0:1]
	s_cbranch_execz .LBB19_167
; %bb.166:                              ;   in Loop: Header=BB19_165 Depth=2
	v_mov_b32_e32 v64, s72
	v_add_co_u32_e32 v92, vcc, s7, v84
	v_addc_co_u32_e32 v93, vcc, v21, v64, vcc
	global_load_dwordx4 v[92:95], v[92:93], off
	s_waitcnt vmcnt(0)
	ds_write_b128 v51, v[92:95]
.LBB19_167:                             ;   in Loop: Header=BB19_165 Depth=2
	s_or_b64 exec, exec, s[10:11]
	v_add_co_u32_e32 v92, vcc, s7, v86
	v_mov_b32_e32 v64, s72
	v_addc_co_u32_e32 v93, vcc, v27, v64, vcc
	global_load_dwordx4 v[92:95], v[92:93], off
	s_waitcnt vmcnt(0)
	ds_write_b128 v118, v[92:95]
	v_add_co_u32_e32 v92, vcc, s7, v88
	v_addc_co_u32_e32 v93, vcc, v33, v64, vcc
	global_load_dwordx4 v[92:95], v[92:93], off
	s_waitcnt vmcnt(0)
	ds_write_b128 v119, v[92:95]
	v_add_co_u32_e32 v92, vcc, s7, v90
	v_addc_co_u32_e32 v93, vcc, v45, v64, vcc
	global_load_dwordx4 v[92:95], v[92:93], off
	v_add_u32_e32 v64, v49, v133
	v_add_u32_e32 v77, 0x1800, v64
	s_waitcnt vmcnt(0)
	ds_write_b128 v210, v[92:95]
	s_waitcnt lgkmcnt(0)
	s_barrier
	ds_read2_b64 v[92:95], v64 offset1:4
	s_waitcnt lgkmcnt(0)
	v_mfma_f32_16x16x16f16 v[96:99], v[92:93], v[10:11], 0
	v_mfma_f32_16x16x16f16 v[92:95], v[94:95], v[12:13], v[96:99]
	s_nop 7
	s_nop 1
	ds_read2_b64 v[96:99], v64 offset0:8 offset1:12
	s_waitcnt lgkmcnt(0)
	v_mfma_f32_16x16x16f16 v[92:95], v[96:97], v[6:7], v[92:95]
	v_mfma_f32_16x16x16f16 v[92:95], v[98:99], v[8:9], v[92:95]
	ds_read2_b64 v[96:99], v64 offset0:16 offset1:20
	s_waitcnt lgkmcnt(0)
	v_mfma_f32_16x16x16f16 v[92:95], v[96:97], v[2:3], v[92:95]
	ds_read_b64 v[96:97], v64 offset:192
	v_mfma_f32_16x16x16f16 v[92:95], v[98:99], v[4:5], v[92:95]
	s_waitcnt lgkmcnt(0)
	v_mfma_f32_16x16x16f16 v[92:95], v[96:97], v[66:67], v[92:95]
	ds_read2_b64 v[96:99], v77 offset0:192 offset1:196
	s_waitcnt lgkmcnt(0)
	v_mfma_f32_16x16x16f16 v[228:231], v[96:97], v[10:11], 0
	v_mfma_f32_16x16x16f16 v[96:99], v[98:99], v[12:13], v[228:231]
	s_nop 7
	s_nop 1
	ds_read2_b64 v[228:231], v77 offset0:200 offset1:204
	s_waitcnt lgkmcnt(0)
	v_mfma_f32_16x16x16f16 v[96:99], v[228:229], v[6:7], v[96:99]
	v_mfma_f32_16x16x16f16 v[96:99], v[230:231], v[8:9], v[96:99]
	ds_read2_b64 v[228:231], v77 offset0:208 offset1:212
	s_waitcnt lgkmcnt(0)
	v_mfma_f32_16x16x16f16 v[96:99], v[228:229], v[2:3], v[96:99]
	ds_read_b64 v[228:229], v64 offset:7872
	v_add_u32_e32 v64, 0x3c00, v85
	s_waitcnt lgkmcnt(0)
	s_barrier
	v_mfma_f32_16x16x16f16 v[96:99], v[230:231], v[4:5], v[96:99]
	v_mfma_f32_16x16x16f16 v[228:231], v[228:229], v[66:67], v[96:99]
	s_nop 7
	s_nop 1
	ds_read2_b32 v[96:97], v64 offset1:1
	ds_read_b32 v64, v134 offset:15360
	ds_read_b32 v77, v135 offset:15360
	s_waitcnt lgkmcnt(2)
	v_cvt_f32_f16_e32 v98, v97
	v_cvt_f32_f16_sdwa v99, v97 dst_sel:DWORD dst_unused:UNUSED_PAD src0_sel:WORD_1
	v_pk_add_f32 v[94:95], v[94:95], v[98:99]
	v_cvt_f32_f16_e32 v98, v96
	v_cvt_f32_f16_sdwa v99, v96 dst_sel:DWORD dst_unused:UNUSED_PAD src0_sel:WORD_1
	v_add_f32_e32 v97, 0x40051340, v94
	v_add_f32_e32 v232, 0x40051340, v95
	s_waitcnt lgkmcnt(1)
	v_cvt_f32_f16_e32 v96, v64
	v_pk_add_f32 v[98:99], v[92:93], v[98:99]
	v_add_f32_e32 v92, 0x40051340, v98
	v_add_f32_e32 v93, 0x40051340, v99
	v_max3_f32 v92, v227, v92, v93
	v_max3_f32 v232, v92, v97, v232
	v_cvt_f32_f16_sdwa v97, v64 dst_sel:DWORD dst_unused:UNUSED_PAD src0_sel:WORD_1
	s_waitcnt lgkmcnt(0)
	v_cvt_f32_f16_sdwa v93, v77 dst_sel:DWORD dst_unused:UNUSED_PAD src0_sel:WORD_1
	v_cvt_f32_f16_e32 v92, v77
	v_pk_add_f32 v[96:97], v[228:229], v[96:97]
	v_add_f32_e32 v64, 0x40051340, v96
	v_pk_add_f32 v[92:93], v[230:231], v[92:93]
	v_add_f32_e32 v228, 0x40051340, v97
	v_add_f32_e32 v77, 0x40051340, v92
	;; [unrolled: 1-line block ×3, first 2 shown]
	v_max3_f32 v64, v232, v64, v228
	v_max3_f32 v64, v64, v77, v230
	ds_bpermute_b32 v77, v214, v64
	s_waitcnt lgkmcnt(0)
	v_max_f32_e32 v77, v77, v77
	v_max_f32_e32 v64, v64, v77
	ds_bpermute_b32 v77, v215, v64
	s_and_saveexec_b64 s[10:11], s[0:1]
	s_cbranch_execz .LBB19_169
; %bb.168:                              ;   in Loop: Header=BB19_165 Depth=2
	v_mov_b32_e32 v229, s73
	v_add_co_u32_e32 v228, vcc, s66, v76
	v_addc_co_u32_e32 v229, vcc, v1, v229, vcc
	global_load_dwordx4 v[228:231], v[228:229], off
	s_waitcnt vmcnt(0)
	ds_write_b128 v51, v[228:231]
.LBB19_169:                             ;   in Loop: Header=BB19_165 Depth=2
	s_or_b64 exec, exec, s[10:11]
	s_waitcnt lgkmcnt(0)
	v_max_f32_e32 v77, v77, v77
	v_max_f32_e32 v64, v64, v64
	;; [unrolled: 1-line block ×3, first 2 shown]
	v_pk_add_f32 v[98:99], v[98:99], v[64:65] op_sel_hi:[1,0] neg_lo:[0,1] neg_hi:[0,1]
	v_mul_f32_e32 v77, 0x3fb8aa3b, v99
	v_fma_f32 v228, v99, s9, -v77
	v_rndne_f32_e32 v229, v77
	v_fmac_f32_e32 v228, 0x32a5705f, v99
	v_sub_f32_e32 v77, v77, v229
	v_add_f32_e32 v77, v77, v228
	v_exp_f32_e32 v77, v77
	v_cvt_i32_f32_e32 v228, v229
	v_cmp_ngt_f32_e32 vcc, s35, v99
	v_pk_add_f32 v[94:95], v[94:95], v[64:65] op_sel_hi:[1,0] neg_lo:[0,1] neg_hi:[0,1]
	v_pk_add_f32 v[92:93], v[92:93], v[64:65] op_sel_hi:[1,0] neg_lo:[0,1] neg_hi:[0,1]
	v_ldexp_f32 v77, v77, v228
	v_cndmask_b32_e32 v77, 0, v77, vcc
	v_cmp_nlt_f32_e32 vcc, s89, v99
	v_cndmask_b32_e32 v228, v212, v77, vcc
	v_mul_f32_e32 v77, 0x3fb8aa3b, v98
	v_fma_f32 v99, v98, s9, -v77
	v_rndne_f32_e32 v229, v77
	v_fmac_f32_e32 v99, 0x32a5705f, v98
	v_sub_f32_e32 v77, v77, v229
	v_add_f32_e32 v77, v77, v99
	v_exp_f32_e32 v77, v77
	v_cvt_i32_f32_e32 v99, v229
	v_cmp_ngt_f32_e32 vcc, s35, v98
	s_add_i32 s4, s4, -1
	s_cmp_lg_u32 s4, 0
	v_ldexp_f32 v77, v77, v99
	v_cndmask_b32_e32 v77, 0, v77, vcc
	v_cmp_nlt_f32_e32 vcc, s89, v98
	v_cndmask_b32_e32 v229, v212, v77, vcc
	v_mul_f32_e32 v77, 0x3fb8aa3b, v95
	v_fma_f32 v98, v95, s9, -v77
	v_rndne_f32_e32 v99, v77
	v_fmac_f32_e32 v98, 0x32a5705f, v95
	v_sub_f32_e32 v77, v77, v99
	v_add_f32_e32 v77, v77, v98
	v_exp_f32_e32 v77, v77
	v_cvt_i32_f32_e32 v98, v99
	v_cmp_ngt_f32_e32 vcc, s35, v95
	v_ldexp_f32 v77, v77, v98
	v_cndmask_b32_e32 v77, 0, v77, vcc
	v_cmp_nlt_f32_e32 vcc, s89, v95
	v_cndmask_b32_e32 v230, v212, v77, vcc
	v_mul_f32_e32 v77, 0x3fb8aa3b, v94
	v_fma_f32 v95, v94, s9, -v77
	v_rndne_f32_e32 v98, v77
	v_fmac_f32_e32 v95, 0x32a5705f, v94
	v_sub_f32_e32 v77, v77, v98
	v_add_f32_e32 v77, v77, v95
	v_exp_f32_e32 v77, v77
	v_cvt_i32_f32_e32 v95, v98
	v_cmp_ngt_f32_e32 vcc, s35, v94
	v_ldexp_f32 v77, v77, v95
	v_cndmask_b32_e32 v77, 0, v77, vcc
	v_cmp_nlt_f32_e32 vcc, s89, v94
	v_pk_add_f32 v[94:95], v[96:97], v[64:65] op_sel_hi:[1,0] neg_lo:[0,1] neg_hi:[0,1]
	v_cndmask_b32_e32 v231, v212, v77, vcc
	v_mul_f32_e32 v77, 0x3fb8aa3b, v95
	v_fma_f32 v96, v95, s9, -v77
	v_rndne_f32_e32 v97, v77
	v_fmac_f32_e32 v96, 0x32a5705f, v95
	v_sub_f32_e32 v77, v77, v97
	v_add_f32_e32 v77, v77, v96
	v_exp_f32_e32 v77, v77
	v_cvt_i32_f32_e32 v96, v97
	v_cmp_ngt_f32_e32 vcc, s35, v95
	v_ldexp_f32 v77, v77, v96
	v_cndmask_b32_e32 v77, 0, v77, vcc
	v_cmp_nlt_f32_e32 vcc, s89, v95
	v_cndmask_b32_e32 v95, v212, v77, vcc
	v_mul_f32_e32 v77, 0x3fb8aa3b, v94
	v_fma_f32 v96, v94, s9, -v77
	v_rndne_f32_e32 v97, v77
	v_fmac_f32_e32 v96, 0x32a5705f, v94
	v_sub_f32_e32 v77, v77, v97
	v_add_f32_e32 v77, v77, v96
	v_exp_f32_e32 v77, v77
	v_cvt_i32_f32_e32 v96, v97
	v_cmp_ngt_f32_e32 vcc, s35, v94
	v_ldexp_f32 v77, v77, v96
	v_cndmask_b32_e32 v77, 0, v77, vcc
	v_cmp_nlt_f32_e32 vcc, s89, v94
	;; [unrolled: 13-line block ×4, first 2 shown]
	v_sub_f32_e32 v92, v227, v64
	v_mul_f32_e32 v97, 0x3fb8aa3b, v92
	v_fma_f32 v98, v92, s9, -v97
	v_rndne_f32_e32 v99, v97
	v_fmac_f32_e32 v98, 0x32a5705f, v92
	v_sub_f32_e32 v97, v97, v99
	v_add_f32_e32 v97, v97, v98
	v_exp_f32_e32 v97, v97
	v_cvt_i32_f32_e32 v98, v99
	v_cndmask_b32_e32 v96, v212, v77, vcc
	v_add_f32_e32 v77, v229, v228
	v_add_f32_e32 v77, v231, v77
	;; [unrolled: 1-line block ×4, first 2 shown]
	v_ldexp_f32 v97, v97, v98
	v_cmp_ngt_f32_e32 vcc, s35, v92
	v_add_f32_e32 v77, v95, v77
	v_cndmask_b32_e32 v97, 0, v97, vcc
	v_cmp_nlt_f32_e32 vcc, s89, v92
	v_add_f32_e32 v77, v96, v77
	v_cndmask_b32_e32 v97, v212, v97, vcc
	v_cmp_le_f32_e32 vcc, s90, v92
	v_add_f32_e32 v77, v93, v77
	v_cndmask_b32_e32 v92, 0, v97, vcc
	v_fmac_f32_e32 v77, v226, v92
	v_cvt_f16_f32_e32 v92, v92
	v_cvt_f16_f32_e32 v94, v94
	;; [unrolled: 1-line block ×3, first 2 shown]
	v_pk_mul_f16 v65, v92, v65 op_sel_hi:[0,1]
	v_pk_mul_f16 v63, v92, v63 op_sel_hi:[0,1]
	;; [unrolled: 1-line block ×14, first 2 shown]
	v_cvt_f16_f32_e32 v92, v95
	v_cvt_f16_f32_e32 v95, v229
	v_mov_b32_e32 v223, s73
	v_pack_b32_f16 v92, v94, v92
	v_cvt_f16_f32_e32 v94, v96
	v_cvt_f16_f32_e32 v96, v231
	v_pack_b32_f16 v93, v94, v93
	v_cvt_f16_f32_e32 v94, v228
	v_pack_b32_f16 v94, v95, v94
	v_cvt_f16_f32_e32 v95, v230
	v_pack_b32_f16 v95, v96, v95
	v_add_co_u32_e32 v96, vcc, s66, v78
	v_addc_co_u32_e32 v97, vcc, v15, v223, vcc
	global_load_dwordx4 v[228:231], v[96:97], off
	v_add_co_u32_e32 v96, vcc, s66, v80
	v_addc_co_u32_e32 v97, vcc, v17, v223, vcc
	s_waitcnt vmcnt(0)
	ds_write_b128 v118, v[228:231]
	global_load_dwordx4 v[228:231], v[96:97], off
	v_add_co_u32_e32 v96, vcc, s66, v82
	v_addc_co_u32_e32 v97, vcc, v19, v223, vcc
	v_add_co_u32_e32 v72, vcc, s63, v72
	v_addc_co_u32_e32 v73, vcc, 0, v73, vcc
	;; [unrolled: 2-line block ×3, first 2 shown]
	v_add_co_u32_e32 v76, vcc, s74, v76
	s_waitcnt vmcnt(0)
	ds_write_b128 v119, v[228:231]
	global_load_dwordx4 v[228:231], v[96:97], off
	s_waitcnt vmcnt(0)
	ds_write_b128 v210, v[228:231]
	s_waitcnt lgkmcnt(0)
	s_barrier
	ds_read_u16 v96, v89 offset:240
	ds_read_u16 v97, v89 offset:480
	v_cvt_f32_f16_e32 v230, v63
	v_cvt_f32_f16_sdwa v231, v63 dst_sel:DWORD dst_unused:UNUSED_PAD src0_sel:WORD_1
	ds_read_u16 v63, v91
	ds_read_u16 v223, v91 offset:32
	v_cvt_f32_f16_e32 v228, v65
	v_cvt_f32_f16_sdwa v229, v65 dst_sel:DWORD dst_unused:UNUSED_PAD src0_sel:WORD_1
	s_waitcnt lgkmcnt(1)
	v_perm_b32 v97, v63, v97, s91
	ds_read_u16 v63, v87
	ds_read_u16 v224, v87 offset:32
	ds_read_u16 v225, v87 offset:7680
	;; [unrolled: 1-line block ×5, first 2 shown]
	s_waitcnt lgkmcnt(5)
	v_perm_b32 v96, v96, v63, s91
	s_nop 1
	v_mfma_f32_16x16x16f16 v[228:231], v[96:97], v[94:95], v[228:231]
	s_nop 7
	s_nop 2
	v_cvt_f16_f32_e32 v96, v230
	v_cvt_f16_f32_e32 v97, v231
	;; [unrolled: 1-line block ×4, first 2 shown]
	v_cvt_f32_f16_e32 v230, v96
	v_cvt_f32_f16_e32 v231, v97
	s_waitcnt lgkmcnt(0)
	v_perm_b32 v97, v233, v232, s91
	v_perm_b32 v96, v227, v225, s91
	v_cvt_f32_f16_e32 v228, v63
	v_cvt_f32_f16_e32 v229, v65
	s_nop 1
	v_mfma_f32_16x16x16f16 v[228:231], v[96:97], v[92:93], v[228:231]
	s_nop 7
	s_nop 2
	v_cvt_f16_f32_e32 v63, v228
	v_cvt_f16_f32_e32 v65, v229
	;; [unrolled: 1-line block ×4, first 2 shown]
	v_cvt_f32_f16_e32 v228, v213
	v_pack_b32_f16 v65, v63, v65
	v_cvt_f32_f16_sdwa v229, v213 dst_sel:DWORD dst_unused:UNUSED_PAD src0_sel:WORD_1
	v_pack_b32_f16 v63, v96, v97
	ds_read_u16 v96, v204 offset:240
	ds_read_u16 v97, v204 offset:480
	v_cvt_f32_f16_e32 v230, v79
	v_cvt_f32_f16_sdwa v231, v79 dst_sel:DWORD dst_unused:UNUSED_PAD src0_sel:WORD_1
	s_waitcnt lgkmcnt(1)
	v_perm_b32 v96, v96, v224, s91
	s_waitcnt lgkmcnt(0)
	v_perm_b32 v97, v223, v97, s91
	ds_read_u16 v223, v100 offset:7680
	ds_read_u16 v224, v101 offset:240
	ds_read_u16 v225, v101 offset:480
	ds_read_u16 v227, v102 offset:7680
	v_mfma_f32_16x16x16f16 v[228:231], v[96:97], v[94:95], v[228:231]
	s_nop 7
	s_nop 2
	v_cvt_f16_f32_e32 v96, v229
	v_cvt_f16_f32_e32 v97, v230
	v_cvt_f16_f32_e32 v79, v228
	v_cvt_f16_f32_e32 v213, v231
	v_cvt_f32_f16_e32 v229, v96
	v_cvt_f32_f16_e32 v230, v97
	s_waitcnt lgkmcnt(0)
	v_perm_b32 v97, v227, v225, s91
	v_perm_b32 v96, v224, v223, s91
	v_cvt_f32_f16_e32 v228, v79
	v_cvt_f32_f16_e32 v231, v213
	s_nop 1
	v_mfma_f32_16x16x16f16 v[228:231], v[96:97], v[92:93], v[228:231]
	s_nop 7
	s_nop 2
	v_cvt_f16_f32_e32 v79, v228
	v_cvt_f16_f32_e32 v96, v229
	v_cvt_f16_f32_e32 v97, v230
	v_cvt_f16_f32_e32 v223, v231
	v_cvt_f32_f16_e32 v228, v217
	v_pack_b32_f16 v213, v79, v96
	v_cvt_f32_f16_sdwa v229, v217 dst_sel:DWORD dst_unused:UNUSED_PAD src0_sel:WORD_1
	v_pack_b32_f16 v79, v97, v223
	ds_read_u16 v96, v87 offset:64
	ds_read_u16 v223, v205 offset:240
	ds_read_u16 v97, v205 offset:480
	ds_read_u16 v224, v91 offset:64
	v_cvt_f32_f16_e32 v230, v216
	v_cvt_f32_f16_sdwa v231, v216 dst_sel:DWORD dst_unused:UNUSED_PAD src0_sel:WORD_1
	s_waitcnt lgkmcnt(2)
	v_perm_b32 v96, v223, v96, s91
	s_waitcnt lgkmcnt(0)
	v_perm_b32 v97, v224, v97, s91
	ds_read_u16 v223, v103 offset:7680
	ds_read_u16 v224, v104 offset:240
	ds_read_u16 v225, v104 offset:480
	ds_read_u16 v227, v105 offset:7680
	v_mfma_f32_16x16x16f16 v[228:231], v[96:97], v[94:95], v[228:231]
	s_nop 7
	s_nop 2
	v_cvt_f16_f32_e32 v96, v228
	v_cvt_f16_f32_e32 v97, v229
	v_cvt_f16_f32_e32 v216, v230
	v_cvt_f16_f32_e32 v217, v231
	v_cvt_f32_f16_e32 v228, v96
	v_cvt_f32_f16_e32 v229, v97
	s_waitcnt lgkmcnt(0)
	v_perm_b32 v97, v227, v225, s91
	v_perm_b32 v96, v224, v223, s91
	v_cvt_f32_f16_e32 v230, v216
	v_cvt_f32_f16_e32 v231, v217
	s_nop 1
	v_mfma_f32_16x16x16f16 v[228:231], v[96:97], v[92:93], v[228:231]
	s_nop 7
	s_nop 2
	v_cvt_f16_f32_e32 v96, v228
	v_cvt_f16_f32_e32 v97, v229
	v_cvt_f16_f32_e32 v216, v230
	v_cvt_f16_f32_e32 v223, v231
	v_cvt_f32_f16_e32 v228, v219
	v_pack_b32_f16 v217, v96, v97
	v_cvt_f32_f16_sdwa v229, v219 dst_sel:DWORD dst_unused:UNUSED_PAD src0_sel:WORD_1
	v_pack_b32_f16 v216, v216, v223
	ds_read_u16 v96, v87 offset:96
	ds_read_u16 v223, v206 offset:240
	;; [unrolled: 40-line block ×3, first 2 shown]
	ds_read_u16 v97, v207 offset:480
	ds_read_u16 v224, v91 offset:128
	v_cvt_f32_f16_e32 v230, v220
	v_cvt_f32_f16_sdwa v231, v220 dst_sel:DWORD dst_unused:UNUSED_PAD src0_sel:WORD_1
	s_waitcnt lgkmcnt(2)
	v_perm_b32 v96, v223, v96, s91
	s_waitcnt lgkmcnt(0)
	v_perm_b32 v97, v224, v97, s91
	ds_read_u16 v223, v109 offset:7680
	ds_read_u16 v224, v110 offset:240
	;; [unrolled: 1-line block ×4, first 2 shown]
	v_mfma_f32_16x16x16f16 v[228:231], v[96:97], v[94:95], v[228:231]
	s_nop 7
	s_nop 2
	v_cvt_f16_f32_e32 v96, v228
	v_cvt_f16_f32_e32 v97, v229
	;; [unrolled: 1-line block ×4, first 2 shown]
	v_cvt_f32_f16_e32 v228, v96
	v_cvt_f32_f16_e32 v229, v97
	s_waitcnt lgkmcnt(0)
	v_perm_b32 v97, v227, v225, s91
	v_perm_b32 v96, v224, v223, s91
	v_cvt_f32_f16_e32 v230, v220
	v_cvt_f32_f16_e32 v231, v221
	;; [unrolled: 1-line block ×3, first 2 shown]
	v_cvt_f32_f16_sdwa v225, v226 dst_sel:DWORD dst_unused:UNUSED_PAD src0_sel:WORD_1
	v_mfma_f32_16x16x16f16 v[228:231], v[96:97], v[92:93], v[228:231]
	v_cvt_f32_f16_e32 v226, v222
	v_cvt_f32_f16_sdwa v227, v222 dst_sel:DWORD dst_unused:UNUSED_PAD src0_sel:WORD_1
	s_nop 7
	s_nop 0
	v_cvt_f16_f32_e32 v96, v228
	v_cvt_f16_f32_e32 v97, v229
	;; [unrolled: 1-line block ×4, first 2 shown]
	v_pack_b32_f16 v221, v96, v97
	v_pack_b32_f16 v220, v220, v223
	ds_read_u16 v96, v87 offset:160
	ds_read_u16 v223, v208 offset:240
	ds_read_u16 v97, v208 offset:480
	ds_read_u16 v228, v91 offset:160
	s_waitcnt lgkmcnt(2)
	v_perm_b32 v96, v223, v96, s91
	s_waitcnt lgkmcnt(0)
	v_perm_b32 v97, v228, v97, s91
	s_nop 1
	v_mfma_f32_16x16x16f16 v[222:225], v[96:97], v[94:95], v[224:227]
	s_nop 6
	ds_read_u16 v226, v112 offset:7680
	ds_read_u16 v227, v113 offset:240
	ds_read_u16 v228, v113 offset:480
	ds_read_u16 v229, v114 offset:7680
	v_cvt_f16_f32_e32 v96, v222
	v_cvt_f16_f32_e32 v97, v223
	;; [unrolled: 1-line block ×4, first 2 shown]
	v_cvt_f32_f16_e32 v222, v96
	v_cvt_f32_f16_e32 v223, v97
	s_waitcnt lgkmcnt(0)
	v_perm_b32 v97, v229, v228, s91
	v_perm_b32 v96, v227, v226, s91
	v_cvt_f32_f16_e32 v224, v224
	v_cvt_f32_f16_e32 v225, v225
	;; [unrolled: 1-line block ×3, first 2 shown]
	v_cvt_f32_f16_sdwa v227, v98 dst_sel:DWORD dst_unused:UNUSED_PAD src0_sel:WORD_1
	v_mfma_f32_16x16x16f16 v[222:225], v[96:97], v[92:93], v[222:225]
	s_nop 7
	s_nop 2
	v_cvt_f16_f32_e32 v96, v222
	v_cvt_f16_f32_e32 v97, v223
	v_cvt_f16_f32_e32 v223, v224
	v_cvt_f16_f32_e32 v224, v225
	v_cvt_f32_f16_sdwa v225, v99 dst_sel:DWORD dst_unused:UNUSED_PAD src0_sel:WORD_1
	v_pack_b32_f16 v222, v96, v97
	ds_read_u16 v96, v87 offset:192
	ds_read_u16 v228, v209 offset:240
	;; [unrolled: 1-line block ×4, first 2 shown]
	v_pack_b32_f16 v223, v223, v224
	v_cvt_f32_f16_e32 v224, v99
	s_waitcnt lgkmcnt(2)
	v_perm_b32 v96, v228, v96, s91
	s_waitcnt lgkmcnt(0)
	v_perm_b32 v97, v229, v97, s91
	s_nop 1
	v_mfma_f32_16x16x16f16 v[94:97], v[96:97], v[94:95], v[224:227]
	ds_read_u16 v98, v115 offset:7680
	s_nop 5
	ds_read_u16 v224, v116 offset:240
	ds_read_u16 v99, v116 offset:480
	;; [unrolled: 1-line block ×3, first 2 shown]
	s_waitcnt lgkmcnt(0)
	s_barrier
	v_perm_b32 v98, v224, v98, s91
	v_perm_b32 v99, v225, v99, s91
	v_cvt_f16_f32_e32 v94, v94
	v_cvt_f16_f32_e32 v95, v95
	;; [unrolled: 1-line block ×4, first 2 shown]
	v_cvt_f32_f16_e32 v94, v94
	v_cvt_f32_f16_e32 v95, v95
	;; [unrolled: 1-line block ×4, first 2 shown]
	s_nop 1
	v_mfma_f32_16x16x16f16 v[92:95], v[98:99], v[92:93], v[94:97]
	s_nop 7
	s_nop 2
	v_cvt_f16_f32_e32 v92, v92
	v_cvt_f16_f32_e32 v93, v93
	;; [unrolled: 1-line block ×4, first 2 shown]
	v_pack_b32_f16 v225, v92, v93
	v_mov_b32_e32 v92, s75
	v_addc_co_u32_e32 v1, vcc, v1, v92, vcc
	v_add_co_u32_e32 v78, vcc, s74, v78
	v_addc_co_u32_e32 v15, vcc, v15, v92, vcc
	v_add_co_u32_e32 v80, vcc, s74, v80
	;; [unrolled: 2-line block ×4, first 2 shown]
	v_mov_b32_e32 v92, s77
	v_addc_co_u32_e32 v21, vcc, v21, v92, vcc
	v_add_co_u32_e32 v86, vcc, s76, v86
	v_addc_co_u32_e32 v27, vcc, v27, v92, vcc
	v_add_co_u32_e32 v88, vcc, s76, v88
	;; [unrolled: 2-line block ×3, first 2 shown]
	v_pack_b32_f16 v224, v94, v95
	v_addc_co_u32_e32 v45, vcc, v45, v92, vcc
	s_cbranch_scc0 .LBB19_171
; %bb.170:                              ;   in Loop: Header=BB19_165 Depth=2
	v_mov_b32_e32 v226, v77
	v_mov_b32_e32 v227, v64
	s_branch .LBB19_165
.LBB19_171:                             ;   in Loop: Header=BB19_14 Depth=1
	s_lshl_b32 s66, s16, 6
	s_lshl_b64 s[4:5], s[66:67], 1
	v_mov_b32_e32 v1, s5
	v_add_co_u32_e32 v15, vcc, s4, v62
	v_addc_co_u32_e32 v1, vcc, v59, v1, vcc
	v_lshlrev_b32_e32 v17, 1, v46
	v_add_co_u32_e32 v15, vcc, v15, v17
	v_addc_co_u32_e32 v1, vcc, 0, v1, vcc
	v_lshlrev_b64 v[68:69], 1, v[68:69]
	v_add_co_u32_e32 v68, vcc, v15, v68
	v_addc_co_u32_e32 v69, vcc, v1, v69, vcc
	v_lshlrev_b64 v[70:71], 1, v[70:71]
	v_add_co_u32_e32 v70, vcc, v15, v70
	v_addc_co_u32_e32 v71, vcc, v1, v71, vcc
	global_load_dword v1, v[68:69], off
	global_load_dword v15, v[70:71], off
	s_mul_i32 s5, s29, s66
	s_mul_hi_u32 s7, s28, s66
	s_mul_i32 s4, s28, s66
	s_add_i32 s5, s7, s5
	s_lshl_b64 s[10:11], s[4:5], 2
	s_add_u32 s5, s6, s10
	v_add_u32_e32 v17, v141, v201
	s_addc_u32 s4, s59, s11
	s_waitcnt vmcnt(1)
	ds_write_b32 v17, v1 offset:15360
	s_waitcnt vmcnt(0)
	ds_write_b32 v17, v15 offset:16512
	s_and_saveexec_b64 s[10:11], s[0:1]
	s_cbranch_execz .LBB19_173
; %bb.172:                              ;   in Loop: Header=BB19_14 Depth=1
	v_mov_b32_e32 v1, s4
	v_add_co_u32_e32 v15, vcc, s5, v36
	v_addc_co_u32_e32 v1, vcc, v1, v37, vcc
	v_lshlrev_b32_e32 v17, 2, v16
	v_add_co_u32_e32 v68, vcc, v15, v17
	v_addc_co_u32_e32 v69, vcc, 0, v1, vcc
	global_load_dwordx4 v[68:71], v[68:69], off offset:192
	s_waitcnt vmcnt(0)
	ds_write_b128 v120, v[68:71]
.LBB19_173:                             ;   in Loop: Header=BB19_14 Depth=1
	s_or_b64 exec, exec, s[10:11]
	v_add_co_u32_e32 v1, vcc, s5, v38
	v_mov_b32_e32 v15, s4
	v_addc_co_u32_e32 v15, vcc, v15, v39, vcc
	v_lshlrev_b32_e32 v62, 2, v18
	v_add_co_u32_e32 v68, vcc, v1, v62
	v_addc_co_u32_e32 v69, vcc, 0, v15, vcc
	global_load_dwordx4 v[68:71], v[68:69], off offset:128
	v_add_co_u32_e32 v15, vcc, s5, v40
	v_mov_b32_e32 v1, s4
	v_addc_co_u32_e32 v17, vcc, v1, v41, vcc
	v_lshlrev_b32_e32 v1, 2, v20
	s_waitcnt vmcnt(0)
	ds_write_b128 v118, v[68:71]
	v_add_co_u32_e32 v68, vcc, v15, v1
	v_addc_co_u32_e32 v69, vcc, 0, v17, vcc
	global_load_dwordx4 v[68:71], v[68:69], off
	v_add_co_u32_e32 v15, vcc, s5, v42
	v_mov_b32_e32 v17, s4
	v_addc_co_u32_e32 v17, vcc, v17, v43, vcc
	s_mul_i32 s4, s66, s23
	s_mul_hi_u32 s5, s66, s22
	s_add_i32 s5, s5, s4
	s_mul_i32 s4, s66, s22
	s_lshl_b64 s[6:7], s[4:5], 2
	s_add_u32 s5, s71, s6
	s_addc_u32 s4, s58, s7
	s_waitcnt vmcnt(0)
	ds_write_b128 v119, v[68:71]
	v_add_co_u32_e32 v68, vcc, v15, v1
	v_addc_co_u32_e32 v69, vcc, 0, v17, vcc
	global_load_dwordx4 v[68:71], v[68:69], off
	v_add_u32_e32 v15, v49, v133
	v_add_u32_e32 v17, 0x1800, v15
	s_waitcnt vmcnt(0)
	ds_write_b128 v210, v[68:71]
	s_waitcnt lgkmcnt(0)
	s_barrier
	ds_read2_b64 v[68:71], v15 offset1:4
	s_waitcnt lgkmcnt(0)
	v_mfma_f32_16x16x16f16 v[72:75], v[68:69], v[10:11], 0
	v_mfma_f32_16x16x16f16 v[68:71], v[70:71], v[12:13], v[72:75]
	s_nop 7
	s_nop 1
	ds_read2_b64 v[72:75], v15 offset0:8 offset1:12
	s_waitcnt lgkmcnt(0)
	v_mfma_f32_16x16x16f16 v[68:71], v[72:73], v[6:7], v[68:71]
	v_mfma_f32_16x16x16f16 v[68:71], v[74:75], v[8:9], v[68:71]
	ds_read2_b64 v[72:75], v15 offset0:16 offset1:20
	s_waitcnt lgkmcnt(0)
	v_mfma_f32_16x16x16f16 v[68:71], v[72:73], v[2:3], v[68:71]
	ds_read_b64 v[72:73], v15 offset:192
	v_mfma_f32_16x16x16f16 v[68:71], v[74:75], v[4:5], v[68:71]
	s_waitcnt lgkmcnt(0)
	v_mfma_f32_16x16x16f16 v[68:71], v[72:73], v[66:67], v[68:71]
	ds_read2_b64 v[72:75], v17 offset0:192 offset1:196
	s_waitcnt lgkmcnt(0)
	v_mfma_f32_16x16x16f16 v[92:95], v[72:73], v[10:11], 0
	v_mfma_f32_16x16x16f16 v[10:13], v[74:75], v[12:13], v[92:95]
	ds_read2_b64 v[72:75], v17 offset0:200 offset1:204
	s_waitcnt lgkmcnt(0)
	v_mfma_f32_16x16x16f16 v[10:13], v[72:73], v[6:7], v[10:13]
	v_mfma_f32_16x16x16f16 v[6:9], v[74:75], v[8:9], v[10:13]
	s_nop 7
	s_nop 1
	ds_read2_b64 v[10:13], v17 offset0:208 offset1:212
	s_waitcnt lgkmcnt(0)
	v_mfma_f32_16x16x16f16 v[6:9], v[10:11], v[2:3], v[6:9]
	v_mfma_f32_16x16x16f16 v[2:5], v[12:13], v[4:5], v[6:9]
	s_nop 7
	s_nop 1
	ds_read_b64 v[6:7], v15 offset:7872
	s_waitcnt lgkmcnt(0)
	v_mfma_f32_16x16x16f16 v[72:75], v[6:7], v[66:67], v[2:5]
	s_nop 6
	v_and_b32_e32 v3, 64, v198
	v_add_u32_e32 v2, 0x3c00, v85
	v_add_u32_e32 v6, 64, v3
	v_xor_b32_e32 v3, 32, v198
	s_barrier
	ds_read2_b32 v[4:5], v2 offset1:1
	ds_read_b32 v2, v134 offset:15360
	ds_read_b32 v12, v135 offset:15360
	v_cmp_lt_i32_e32 vcc, v3, v6
	v_xor_b32_e32 v7, 16, v198
	v_cndmask_b32_e32 v3, v198, v3, vcc
	v_cmp_lt_i32_e32 vcc, v7, v6
	v_cndmask_b32_e32 v6, v198, v7, vcc
	v_lshlrev_b32_e32 v19, 2, v6
	s_waitcnt lgkmcnt(2)
	v_cvt_f32_f16_e32 v6, v5
	v_cvt_f32_f16_sdwa v7, v5 dst_sel:DWORD dst_unused:UNUSED_PAD src0_sel:WORD_1
	v_lshlrev_b32_e32 v3, 2, v3
	v_pk_add_f32 v[8:9], v[70:71], v[6:7]
	v_cvt_f32_f16_e32 v6, v4
	v_cvt_f32_f16_sdwa v7, v4 dst_sel:DWORD dst_unused:UNUSED_PAD src0_sel:WORD_1
	v_add_f32_e32 v5, 0x40051340, v8
	v_add_f32_e32 v13, 0x40051340, v9
	v_pk_add_f32 v[10:11], v[68:69], v[6:7]
	v_add_f32_e32 v4, 0x40051340, v10
	v_add_f32_e32 v6, 0x40051340, v11
	v_max3_f32 v4, v64, v4, v6
	s_waitcnt lgkmcnt(1)
	v_cvt_f32_f16_sdwa v7, v2 dst_sel:DWORD dst_unused:UNUSED_PAD src0_sel:WORD_1
	v_cvt_f32_f16_e32 v6, v2
	v_max3_f32 v13, v4, v5, v13
	s_waitcnt lgkmcnt(0)
	v_cvt_f32_f16_sdwa v5, v12 dst_sel:DWORD dst_unused:UNUSED_PAD src0_sel:WORD_1
	v_cvt_f32_f16_e32 v4, v12
	v_pk_add_f32 v[6:7], v[72:73], v[6:7]
	v_add_f32_e32 v2, 0x40051340, v6
	v_add_f32_e32 v17, 0x40051340, v7
	v_pk_add_f32 v[4:5], v[74:75], v[4:5]
	v_add_f32_e32 v12, 0x40051340, v4
	v_add_f32_e32 v15, 0x40051340, v5
	v_max3_f32 v2, v13, v2, v17
	v_max3_f32 v2, v2, v12, v15
	ds_bpermute_b32 v12, v3, v2
	s_waitcnt lgkmcnt(0)
	v_max_f32_e32 v12, v12, v12
	v_max_f32_e32 v2, v2, v12
	ds_bpermute_b32 v12, v19, v2
	s_and_saveexec_b64 s[10:11], s[0:1]
	s_cbranch_execz .LBB19_175
; %bb.174:                              ;   in Loop: Header=BB19_14 Depth=1
	v_mov_b32_e32 v13, s4
	v_add_co_u32_e32 v15, vcc, s5, v24
	v_addc_co_u32_e32 v13, vcc, v13, v25, vcc
	v_lshlrev_b32_e32 v17, 2, v16
	v_add_co_u32_e32 v66, vcc, v15, v17
	v_addc_co_u32_e32 v67, vcc, 0, v13, vcc
	global_load_dwordx4 v[66:69], v[66:67], off offset:192
	s_waitcnt vmcnt(0)
	ds_write_b128 v51, v[66:69]
.LBB19_175:                             ;   in Loop: Header=BB19_14 Depth=1
	s_or_b64 exec, exec, s[10:11]
	s_waitcnt lgkmcnt(0)
	v_max_f32_e32 v12, v12, v12
	v_max_f32_e32 v2, v2, v2
	;; [unrolled: 1-line block ×3, first 2 shown]
	v_pk_add_f32 v[10:11], v[10:11], v[2:3] op_sel_hi:[1,0] neg_lo:[0,1] neg_hi:[0,1]
	v_mul_f32_e32 v12, 0x3fb8aa3b, v11
	v_fma_f32 v13, v11, s9, -v12
	v_rndne_f32_e32 v15, v12
	v_fmac_f32_e32 v13, 0x32a5705f, v11
	v_sub_f32_e32 v12, v12, v15
	v_add_f32_e32 v12, v12, v13
	v_exp_f32_e32 v12, v12
	v_cvt_i32_f32_e32 v13, v15
	v_cmp_ngt_f32_e32 vcc, s35, v11
	v_pk_add_f32 v[8:9], v[8:9], v[2:3] op_sel_hi:[1,0] neg_lo:[0,1] neg_hi:[0,1]
	v_pk_add_f32 v[6:7], v[6:7], v[2:3] op_sel_hi:[1,0] neg_lo:[0,1] neg_hi:[0,1]
	v_ldexp_f32 v12, v12, v13
	v_cndmask_b32_e32 v12, 0, v12, vcc
	v_cmp_nlt_f32_e32 vcc, s89, v11
	v_cndmask_b32_e32 v11, v212, v12, vcc
	v_mul_f32_e32 v12, 0x3fb8aa3b, v10
	v_fma_f32 v13, v10, s9, -v12
	v_rndne_f32_e32 v15, v12
	v_fmac_f32_e32 v13, 0x32a5705f, v10
	v_sub_f32_e32 v12, v12, v15
	v_add_f32_e32 v12, v12, v13
	v_exp_f32_e32 v12, v12
	v_cvt_i32_f32_e32 v13, v15
	v_cmp_ngt_f32_e32 vcc, s35, v10
	v_pk_add_f32 v[4:5], v[4:5], v[2:3] op_sel_hi:[1,0] neg_lo:[0,1] neg_hi:[0,1]
	s_cmp_eq_u64 s[78:79], 0
	v_ldexp_f32 v12, v12, v13
	v_cndmask_b32_e32 v12, 0, v12, vcc
	v_cmp_nlt_f32_e32 vcc, s89, v10
	v_cndmask_b32_e32 v10, v212, v12, vcc
	v_mul_f32_e32 v12, 0x3fb8aa3b, v9
	v_fma_f32 v13, v9, s9, -v12
	v_rndne_f32_e32 v15, v12
	v_fmac_f32_e32 v13, 0x32a5705f, v9
	v_sub_f32_e32 v12, v12, v15
	v_add_f32_e32 v12, v12, v13
	v_exp_f32_e32 v12, v12
	v_cvt_i32_f32_e32 v13, v15
	v_cmp_ngt_f32_e32 vcc, s35, v9
	v_ldexp_f32 v12, v12, v13
	v_cndmask_b32_e32 v12, 0, v12, vcc
	v_cmp_nlt_f32_e32 vcc, s89, v9
	v_mul_f32_e32 v9, 0x3fb8aa3b, v8
	v_cndmask_b32_e32 v66, v212, v12, vcc
	v_fma_f32 v12, v8, s9, -v9
	v_rndne_f32_e32 v13, v9
	v_fmac_f32_e32 v12, 0x32a5705f, v8
	v_sub_f32_e32 v9, v9, v13
	v_add_f32_e32 v9, v9, v12
	v_exp_f32_e32 v9, v9
	v_cvt_i32_f32_e32 v12, v13
	v_cmp_ngt_f32_e32 vcc, s35, v8
	v_ldexp_f32 v9, v9, v12
	v_cndmask_b32_e32 v9, 0, v9, vcc
	v_cmp_nlt_f32_e32 vcc, s89, v8
	v_mul_f32_e32 v8, 0x3fb8aa3b, v7
	v_cndmask_b32_e32 v67, v212, v9, vcc
	;; [unrolled: 13-line block ×4, first 2 shown]
	v_fma_f32 v7, v5, s9, -v6
	v_rndne_f32_e32 v8, v6
	v_fmac_f32_e32 v7, 0x32a5705f, v5
	v_sub_f32_e32 v6, v6, v8
	v_add_f32_e32 v6, v6, v7
	v_exp_f32_e32 v6, v6
	v_cvt_i32_f32_e32 v7, v8
	v_cmp_ngt_f32_e32 vcc, s35, v5
	v_ldexp_f32 v6, v6, v7
	v_cndmask_b32_e32 v6, 0, v6, vcc
	v_cmp_nlt_f32_e32 vcc, s89, v5
	v_cndmask_b32_e32 v5, v212, v6, vcc
	v_mul_f32_e32 v6, 0x3fb8aa3b, v4
	v_fma_f32 v7, v4, s9, -v6
	v_rndne_f32_e32 v8, v6
	v_fmac_f32_e32 v7, 0x32a5705f, v4
	v_sub_f32_e32 v6, v6, v8
	v_add_f32_e32 v6, v6, v7
	v_exp_f32_e32 v6, v6
	v_cvt_i32_f32_e32 v7, v8
	v_cmp_ngt_f32_e32 vcc, s35, v4
	v_ldexp_f32 v6, v6, v7
	v_cndmask_b32_e32 v6, 0, v6, vcc
	v_cmp_nlt_f32_e32 vcc, s89, v4
	v_add_f32_e32 v4, v10, v11
	v_add_f32_e32 v4, v67, v4
	;; [unrolled: 1-line block ×4, first 2 shown]
	v_cndmask_b32_e32 v70, v212, v6, vcc
	v_add_f32_e32 v4, v68, v4
	v_add_f32_e32 v4, v70, v4
	;; [unrolled: 1-line block ×3, first 2 shown]
	v_sub_f32_e32 v4, v64, v2
	v_mul_f32_e32 v6, 0x3fb8aa3b, v4
	v_fma_f32 v7, v4, s9, -v6
	v_rndne_f32_e32 v8, v6
	v_fmac_f32_e32 v7, 0x32a5705f, v4
	v_sub_f32_e32 v6, v6, v8
	v_add_f32_e32 v6, v6, v7
	v_exp_f32_e32 v6, v6
	v_cvt_i32_f32_e32 v7, v8
	v_cmp_ngt_f32_e32 vcc, s35, v4
	v_cvt_f16_f32_e32 v5, v5
	v_cvt_f16_f32_e32 v11, v11
	v_ldexp_f32 v6, v6, v7
	v_cndmask_b32_e32 v6, 0, v6, vcc
	v_cmp_nlt_f32_e32 vcc, s89, v4
	v_cndmask_b32_e32 v6, v212, v6, vcc
	v_cmp_le_f32_e32 vcc, s90, v4
	v_cndmask_b32_e32 v4, 0, v6, vcc
	v_fmac_f32_e32 v21, v77, v4
	v_cvt_f16_f32_e32 v4, v4
	v_cvt_f16_f32_e32 v10, v10
	ds_bpermute_b32 v3, v3, v21
	v_pk_mul_f16 v64, v4, v65 op_sel_hi:[0,1]
	v_pk_mul_f16 v6, v4, v63 op_sel_hi:[0,1]
	;; [unrolled: 1-line block ×14, first 2 shown]
	v_cvt_f16_f32_e32 v4, v68
	v_cvt_f16_f32_e32 v65, v69
	v_pack_b32_f16 v10, v10, v11
	v_cvt_f16_f32_e32 v11, v66
	v_mov_b32_e32 v66, s4
	v_pack_b32_f16 v4, v65, v4
	v_cvt_f16_f32_e32 v65, v70
	s_waitcnt lgkmcnt(0)
	v_add_f32_e32 v3, v21, v3
	v_pack_b32_f16 v5, v65, v5
	v_cvt_f16_f32_e32 v65, v67
	v_pack_b32_f16 v11, v65, v11
	v_add_co_u32_e32 v65, vcc, s5, v28
	v_addc_co_u32_e32 v67, vcc, v66, v29, vcc
	v_add_co_u32_e32 v66, vcc, v65, v62
	v_addc_co_u32_e32 v67, vcc, 0, v67, vcc
	global_load_dwordx4 v[66:69], v[66:67], off offset:128
	v_add_co_u32_e32 v62, vcc, s5, v30
	v_mov_b32_e32 v65, s4
	v_addc_co_u32_e32 v65, vcc, v65, v31, vcc
	s_waitcnt vmcnt(0)
	ds_write_b128 v118, v[66:69]
	v_add_co_u32_e32 v66, vcc, v62, v1
	v_addc_co_u32_e32 v67, vcc, 0, v65, vcc
	global_load_dwordx4 v[66:69], v[66:67], off
	v_add_co_u32_e32 v62, vcc, s5, v34
	v_mov_b32_e32 v65, s4
	v_addc_co_u32_e32 v65, vcc, v65, v35, vcc
	s_cselect_b64 s[4:5], -1, 0
	s_xor_b64 s[6:7], s[2:3], -1
	s_or_b64 s[4:5], s[6:7], s[4:5]
	s_waitcnt vmcnt(0)
	ds_write_b128 v119, v[66:69]
	v_add_co_u32_e32 v66, vcc, v62, v1
	v_addc_co_u32_e32 v67, vcc, 0, v65, vcc
	global_load_dwordx4 v[66:69], v[66:67], off
	s_waitcnt vmcnt(0)
	ds_write_b128 v210, v[66:69]
	s_waitcnt lgkmcnt(0)
	s_barrier
	ds_read_u16 v1, v89 offset:240
	ds_read_u16 v62, v89 offset:480
	v_cvt_f32_f16_e32 v68, v6
	v_cvt_f32_f16_sdwa v69, v6 dst_sel:DWORD dst_unused:UNUSED_PAD src0_sel:WORD_1
	ds_read_u16 v6, v91
	ds_read_u16 v70, v91 offset:32
	v_cvt_f32_f16_e32 v66, v64
	v_cvt_f32_f16_sdwa v67, v64 dst_sel:DWORD dst_unused:UNUSED_PAD src0_sel:WORD_1
	s_waitcnt lgkmcnt(1)
	v_perm_b32 v65, v6, v62, s91
	ds_read_u16 v6, v87
	ds_read_u16 v62, v87 offset:32
	s_waitcnt lgkmcnt(1)
	v_perm_b32 v64, v1, v6, s91
	s_nop 1
	v_mfma_f32_16x16x16f16 v[64:67], v[64:65], v[10:11], v[66:69]
	s_nop 6
	ds_read_u16 v68, v87 offset:7680
	ds_read_u16 v71, v203 offset:240
	;; [unrolled: 1-line block ×4, first 2 shown]
	s_waitcnt lgkmcnt(2)
	v_perm_b32 v68, v71, v68, s91
	s_waitcnt lgkmcnt(0)
	v_perm_b32 v69, v72, v69, s91
	v_cvt_f16_f32_e32 v1, v64
	v_cvt_f16_f32_e32 v6, v65
	v_cvt_f16_f32_e32 v66, v66
	v_cvt_f16_f32_e32 v67, v67
	v_cvt_f32_f16_e32 v64, v1
	v_cvt_f32_f16_e32 v65, v6
	;; [unrolled: 1-line block ×4, first 2 shown]
	s_nop 1
	v_mfma_f32_16x16x16f16 v[64:67], v[68:69], v[4:5], v[64:67]
	ds_read_u16 v68, v204 offset:240
	ds_read_u16 v69, v204 offset:480
	s_waitcnt lgkmcnt(1)
	v_perm_b32 v68, v68, v62, s91
	s_waitcnt lgkmcnt(0)
	v_perm_b32 v69, v70, v69, s91
	s_nop 4
	v_cvt_f16_f32_e32 v1, v64
	v_cvt_f16_f32_e32 v6, v65
	;; [unrolled: 1-line block ×4, first 2 shown]
	v_cvt_f32_f16_e32 v66, v7
	v_pack_b32_f16 v6, v1, v6
	v_cvt_f32_f16_sdwa v67, v7 dst_sel:DWORD dst_unused:UNUSED_PAD src0_sel:WORD_1
	v_pack_b32_f16 v1, v64, v65
	v_cvt_f32_f16_e32 v64, v8
	v_cvt_f32_f16_sdwa v65, v8 dst_sel:DWORD dst_unused:UNUSED_PAD src0_sel:WORD_1
	s_nop 1
	v_mfma_f32_16x16x16f16 v[64:67], v[68:69], v[10:11], v[64:67]
	ds_read_u16 v68, v100 offset:7680
	ds_read_u16 v70, v101 offset:240
	;; [unrolled: 1-line block ×4, first 2 shown]
	s_waitcnt lgkmcnt(2)
	v_perm_b32 v68, v70, v68, s91
	s_waitcnt lgkmcnt(0)
	v_perm_b32 v69, v71, v69, s91
	s_nop 2
	v_cvt_f16_f32_e32 v7, v64
	v_cvt_f16_f32_e32 v8, v65
	;; [unrolled: 1-line block ×4, first 2 shown]
	v_cvt_f32_f16_e32 v64, v7
	v_cvt_f32_f16_e32 v65, v8
	;; [unrolled: 1-line block ×4, first 2 shown]
	s_nop 1
	v_mfma_f32_16x16x16f16 v[64:67], v[68:69], v[4:5], v[64:67]
	s_nop 7
	s_nop 2
	v_cvt_f16_f32_e32 v7, v64
	v_cvt_f16_f32_e32 v8, v65
	;; [unrolled: 1-line block ×4, first 2 shown]
	v_cvt_f32_f16_sdwa v65, v12 dst_sel:DWORD dst_unused:UNUSED_PAD src0_sel:WORD_1
	v_pack_b32_f16 v8, v7, v8
	v_cvt_f32_f16_e32 v66, v9
	v_pack_b32_f16 v7, v62, v64
	ds_read_u16 v62, v87 offset:64
	ds_read_u16 v68, v205 offset:240
	;; [unrolled: 1-line block ×4, first 2 shown]
	v_cvt_f32_f16_e32 v64, v12
	v_cvt_f32_f16_sdwa v67, v9 dst_sel:DWORD dst_unused:UNUSED_PAD src0_sel:WORD_1
	s_waitcnt lgkmcnt(2)
	v_perm_b32 v68, v68, v62, s91
	s_waitcnt lgkmcnt(0)
	v_perm_b32 v69, v70, v69, s91
	s_nop 1
	v_mfma_f32_16x16x16f16 v[64:67], v[68:69], v[10:11], v[64:67]
	ds_read_u16 v68, v103 offset:7680
	ds_read_u16 v70, v104 offset:240
	;; [unrolled: 1-line block ×4, first 2 shown]
	s_waitcnt lgkmcnt(2)
	v_perm_b32 v68, v70, v68, s91
	s_waitcnt lgkmcnt(0)
	v_perm_b32 v69, v71, v69, s91
	s_nop 2
	v_cvt_f16_f32_e32 v9, v64
	v_cvt_f16_f32_e32 v12, v65
	v_cvt_f16_f32_e32 v62, v66
	v_cvt_f16_f32_e32 v67, v67
	v_cvt_f32_f16_e32 v64, v9
	v_cvt_f32_f16_e32 v65, v12
	;; [unrolled: 1-line block ×4, first 2 shown]
	s_nop 1
	v_mfma_f32_16x16x16f16 v[64:67], v[68:69], v[4:5], v[64:67]
	s_nop 7
	s_nop 2
	v_cvt_f16_f32_e32 v9, v64
	v_cvt_f16_f32_e32 v62, v66
	;; [unrolled: 1-line block ×3, first 2 shown]
	ds_read_u16 v66, v87 offset:96
	ds_read_u16 v68, v206 offset:240
	;; [unrolled: 1-line block ×4, first 2 shown]
	v_cvt_f16_f32_e32 v12, v65
	v_cvt_f32_f16_sdwa v65, v13 dst_sel:DWORD dst_unused:UNUSED_PAD src0_sel:WORD_1
	s_waitcnt lgkmcnt(2)
	v_perm_b32 v66, v68, v66, s91
	s_waitcnt lgkmcnt(0)
	v_perm_b32 v67, v69, v67, s91
	v_pack_b32_f16 v12, v9, v12
	v_pack_b32_f16 v9, v62, v64
	v_cvt_f32_f16_e32 v62, v63
	v_cvt_f32_f16_sdwa v63, v63 dst_sel:DWORD dst_unused:UNUSED_PAD src0_sel:WORD_1
	v_cvt_f32_f16_e32 v64, v13
	s_nop 1
	v_mfma_f32_16x16x16f16 v[62:65], v[66:67], v[10:11], v[62:65]
	ds_read_u16 v66, v106 offset:7680
	ds_read_u16 v68, v107 offset:240
	;; [unrolled: 1-line block ×4, first 2 shown]
	s_waitcnt lgkmcnt(2)
	v_perm_b32 v66, v68, v66, s91
	s_waitcnt lgkmcnt(0)
	v_perm_b32 v67, v69, v67, s91
	s_nop 2
	v_cvt_f16_f32_e32 v13, v62
	v_cvt_f16_f32_e32 v63, v63
	;; [unrolled: 1-line block ×4, first 2 shown]
	v_cvt_f32_f16_e32 v62, v13
	v_cvt_f32_f16_e32 v63, v63
	;; [unrolled: 1-line block ×4, first 2 shown]
	s_nop 1
	v_mfma_f32_16x16x16f16 v[62:65], v[66:67], v[4:5], v[62:65]
	v_cvt_f32_f16_e32 v66, v15
	v_cvt_f32_f16_sdwa v67, v15 dst_sel:DWORD dst_unused:UNUSED_PAD src0_sel:WORD_1
	s_nop 7
	s_nop 0
	v_cvt_f16_f32_e32 v13, v62
	v_cvt_f16_f32_e32 v62, v63
	;; [unrolled: 1-line block ×4, first 2 shown]
	v_cvt_f32_f16_sdwa v65, v59 dst_sel:DWORD dst_unused:UNUSED_PAD src0_sel:WORD_1
	v_pack_b32_f16 v62, v13, v62
	v_pack_b32_f16 v13, v63, v64
	ds_read_u16 v63, v87 offset:128
	ds_read_u16 v68, v207 offset:240
	;; [unrolled: 1-line block ×4, first 2 shown]
	v_cvt_f32_f16_e32 v64, v59
	s_waitcnt lgkmcnt(2)
	v_perm_b32 v68, v68, v63, s91
	s_waitcnt lgkmcnt(0)
	v_perm_b32 v69, v70, v69, s91
	s_nop 1
	v_mfma_f32_16x16x16f16 v[64:67], v[68:69], v[10:11], v[64:67]
	ds_read_u16 v68, v109 offset:7680
	ds_read_u16 v70, v110 offset:240
	;; [unrolled: 1-line block ×4, first 2 shown]
	s_waitcnt lgkmcnt(2)
	v_perm_b32 v68, v70, v68, s91
	s_waitcnt lgkmcnt(0)
	v_perm_b32 v69, v71, v69, s91
	s_nop 2
	v_cvt_f16_f32_e32 v15, v64
	v_cvt_f16_f32_e32 v59, v65
	;; [unrolled: 1-line block ×4, first 2 shown]
	v_cvt_f32_f16_e32 v64, v15
	v_cvt_f32_f16_e32 v65, v59
	;; [unrolled: 1-line block ×4, first 2 shown]
	s_nop 1
	v_mfma_f32_16x16x16f16 v[64:67], v[68:69], v[4:5], v[64:67]
	v_cvt_f32_f16_e32 v68, v17
	v_cvt_f32_f16_sdwa v69, v17 dst_sel:DWORD dst_unused:UNUSED_PAD src0_sel:WORD_1
	s_nop 7
	s_nop 0
	v_cvt_f16_f32_e32 v15, v64
	v_cvt_f16_f32_e32 v59, v65
	;; [unrolled: 1-line block ×4, first 2 shown]
	v_cvt_f32_f16_e32 v66, v45
	v_pack_b32_f16 v64, v15, v59
	v_cvt_f32_f16_sdwa v67, v45 dst_sel:DWORD dst_unused:UNUSED_PAD src0_sel:WORD_1
	v_pack_b32_f16 v15, v63, v65
	ds_read_u16 v59, v87 offset:160
	ds_read_u16 v63, v208 offset:240
	;; [unrolled: 1-line block ×4, first 2 shown]
	s_waitcnt lgkmcnt(0)
	v_perm_b32 v71, v70, v65, s91
	v_perm_b32 v70, v63, v59, s91
	s_nop 1
	v_mfma_f32_16x16x16f16 v[66:69], v[70:71], v[10:11], v[66:69]
	ds_read_u16 v65, v112 offset:7680
	ds_read_u16 v70, v113 offset:240
	;; [unrolled: 1-line block ×4, first 2 shown]
	s_waitcnt lgkmcnt(2)
	v_perm_b32 v70, v70, v65, s91
	s_waitcnt lgkmcnt(0)
	v_perm_b32 v71, v72, v71, s91
	s_nop 2
	v_cvt_f16_f32_e32 v17, v66
	v_cvt_f16_f32_e32 v45, v67
	;; [unrolled: 1-line block ×4, first 2 shown]
	v_cvt_f32_f16_e32 v66, v17
	v_cvt_f32_f16_e32 v67, v45
	;; [unrolled: 1-line block ×4, first 2 shown]
	s_nop 1
	v_mfma_f32_16x16x16f16 v[66:69], v[70:71], v[4:5], v[66:69]
	v_cvt_f32_f16_e32 v70, v27
	v_cvt_f32_f16_sdwa v71, v27 dst_sel:DWORD dst_unused:UNUSED_PAD src0_sel:WORD_1
	s_nop 7
	s_nop 0
	v_cvt_f16_f32_e32 v17, v66
	v_cvt_f16_f32_e32 v45, v67
	;; [unrolled: 1-line block ×4, first 2 shown]
	v_cvt_f32_f16_e32 v68, v33
	v_pack_b32_f16 v66, v17, v45
	v_cvt_f32_f16_sdwa v69, v33 dst_sel:DWORD dst_unused:UNUSED_PAD src0_sel:WORD_1
	v_pack_b32_f16 v17, v59, v63
	ds_read_u16 v45, v87 offset:192
	ds_read_u16 v59, v209 offset:240
	;; [unrolled: 1-line block ×4, first 2 shown]
	s_waitcnt lgkmcnt(2)
	v_perm_b32 v72, v59, v45, s91
	s_waitcnt lgkmcnt(0)
	v_perm_b32 v73, v65, v63, s91
	ds_read_u16 v45, v115 offset:7680
	ds_read_u16 v59, v116 offset:240
	;; [unrolled: 1-line block ×4, first 2 shown]
	v_mfma_f32_16x16x16f16 v[68:71], v[72:73], v[10:11], v[68:71]
	s_waitcnt lgkmcnt(0)
	s_barrier
	s_nop 7
	s_nop 0
	v_cvt_f16_f32_e32 v10, v68
	v_cvt_f16_f32_e32 v11, v69
	;; [unrolled: 1-line block ×4, first 2 shown]
	v_cvt_f32_f16_e32 v68, v10
	v_cvt_f32_f16_e32 v69, v11
	v_perm_b32 v11, v65, v63, s91
	v_perm_b32 v10, v59, v45, s91
	v_cvt_f32_f16_e32 v70, v27
	v_cvt_f32_f16_e32 v71, v33
	s_nop 1
	v_mfma_f32_16x16x16f16 v[68:71], v[10:11], v[4:5], v[68:71]
	s_nop 7
	s_nop 2
	v_cvt_f16_f32_e32 v4, v68
	v_cvt_f16_f32_e32 v5, v69
	;; [unrolled: 1-line block ×4, first 2 shown]
	v_pack_b32_f16 v4, v4, v5
	v_pack_b32_f16 v5, v10, v11
	ds_bpermute_b32 v10, v19, v3
	s_waitcnt lgkmcnt(0)
	v_add_f32_e32 v3, v3, v10
	s_and_saveexec_b64 s[6:7], s[4:5]
	s_xor_b64 s[10:11], exec, s[6:7]
	s_andn2_saveexec_b64 s[10:11], s[10:11]
	s_cbranch_execz .LBB19_177
; %bb.176:                              ;   in Loop: Header=BB19_14 Depth=1
	v_lshlrev_b32_e32 v10, 2, v26
	global_load_dword v11, v10, s[78:79]
	v_max_f32_e32 v10, v2, v2
	s_waitcnt vmcnt(0)
	v_max_f32_e32 v21, v11, v11
	v_max_f32_e32 v10, v10, v21
	v_sub_f32_e32 v2, v2, v10
	v_sub_f32_e32 v11, v11, v10
	v_mul_f32_e32 v21, 0x3fb8aa3b, v2
	v_mul_f32_e32 v27, 0x3fb8aa3b, v11
	v_fma_f32 v33, v2, s9, -v21
	v_rndne_f32_e32 v45, v21
	v_fma_f32 v59, v11, s9, -v27
	v_rndne_f32_e32 v63, v27
	v_fmac_f32_e32 v33, 0x32a5705f, v2
	v_sub_f32_e32 v21, v21, v45
	v_fmac_f32_e32 v59, 0x32a5705f, v11
	v_sub_f32_e32 v27, v27, v63
	v_add_f32_e32 v21, v21, v33
	v_cvt_i32_f32_e32 v45, v45
	v_add_f32_e32 v27, v27, v59
	v_exp_f32_e32 v21, v21
	v_cvt_i32_f32_e32 v63, v63
	v_exp_f32_e32 v27, v27
	v_cmp_ngt_f32_e32 vcc, s35, v2
	v_ldexp_f32 v21, v21, v45
	v_cndmask_b32_e32 v21, 0, v21, vcc
	v_ldexp_f32 v27, v27, v63
	v_cmp_ngt_f32_e32 vcc, s35, v11
	v_cndmask_b32_e32 v27, 0, v27, vcc
	v_cmp_nlt_f32_e32 vcc, s89, v2
	v_cndmask_b32_e32 v21, v212, v21, vcc
	v_cmp_le_f32_e32 vcc, s90, v2
	v_cndmask_b32_e32 v2, 0, v21, vcc
	v_cvt_f16_f32_e32 v21, v2
	v_cmp_nlt_f32_e32 vcc, s89, v11
	v_cndmask_b32_e32 v11, v212, v27, vcc
	v_fmac_f32_e32 v11, v3, v2
	v_pk_mul_f16 v6, v21, v6 op_sel_hi:[0,1]
	v_pk_mul_f16 v1, v21, v1 op_sel_hi:[0,1]
	;; [unrolled: 1-line block ×14, first 2 shown]
	v_pk_mov_b32 v[2:3], v[10:11], v[10:11] op_sel:[0,1]
.LBB19_177:                             ;   in Loop: Header=BB19_14 Depth=1
	s_or_b64 exec, exec, s[10:11]
	s_mov_b64 s[10:11], exec
	v_readlane_b32 s4, v234, 21
	v_readlane_b32 s5, v234, 22
	s_and_b64 s[4:5], s[10:11], s[4:5]
	s_mov_b64 exec, s[4:5]
	s_cbranch_execz .LBB19_179
; %bb.178:                              ;   in Loop: Header=BB19_14 Depth=1
	v_add_u32_e32 v10, 0, v136
	ds_write2_b32 v10, v2, v3 offset0:56 offset1:57
.LBB19_179:                             ;   in Loop: Header=BB19_14 Depth=1
	s_or_b64 exec, exec, s[10:11]
	s_waitcnt lgkmcnt(0)
	s_barrier
	s_mov_b64 s[4:5], exec
	v_readlane_b32 s6, v234, 19
	v_readlane_b32 s7, v234, 20
	s_and_b64 s[6:7], s[4:5], s[6:7]
	s_xor_b64 s[10:11], s[6:7], s[4:5]
	s_mov_b64 exec, s[6:7]
	s_cbranch_execz .LBB19_181
; %bb.180:                              ;   in Loop: Header=BB19_14 Depth=1
	s_barrier
	s_waitcnt lgkmcnt(0)
                                        ; implicit-def: $vgpr19
.LBB19_181:                             ;   in Loop: Header=BB19_14 Depth=1
	s_andn2_saveexec_b64 s[10:11], s[10:11]
	s_cbranch_execz .LBB19_185
; %bb.182:                              ;   in Loop: Header=BB19_14 Depth=1
	v_add_u32_e32 v10, 0, v137
	ds_read_b64 v[2:3], v10 offset:224
	s_waitcnt lgkmcnt(0)
	s_barrier
	ds_bpermute_b32 v11, v19, v2
	v_max_f32_e32 v21, v2, v2
	s_waitcnt lgkmcnt(0)
	v_max_f32_e32 v11, v11, v11
	v_max_f32_e32 v11, v21, v11
	v_sub_f32_e32 v2, v2, v11
	v_mul_f32_e32 v11, 0x3fb8aa3b, v2
	v_fma_f32 v21, v2, s9, -v11
	v_rndne_f32_e32 v27, v11
	v_fmac_f32_e32 v21, 0x32a5705f, v2
	v_sub_f32_e32 v11, v11, v27
	v_add_f32_e32 v11, v11, v21
	v_cvt_i32_f32_e32 v27, v27
	v_exp_f32_e32 v11, v11
	v_cmp_ngt_f32_e32 vcc, s35, v2
	v_ldexp_f32 v11, v11, v27
	v_cndmask_b32_e32 v11, 0, v11, vcc
	v_cmp_nlt_f32_e32 vcc, s89, v2
	v_cndmask_b32_e32 v2, v212, v11, vcc
	v_mul_f32_e32 v3, v3, v2
	ds_bpermute_b32 v11, v19, v3
	s_mov_b64 s[18:19], exec
	v_readlane_b32 s4, v234, 23
	v_readlane_b32 s5, v234, 24
	s_and_b64 s[4:5], s[18:19], s[4:5]
	s_mov_b64 exec, s[4:5]
	s_cbranch_execz .LBB19_184
; %bb.183:                              ;   in Loop: Header=BB19_14 Depth=1
	s_waitcnt lgkmcnt(0)
	v_add_f32_e32 v3, v3, v11
	ds_write_b64 v10, v[2:3] offset:224
.LBB19_184:                             ;   in Loop: Header=BB19_14 Depth=1
	s_or_b64 exec, exec, s[18:19]
.LBB19_185:                             ;   in Loop: Header=BB19_14 Depth=1
	s_or_b64 exec, exec, s[10:11]
	ds_write2_b32 v138, v6, v1 offset1:1
	ds_write2_b32 v138, v8, v7 offset0:8 offset1:9
	ds_write2_b32 v138, v12, v9 offset0:16 offset1:17
	;; [unrolled: 1-line block ×6, first 2 shown]
	s_waitcnt lgkmcnt(0)
	s_barrier
	s_and_saveexec_b64 s[18:19], s[2:3]
	s_cbranch_execz .LBB19_12
; %bb.186:                              ;   in Loop: Header=BB19_14 Depth=1
	v_add_u32_e32 v2, s84, v148
	v_or_b32_e32 v1, s70, v56
	v_cmp_gt_i32_e32 vcc, s20, v2
	v_cmp_gt_i32_e64 s[10:11], s33, v1
	s_and_b64 s[4:5], vcc, s[10:11]
	v_mov_b32_e32 v1, 0x47
	s_and_saveexec_b64 s[78:79], s[4:5]
	s_cbranch_execz .LBB19_188
; %bb.187:                              ;   in Loop: Header=BB19_14 Depth=1
	v_add_u32_e32 v1, 0, v149
	ds_read2_b32 v[4:5], v1 offset0:56 offset1:57
	ds_read2st64_b32 v[6:7], v150 offset1:15
	ds_read_b32 v8, v1 offset:4064
	v_mad_u64_u32 v[2:3], s[4:5], v2, s21, v[56:57]
	v_mad_u64_u32 v[2:3], s[4:5], v2, 56, v[44:45]
	s_waitcnt lgkmcnt(1)
	v_cvt_f32_f16_sdwa v11, v6 dst_sel:DWORD dst_unused:UNUSED_PAD src0_sel:WORD_1
	v_cvt_f32_f16_e32 v10, v6
	v_cvt_f32_f16_sdwa v13, v7 dst_sel:DWORD dst_unused:UNUSED_PAD src0_sel:WORD_1
	v_cvt_f32_f16_e32 v12, v7
	v_ashrrev_i32_e32 v3, 31, v2
	v_lshlrev_b64 v[2:3], 3, v[2:3]
	v_pk_fma_f32 v[10:11], v[4:5], v[10:11], 0 op_sel_hi:[0,1,0]
	v_add_co_u32_e32 v2, vcc, s68, v2
	v_mov_b32_e32 v1, s69
	s_waitcnt lgkmcnt(0)
	v_pk_fma_f32 v[6:7], v[8:9], v[12:13], v[10:11] op_sel_hi:[0,1,1]
	v_addc_co_u32_e32 v3, vcc, v1, v3, vcc
	v_div_scale_f32 v1, s[4:5], v5, v5, v7
	v_rcp_f32_e32 v4, v1
	v_fma_f32 v8, -v1, v4, 1.0
	v_fmac_f32_e32 v4, v8, v4
	v_div_scale_f32 v8, vcc, v7, v5, v7
	v_mul_f32_e32 v9, v8, v4
	v_fma_f32 v10, -v1, v9, v8
	v_fmac_f32_e32 v9, v10, v4
	v_fma_f32 v1, -v1, v9, v8
	v_div_fmas_f32 v1, v1, v4, v9
	v_div_fixup_f32 v7, v1, v5, v7
	v_div_scale_f32 v1, s[4:5], v5, v5, v6
	v_rcp_f32_e32 v4, v1
	v_fma_f32 v8, -v1, v4, 1.0
	v_fmac_f32_e32 v4, v8, v4
	v_div_scale_f32 v8, vcc, v6, v5, v6
	v_mul_f32_e32 v9, v8, v4
	v_fma_f32 v10, -v1, v9, v8
	v_fmac_f32_e32 v9, v10, v4
	v_fma_f32 v1, -v1, v9, v8
	v_div_fmas_f32 v1, v1, v4, v9
	v_div_fixup_f32 v6, v1, v5, v6
	v_mov_b32_e32 v1, 0
	global_store_dwordx2 v[2:3], v[6:7], off
.LBB19_188:                             ;   in Loop: Header=BB19_14 Depth=1
	s_or_b64 exec, exec, s[78:79]
	s_movk_i32 s4, 0x47
	v_cmp_gt_i32_e32 vcc, s4, v1
	s_mov_b64 s[80:81], -1
	s_and_saveexec_b64 s[78:79], vcc
; %bb.189:                              ;   in Loop: Header=BB19_14 Depth=1
	v_cmp_eq_u32_e32 vcc, 0, v1
	s_orn2_b64 s[80:81], vcc, exec
; %bb.190:                              ;   in Loop: Header=BB19_14 Depth=1
	s_or_b64 exec, exec, s[78:79]
	s_and_saveexec_b64 s[78:79], s[80:81]
	s_cbranch_execz .LBB19_223
; %bb.191:                              ;   in Loop: Header=BB19_14 Depth=1
	v_add_u32_e32 v2, s84, v151
	v_cmp_gt_i32_e32 vcc, s20, v2
	s_and_b64 s[4:5], vcc, s[10:11]
	v_mov_b32_e32 v1, 0x47
	s_and_saveexec_b64 s[80:81], s[4:5]
	s_cbranch_execz .LBB19_193
; %bb.192:                              ;   in Loop: Header=BB19_14 Depth=1
	v_add_u32_e32 v1, 0, v152
	ds_read2_b32 v[4:5], v1 offset0:56 offset1:57
	ds_read2st64_b32 v[6:7], v153 offset1:15
	ds_read_b32 v8, v1 offset:4064
	v_mad_u64_u32 v[2:3], s[4:5], v2, s21, v[56:57]
	v_mad_u64_u32 v[2:3], s[4:5], v2, 56, v[44:45]
	s_waitcnt lgkmcnt(1)
	v_cvt_f32_f16_sdwa v11, v6 dst_sel:DWORD dst_unused:UNUSED_PAD src0_sel:WORD_1
	v_cvt_f32_f16_e32 v10, v6
	v_cvt_f32_f16_sdwa v13, v7 dst_sel:DWORD dst_unused:UNUSED_PAD src0_sel:WORD_1
	v_cvt_f32_f16_e32 v12, v7
	v_ashrrev_i32_e32 v3, 31, v2
	v_lshlrev_b64 v[2:3], 3, v[2:3]
	v_pk_fma_f32 v[10:11], v[4:5], v[10:11], 0 op_sel_hi:[0,1,0]
	v_add_co_u32_e32 v2, vcc, s68, v2
	v_mov_b32_e32 v1, s69
	s_waitcnt lgkmcnt(0)
	v_pk_fma_f32 v[6:7], v[8:9], v[12:13], v[10:11] op_sel_hi:[0,1,1]
	v_addc_co_u32_e32 v3, vcc, v1, v3, vcc
	v_div_scale_f32 v1, s[4:5], v5, v5, v7
	v_rcp_f32_e32 v4, v1
	v_fma_f32 v8, -v1, v4, 1.0
	v_fmac_f32_e32 v4, v8, v4
	v_div_scale_f32 v8, vcc, v7, v5, v7
	v_mul_f32_e32 v9, v8, v4
	v_fma_f32 v10, -v1, v9, v8
	v_fmac_f32_e32 v9, v10, v4
	v_fma_f32 v1, -v1, v9, v8
	v_div_fmas_f32 v1, v1, v4, v9
	v_div_fixup_f32 v7, v1, v5, v7
	v_div_scale_f32 v1, s[4:5], v5, v5, v6
	v_rcp_f32_e32 v4, v1
	v_fma_f32 v8, -v1, v4, 1.0
	v_fmac_f32_e32 v4, v8, v4
	v_div_scale_f32 v8, vcc, v6, v5, v6
	v_mul_f32_e32 v9, v8, v4
	v_fma_f32 v10, -v1, v9, v8
	v_fmac_f32_e32 v9, v10, v4
	v_fma_f32 v1, -v1, v9, v8
	v_div_fmas_f32 v1, v1, v4, v9
	v_div_fixup_f32 v6, v1, v5, v6
	v_mov_b32_e32 v1, 0
	global_store_dwordx2 v[2:3], v[6:7], off
.LBB19_193:                             ;   in Loop: Header=BB19_14 Depth=1
	s_or_b64 exec, exec, s[80:81]
	s_movk_i32 s4, 0x47
	v_cmp_gt_i32_e32 vcc, s4, v1
	s_mov_b64 s[80:81], -1
	s_and_saveexec_b64 s[82:83], vcc
; %bb.194:                              ;   in Loop: Header=BB19_14 Depth=1
	v_cmp_eq_u32_e32 vcc, 0, v1
	s_orn2_b64 s[80:81], vcc, exec
; %bb.195:                              ;   in Loop: Header=BB19_14 Depth=1
	s_or_b64 exec, exec, s[82:83]
	s_and_b64 exec, exec, s[80:81]
	s_cbranch_execz .LBB19_223
; %bb.196:                              ;   in Loop: Header=BB19_14 Depth=1
	v_add_u32_e32 v2, s84, v154
	v_cmp_gt_i32_e32 vcc, s20, v2
	s_and_b64 s[4:5], vcc, s[10:11]
	v_mov_b32_e32 v1, 0x47
	s_and_saveexec_b64 s[80:81], s[4:5]
	s_cbranch_execz .LBB19_198
; %bb.197:                              ;   in Loop: Header=BB19_14 Depth=1
	v_add_u32_e32 v1, 0, v155
	ds_read2_b32 v[4:5], v1 offset0:56 offset1:57
	ds_read2st64_b32 v[6:7], v156 offset1:15
	ds_read_b32 v8, v1 offset:4064
	v_mad_u64_u32 v[2:3], s[4:5], v2, s21, v[56:57]
	v_mad_u64_u32 v[2:3], s[4:5], v2, 56, v[44:45]
	s_waitcnt lgkmcnt(1)
	v_cvt_f32_f16_sdwa v11, v6 dst_sel:DWORD dst_unused:UNUSED_PAD src0_sel:WORD_1
	v_cvt_f32_f16_e32 v10, v6
	v_cvt_f32_f16_sdwa v13, v7 dst_sel:DWORD dst_unused:UNUSED_PAD src0_sel:WORD_1
	v_cvt_f32_f16_e32 v12, v7
	v_ashrrev_i32_e32 v3, 31, v2
	v_lshlrev_b64 v[2:3], 3, v[2:3]
	v_pk_fma_f32 v[10:11], v[4:5], v[10:11], 0 op_sel_hi:[0,1,0]
	v_add_co_u32_e32 v2, vcc, s68, v2
	v_mov_b32_e32 v1, s69
	s_waitcnt lgkmcnt(0)
	v_pk_fma_f32 v[6:7], v[8:9], v[12:13], v[10:11] op_sel_hi:[0,1,1]
	v_addc_co_u32_e32 v3, vcc, v1, v3, vcc
	v_div_scale_f32 v1, s[4:5], v5, v5, v7
	v_rcp_f32_e32 v4, v1
	v_fma_f32 v8, -v1, v4, 1.0
	v_fmac_f32_e32 v4, v8, v4
	v_div_scale_f32 v8, vcc, v7, v5, v7
	v_mul_f32_e32 v9, v8, v4
	v_fma_f32 v10, -v1, v9, v8
	v_fmac_f32_e32 v9, v10, v4
	v_fma_f32 v1, -v1, v9, v8
	v_div_fmas_f32 v1, v1, v4, v9
	v_div_fixup_f32 v7, v1, v5, v7
	v_div_scale_f32 v1, s[4:5], v5, v5, v6
	v_rcp_f32_e32 v4, v1
	v_fma_f32 v8, -v1, v4, 1.0
	v_fmac_f32_e32 v4, v8, v4
	v_div_scale_f32 v8, vcc, v6, v5, v6
	v_mul_f32_e32 v9, v8, v4
	v_fma_f32 v10, -v1, v9, v8
	v_fmac_f32_e32 v9, v10, v4
	v_fma_f32 v1, -v1, v9, v8
	v_div_fmas_f32 v1, v1, v4, v9
	v_div_fixup_f32 v6, v1, v5, v6
	v_mov_b32_e32 v1, 0
	global_store_dwordx2 v[2:3], v[6:7], off
.LBB19_198:                             ;   in Loop: Header=BB19_14 Depth=1
	s_or_b64 exec, exec, s[80:81]
	s_movk_i32 s4, 0x47
	v_cmp_gt_i32_e32 vcc, s4, v1
	s_mov_b64 s[80:81], -1
	s_and_saveexec_b64 s[82:83], vcc
; %bb.199:                              ;   in Loop: Header=BB19_14 Depth=1
	v_cmp_eq_u32_e32 vcc, 0, v1
	s_orn2_b64 s[80:81], vcc, exec
; %bb.200:                              ;   in Loop: Header=BB19_14 Depth=1
	s_or_b64 exec, exec, s[82:83]
	s_and_b64 exec, exec, s[80:81]
	;; [unrolled: 64-line block ×6, first 2 shown]
	s_cbranch_execz .LBB19_223
; %bb.221:                              ;   in Loop: Header=BB19_14 Depth=1
	v_add_u32_e32 v1, s84, v169
	v_cmp_gt_i32_e32 vcc, s20, v1
	s_and_b64 s[4:5], vcc, s[10:11]
	s_and_b64 exec, exec, s[4:5]
	s_cbranch_execz .LBB19_223
; %bb.222:                              ;   in Loop: Header=BB19_14 Depth=1
	v_add_u32_e32 v8, 0, v170
	ds_read2_b32 v[2:3], v8 offset0:56 offset1:57
	ds_read2st64_b32 v[6:7], v171 offset1:15
	ds_read_b32 v8, v8 offset:4064
	v_mad_u64_u32 v[4:5], s[4:5], v1, s21, v[56:57]
	v_mad_u64_u32 v[4:5], s[4:5], v4, 56, v[44:45]
	s_waitcnt lgkmcnt(1)
	v_cvt_f32_f16_sdwa v11, v6 dst_sel:DWORD dst_unused:UNUSED_PAD src0_sel:WORD_1
	v_cvt_f32_f16_e32 v10, v6
	v_cvt_f32_f16_sdwa v13, v7 dst_sel:DWORD dst_unused:UNUSED_PAD src0_sel:WORD_1
	v_cvt_f32_f16_e32 v12, v7
	v_ashrrev_i32_e32 v5, 31, v4
	v_lshlrev_b64 v[4:5], 3, v[4:5]
	v_pk_fma_f32 v[10:11], v[2:3], v[10:11], 0 op_sel_hi:[0,1,0]
	v_add_co_u32_e32 v4, vcc, s68, v4
	v_mov_b32_e32 v1, s69
	s_waitcnt lgkmcnt(0)
	v_pk_fma_f32 v[6:7], v[8:9], v[12:13], v[10:11] op_sel_hi:[0,1,1]
	v_addc_co_u32_e32 v5, vcc, v1, v5, vcc
	v_div_scale_f32 v1, s[4:5], v3, v3, v7
	v_rcp_f32_e32 v2, v1
	v_fma_f32 v8, -v1, v2, 1.0
	v_fmac_f32_e32 v2, v8, v2
	v_div_scale_f32 v8, vcc, v7, v3, v7
	v_mul_f32_e32 v9, v8, v2
	v_fma_f32 v10, -v1, v9, v8
	v_fmac_f32_e32 v9, v10, v2
	v_fma_f32 v1, -v1, v9, v8
	v_div_fmas_f32 v1, v1, v2, v9
	v_div_fixup_f32 v7, v1, v3, v7
	v_div_scale_f32 v1, s[4:5], v3, v3, v6
	v_rcp_f32_e32 v2, v1
	v_fma_f32 v8, -v1, v2, 1.0
	v_fmac_f32_e32 v2, v8, v2
	v_div_scale_f32 v8, vcc, v6, v3, v6
	v_mul_f32_e32 v9, v8, v2
	v_fma_f32 v10, -v1, v9, v8
	v_fmac_f32_e32 v9, v10, v2
	v_fma_f32 v1, -v1, v9, v8
	v_div_fmas_f32 v1, v1, v2, v9
	v_div_fixup_f32 v6, v1, v3, v6
	global_store_dwordx2 v[4:5], v[6:7], off
.LBB19_223:                             ;   in Loop: Header=BB19_14 Depth=1
	s_or_b64 exec, exec, s[78:79]
	v_add_u32_e32 v2, s84, v172
	v_cmp_gt_i32_e32 vcc, s20, v2
	s_and_b64 s[4:5], vcc, s[14:15]
	v_mov_b32_e32 v1, 0x47
	s_and_saveexec_b64 s[10:11], s[4:5]
	s_cbranch_execz .LBB19_225
; %bb.224:                              ;   in Loop: Header=BB19_14 Depth=1
	v_mad_u64_u32 v[2:3], s[4:5], v2, s21, v[48:49]
	v_add_u32_e32 v1, 0, v173
	v_mul_lo_u32 v7, v2, 56
	v_add_u32_e32 v2, 0x80, v174
	ds_read2_b32 v[4:5], v1 offset0:56 offset1:57
	ds_read2st64_b32 v[2:3], v2 offset1:15
	ds_read_b32 v6, v1 offset:4064
	v_ashrrev_i32_e32 v1, 31, v7
	v_add_co_u32_e32 v8, vcc, v7, v14
	s_waitcnt lgkmcnt(1)
	v_cvt_f32_f16_sdwa v11, v2 dst_sel:DWORD dst_unused:UNUSED_PAD src0_sel:WORD_1
	v_cvt_f32_f16_e32 v10, v2
	v_cvt_f32_f16_sdwa v13, v3 dst_sel:DWORD dst_unused:UNUSED_PAD src0_sel:WORD_1
	v_cvt_f32_f16_e32 v12, v3
	v_addc_co_u32_e32 v9, vcc, 0, v1, vcc
	v_lshlrev_b64 v[8:9], 3, v[8:9]
	v_pk_fma_f32 v[10:11], v[4:5], v[10:11], 0 op_sel_hi:[0,1,0]
	v_add_co_u32_e32 v8, vcc, s68, v8
	v_mov_b32_e32 v1, s69
	s_waitcnt lgkmcnt(0)
	v_pk_fma_f32 v[2:3], v[6:7], v[12:13], v[10:11] op_sel_hi:[0,1,1]
	v_addc_co_u32_e32 v9, vcc, v1, v9, vcc
	v_div_scale_f32 v1, s[4:5], v5, v5, v3
	v_rcp_f32_e32 v4, v1
	v_fma_f32 v6, -v1, v4, 1.0
	v_fmac_f32_e32 v4, v6, v4
	v_div_scale_f32 v6, vcc, v3, v5, v3
	v_mul_f32_e32 v7, v6, v4
	v_fma_f32 v10, -v1, v7, v6
	v_fmac_f32_e32 v7, v10, v4
	v_fma_f32 v1, -v1, v7, v6
	v_div_fmas_f32 v1, v1, v4, v7
	v_div_fixup_f32 v3, v1, v5, v3
	v_div_scale_f32 v1, s[4:5], v5, v5, v2
	v_rcp_f32_e32 v4, v1
	v_fma_f32 v6, -v1, v4, 1.0
	v_fmac_f32_e32 v4, v6, v4
	v_div_scale_f32 v6, vcc, v2, v5, v2
	v_mul_f32_e32 v7, v6, v4
	v_fma_f32 v10, -v1, v7, v6
	v_fmac_f32_e32 v7, v10, v4
	v_fma_f32 v1, -v1, v7, v6
	v_div_fmas_f32 v1, v1, v4, v7
	v_div_fixup_f32 v2, v1, v5, v2
	v_mov_b32_e32 v1, 0
	global_store_dwordx2 v[8:9], v[2:3], off offset:256
.LBB19_225:                             ;   in Loop: Header=BB19_14 Depth=1
	s_or_b64 exec, exec, s[10:11]
	s_movk_i32 s4, 0x47
	v_cmp_gt_i32_e32 vcc, s4, v1
	s_mov_b64 s[78:79], -1
	s_and_saveexec_b64 s[10:11], vcc
; %bb.226:                              ;   in Loop: Header=BB19_14 Depth=1
	v_cmp_eq_u32_e32 vcc, 0, v1
	s_orn2_b64 s[78:79], vcc, exec
; %bb.227:                              ;   in Loop: Header=BB19_14 Depth=1
	s_or_b64 exec, exec, s[10:11]
	s_and_saveexec_b64 s[10:11], s[78:79]
	s_cbranch_execz .LBB19_240
; %bb.228:                              ;   in Loop: Header=BB19_14 Depth=1
	v_add_u32_e32 v2, s84, v175
	v_cmp_gt_i32_e32 vcc, s20, v2
	s_and_b64 s[4:5], vcc, s[14:15]
	v_mov_b32_e32 v1, 0x47
	s_and_saveexec_b64 s[78:79], s[4:5]
	s_cbranch_execz .LBB19_230
; %bb.229:                              ;   in Loop: Header=BB19_14 Depth=1
	v_mad_u64_u32 v[2:3], s[4:5], v2, s21, v[48:49]
	v_add_u32_e32 v1, 0, v176
	v_mul_lo_u32 v7, v2, 56
	v_add_u32_e32 v2, 0x80, v177
	ds_read2_b32 v[4:5], v1 offset0:56 offset1:57
	ds_read2st64_b32 v[2:3], v2 offset1:15
	ds_read_b32 v6, v1 offset:4064
	v_ashrrev_i32_e32 v1, 31, v7
	v_add_co_u32_e32 v8, vcc, v7, v14
	s_waitcnt lgkmcnt(1)
	v_cvt_f32_f16_sdwa v11, v2 dst_sel:DWORD dst_unused:UNUSED_PAD src0_sel:WORD_1
	v_cvt_f32_f16_e32 v10, v2
	v_cvt_f32_f16_sdwa v13, v3 dst_sel:DWORD dst_unused:UNUSED_PAD src0_sel:WORD_1
	v_cvt_f32_f16_e32 v12, v3
	v_addc_co_u32_e32 v9, vcc, 0, v1, vcc
	v_lshlrev_b64 v[8:9], 3, v[8:9]
	v_pk_fma_f32 v[10:11], v[4:5], v[10:11], 0 op_sel_hi:[0,1,0]
	v_add_co_u32_e32 v8, vcc, s68, v8
	v_mov_b32_e32 v1, s69
	s_waitcnt lgkmcnt(0)
	v_pk_fma_f32 v[2:3], v[6:7], v[12:13], v[10:11] op_sel_hi:[0,1,1]
	v_addc_co_u32_e32 v9, vcc, v1, v9, vcc
	v_div_scale_f32 v1, s[4:5], v5, v5, v3
	v_rcp_f32_e32 v4, v1
	v_fma_f32 v6, -v1, v4, 1.0
	v_fmac_f32_e32 v4, v6, v4
	v_div_scale_f32 v6, vcc, v3, v5, v3
	v_mul_f32_e32 v7, v6, v4
	v_fma_f32 v10, -v1, v7, v6
	v_fmac_f32_e32 v7, v10, v4
	v_fma_f32 v1, -v1, v7, v6
	v_div_fmas_f32 v1, v1, v4, v7
	v_div_fixup_f32 v3, v1, v5, v3
	v_div_scale_f32 v1, s[4:5], v5, v5, v2
	v_rcp_f32_e32 v4, v1
	v_fma_f32 v6, -v1, v4, 1.0
	v_fmac_f32_e32 v4, v6, v4
	v_div_scale_f32 v6, vcc, v2, v5, v2
	v_mul_f32_e32 v7, v6, v4
	v_fma_f32 v10, -v1, v7, v6
	v_fmac_f32_e32 v7, v10, v4
	v_fma_f32 v1, -v1, v7, v6
	v_div_fmas_f32 v1, v1, v4, v7
	v_div_fixup_f32 v2, v1, v5, v2
	v_mov_b32_e32 v1, 0
	global_store_dwordx2 v[8:9], v[2:3], off offset:256
.LBB19_230:                             ;   in Loop: Header=BB19_14 Depth=1
	s_or_b64 exec, exec, s[78:79]
	s_movk_i32 s4, 0x47
	v_cmp_gt_i32_e32 vcc, s4, v1
	s_mov_b64 s[78:79], -1
	s_and_saveexec_b64 s[80:81], vcc
; %bb.231:                              ;   in Loop: Header=BB19_14 Depth=1
	v_cmp_eq_u32_e32 vcc, 0, v1
	s_orn2_b64 s[78:79], vcc, exec
; %bb.232:                              ;   in Loop: Header=BB19_14 Depth=1
	s_or_b64 exec, exec, s[80:81]
	s_and_b64 exec, exec, s[78:79]
	s_cbranch_execz .LBB19_240
; %bb.233:                              ;   in Loop: Header=BB19_14 Depth=1
	v_add_u32_e32 v2, s84, v178
	v_cmp_gt_i32_e32 vcc, s20, v2
	s_and_b64 s[4:5], vcc, s[14:15]
	v_mov_b32_e32 v1, 0x47
	s_and_saveexec_b64 s[78:79], s[4:5]
	s_cbranch_execz .LBB19_235
; %bb.234:                              ;   in Loop: Header=BB19_14 Depth=1
	v_mad_u64_u32 v[2:3], s[4:5], v2, s21, v[48:49]
	v_add_u32_e32 v1, 0, v179
	v_mul_lo_u32 v7, v2, 56
	v_add_u32_e32 v2, 0x80, v180
	ds_read2_b32 v[4:5], v1 offset0:56 offset1:57
	ds_read2st64_b32 v[2:3], v2 offset1:15
	ds_read_b32 v6, v1 offset:4064
	v_ashrrev_i32_e32 v1, 31, v7
	v_add_co_u32_e32 v8, vcc, v7, v14
	s_waitcnt lgkmcnt(1)
	v_cvt_f32_f16_sdwa v11, v2 dst_sel:DWORD dst_unused:UNUSED_PAD src0_sel:WORD_1
	v_cvt_f32_f16_e32 v10, v2
	v_cvt_f32_f16_sdwa v13, v3 dst_sel:DWORD dst_unused:UNUSED_PAD src0_sel:WORD_1
	v_cvt_f32_f16_e32 v12, v3
	v_addc_co_u32_e32 v9, vcc, 0, v1, vcc
	v_lshlrev_b64 v[8:9], 3, v[8:9]
	v_pk_fma_f32 v[10:11], v[4:5], v[10:11], 0 op_sel_hi:[0,1,0]
	v_add_co_u32_e32 v8, vcc, s68, v8
	v_mov_b32_e32 v1, s69
	s_waitcnt lgkmcnt(0)
	v_pk_fma_f32 v[2:3], v[6:7], v[12:13], v[10:11] op_sel_hi:[0,1,1]
	v_addc_co_u32_e32 v9, vcc, v1, v9, vcc
	v_div_scale_f32 v1, s[4:5], v5, v5, v3
	v_rcp_f32_e32 v4, v1
	v_fma_f32 v6, -v1, v4, 1.0
	v_fmac_f32_e32 v4, v6, v4
	v_div_scale_f32 v6, vcc, v3, v5, v3
	v_mul_f32_e32 v7, v6, v4
	v_fma_f32 v10, -v1, v7, v6
	v_fmac_f32_e32 v7, v10, v4
	v_fma_f32 v1, -v1, v7, v6
	v_div_fmas_f32 v1, v1, v4, v7
	v_div_fixup_f32 v3, v1, v5, v3
	v_div_scale_f32 v1, s[4:5], v5, v5, v2
	v_rcp_f32_e32 v4, v1
	v_fma_f32 v6, -v1, v4, 1.0
	v_fmac_f32_e32 v4, v6, v4
	v_div_scale_f32 v6, vcc, v2, v5, v2
	v_mul_f32_e32 v7, v6, v4
	v_fma_f32 v10, -v1, v7, v6
	v_fmac_f32_e32 v7, v10, v4
	v_fma_f32 v1, -v1, v7, v6
	v_div_fmas_f32 v1, v1, v4, v7
	v_div_fixup_f32 v2, v1, v5, v2
	v_mov_b32_e32 v1, 0
	global_store_dwordx2 v[8:9], v[2:3], off offset:256
.LBB19_235:                             ;   in Loop: Header=BB19_14 Depth=1
	s_or_b64 exec, exec, s[78:79]
	s_movk_i32 s4, 0x47
	v_cmp_gt_i32_e32 vcc, s4, v1
	s_mov_b64 s[78:79], -1
	s_and_saveexec_b64 s[80:81], vcc
; %bb.236:                              ;   in Loop: Header=BB19_14 Depth=1
	v_cmp_eq_u32_e32 vcc, 0, v1
	s_orn2_b64 s[78:79], vcc, exec
; %bb.237:                              ;   in Loop: Header=BB19_14 Depth=1
	s_or_b64 exec, exec, s[80:81]
	s_and_b64 exec, exec, s[78:79]
	s_cbranch_execz .LBB19_240
; %bb.238:                              ;   in Loop: Header=BB19_14 Depth=1
	v_add_u32_e32 v1, s84, v181
	v_cmp_gt_i32_e32 vcc, s20, v1
	s_and_b64 s[4:5], vcc, s[14:15]
	s_and_b64 exec, exec, s[4:5]
	s_cbranch_execz .LBB19_240
; %bb.239:                              ;   in Loop: Header=BB19_14 Depth=1
	v_mad_u64_u32 v[2:3], s[4:5], v1, s21, v[48:49]
	v_add_u32_e32 v6, 0, v182
	v_mul_lo_u32 v1, v2, 56
	v_add_u32_e32 v2, 0x80, v183
	ds_read2st64_b32 v[2:3], v2 offset1:15
	ds_read2_b32 v[4:5], v6 offset0:56 offset1:57
	ds_read_b32 v6, v6 offset:4064
	v_ashrrev_i32_e32 v7, 31, v1
	v_add_co_u32_e32 v8, vcc, v1, v14
	s_waitcnt lgkmcnt(2)
	v_cvt_f32_f16_sdwa v11, v2 dst_sel:DWORD dst_unused:UNUSED_PAD src0_sel:WORD_1
	v_cvt_f32_f16_e32 v10, v2
	v_cvt_f32_f16_sdwa v13, v3 dst_sel:DWORD dst_unused:UNUSED_PAD src0_sel:WORD_1
	v_cvt_f32_f16_e32 v12, v3
	v_addc_co_u32_e32 v9, vcc, 0, v7, vcc
	v_lshlrev_b64 v[2:3], 3, v[8:9]
	s_waitcnt lgkmcnt(1)
	v_pk_fma_f32 v[8:9], v[4:5], v[10:11], 0 op_sel_hi:[0,1,0]
	s_waitcnt lgkmcnt(0)
	v_pk_fma_f32 v[6:7], v[6:7], v[12:13], v[8:9] op_sel_hi:[0,1,1]
	v_div_scale_f32 v4, s[4:5], v5, v5, v7
	v_rcp_f32_e32 v8, v4
	v_mov_b32_e32 v1, s69
	v_add_co_u32_e32 v2, vcc, s68, v2
	v_addc_co_u32_e32 v3, vcc, v1, v3, vcc
	v_fma_f32 v1, -v4, v8, 1.0
	v_fmac_f32_e32 v8, v1, v8
	v_div_scale_f32 v1, vcc, v7, v5, v7
	v_mul_f32_e32 v9, v1, v8
	v_fma_f32 v10, -v4, v9, v1
	v_fmac_f32_e32 v9, v10, v8
	v_fma_f32 v1, -v4, v9, v1
	v_div_scale_f32 v4, s[4:5], v5, v5, v6
	v_rcp_f32_e32 v10, v4
	v_div_fmas_f32 v1, v1, v8, v9
	v_div_fixup_f32 v7, v1, v5, v7
	v_fma_f32 v1, -v4, v10, 1.0
	v_fmac_f32_e32 v10, v1, v10
	v_div_scale_f32 v1, vcc, v6, v5, v6
	v_mul_f32_e32 v8, v1, v10
	v_fma_f32 v9, -v4, v8, v1
	v_fmac_f32_e32 v8, v9, v10
	v_fma_f32 v1, -v4, v8, v1
	v_div_fmas_f32 v1, v1, v10, v8
	v_div_fixup_f32 v6, v1, v5, v6
	global_store_dwordx2 v[2:3], v[6:7], off offset:256
.LBB19_240:                             ;   in Loop: Header=BB19_14 Depth=1
	s_or_b64 exec, exec, s[10:11]
	v_add_u32_e32 v2, s84, v184
	v_cmp_gt_i32_e32 vcc, s20, v2
	s_and_b64 s[4:5], vcc, s[12:13]
	v_mov_b32_e32 v1, 0x47
	s_and_saveexec_b64 s[10:11], s[4:5]
	s_cbranch_execz .LBB19_242
; %bb.241:                              ;   in Loop: Header=BB19_14 Depth=1
	v_mad_u64_u32 v[2:3], s[4:5], v2, s21, v[52:53]
	v_mul_lo_u32 v7, v2, 56
	v_add_u32_e32 v2, 0xc0, v186
	v_add_u32_e32 v1, 0, v185
	ds_read2st64_b32 v[2:3], v2 offset1:15
	ds_read2_b32 v[4:5], v1 offset0:56 offset1:57
	ds_read_b32 v6, v1 offset:4064
	v_ashrrev_i32_e32 v1, 31, v7
	v_or_b32_e32 v9, 0, v1
	s_waitcnt lgkmcnt(2)
	v_cvt_f32_f16_sdwa v11, v2 dst_sel:DWORD dst_unused:UNUSED_PAD src0_sel:WORD_1
	v_cvt_f32_f16_e32 v10, v2
	v_cvt_f32_f16_sdwa v13, v3 dst_sel:DWORD dst_unused:UNUSED_PAD src0_sel:WORD_1
	v_cvt_f32_f16_e32 v12, v3
	v_or_b32_e32 v8, v7, v32
	v_lshlrev_b64 v[2:3], 3, v[8:9]
	s_waitcnt lgkmcnt(1)
	v_pk_fma_f32 v[8:9], v[4:5], v[10:11], 0 op_sel_hi:[0,1,0]
	s_waitcnt lgkmcnt(0)
	v_pk_fma_f32 v[6:7], v[6:7], v[12:13], v[8:9] op_sel_hi:[0,1,1]
	v_div_scale_f32 v4, s[4:5], v5, v5, v7
	v_rcp_f32_e32 v8, v4
	v_mov_b32_e32 v1, s69
	v_add_co_u32_e32 v2, vcc, s68, v2
	v_addc_co_u32_e32 v3, vcc, v1, v3, vcc
	v_fma_f32 v1, -v4, v8, 1.0
	v_fmac_f32_e32 v8, v1, v8
	v_div_scale_f32 v1, vcc, v7, v5, v7
	v_mul_f32_e32 v9, v1, v8
	v_fma_f32 v10, -v4, v9, v1
	v_fmac_f32_e32 v9, v10, v8
	v_fma_f32 v1, -v4, v9, v1
	v_div_scale_f32 v4, s[4:5], v5, v5, v6
	v_rcp_f32_e32 v10, v4
	v_div_fmas_f32 v1, v1, v8, v9
	v_div_fixup_f32 v7, v1, v5, v7
	v_fma_f32 v1, -v4, v10, 1.0
	v_fmac_f32_e32 v10, v1, v10
	v_div_scale_f32 v1, vcc, v6, v5, v6
	v_mul_f32_e32 v8, v1, v10
	v_fma_f32 v9, -v4, v8, v1
	v_fmac_f32_e32 v8, v9, v10
	v_fma_f32 v1, -v4, v8, v1
	v_div_fmas_f32 v1, v1, v10, v8
	v_div_fixup_f32 v6, v1, v5, v6
	v_mov_b32_e32 v1, 0
	global_store_dwordx2 v[2:3], v[6:7], off offset:384
.LBB19_242:                             ;   in Loop: Header=BB19_14 Depth=1
	s_or_b64 exec, exec, s[10:11]
	s_movk_i32 s4, 0x47
	v_cmp_gt_i32_e32 vcc, s4, v1
	s_mov_b64 s[10:11], -1
	s_and_saveexec_b64 s[14:15], vcc
; %bb.243:                              ;   in Loop: Header=BB19_14 Depth=1
	v_cmp_eq_u32_e32 vcc, 0, v1
	s_orn2_b64 s[10:11], vcc, exec
; %bb.244:                              ;   in Loop: Header=BB19_14 Depth=1
	s_or_b64 exec, exec, s[14:15]
	s_and_b64 exec, exec, s[10:11]
	s_cbranch_execz .LBB19_12
; %bb.245:                              ;   in Loop: Header=BB19_14 Depth=1
	v_add_u32_e32 v1, s84, v187
	v_cmp_gt_i32_e32 vcc, s20, v1
	s_and_b64 s[4:5], vcc, s[12:13]
	s_and_b64 exec, exec, s[4:5]
	s_cbranch_execz .LBB19_12
; %bb.246:                              ;   in Loop: Header=BB19_14 Depth=1
	v_mad_u64_u32 v[2:3], s[4:5], v1, s21, v[52:53]
	v_add_u32_e32 v6, 0, v188
	v_mul_lo_u32 v1, v2, 56
	v_add_u32_e32 v2, 0xc0, v189
	ds_read2st64_b32 v[2:3], v2 offset1:15
	ds_read2_b32 v[4:5], v6 offset0:56 offset1:57
	ds_read_b32 v6, v6 offset:4064
	v_ashrrev_i32_e32 v7, 31, v1
	v_or_b32_e32 v9, 0, v7
	s_waitcnt lgkmcnt(2)
	v_cvt_f32_f16_sdwa v11, v2 dst_sel:DWORD dst_unused:UNUSED_PAD src0_sel:WORD_1
	v_cvt_f32_f16_e32 v10, v2
	v_cvt_f32_f16_sdwa v13, v3 dst_sel:DWORD dst_unused:UNUSED_PAD src0_sel:WORD_1
	v_cvt_f32_f16_e32 v12, v3
	v_or_b32_e32 v8, v1, v32
	v_lshlrev_b64 v[2:3], 3, v[8:9]
	s_waitcnt lgkmcnt(1)
	v_pk_fma_f32 v[8:9], v[4:5], v[10:11], 0 op_sel_hi:[0,1,0]
	s_waitcnt lgkmcnt(0)
	v_pk_fma_f32 v[6:7], v[6:7], v[12:13], v[8:9] op_sel_hi:[0,1,1]
	v_div_scale_f32 v4, s[4:5], v5, v5, v7
	v_rcp_f32_e32 v8, v4
	v_mov_b32_e32 v1, s69
	v_add_co_u32_e32 v2, vcc, s68, v2
	v_addc_co_u32_e32 v3, vcc, v1, v3, vcc
	v_fma_f32 v1, -v4, v8, 1.0
	v_fmac_f32_e32 v8, v1, v8
	v_div_scale_f32 v1, vcc, v7, v5, v7
	v_mul_f32_e32 v9, v1, v8
	v_fma_f32 v10, -v4, v9, v1
	v_fmac_f32_e32 v9, v10, v8
	v_fma_f32 v1, -v4, v9, v1
	v_div_scale_f32 v4, s[4:5], v5, v5, v6
	v_rcp_f32_e32 v10, v4
	v_div_fmas_f32 v1, v1, v8, v9
	v_div_fixup_f32 v7, v1, v5, v7
	v_fma_f32 v1, -v4, v10, 1.0
	v_fmac_f32_e32 v10, v1, v10
	v_div_scale_f32 v1, vcc, v6, v5, v6
	v_mul_f32_e32 v8, v1, v10
	v_fma_f32 v9, -v4, v8, v1
	v_fmac_f32_e32 v8, v9, v10
	v_fma_f32 v1, -v4, v8, v1
	v_div_fmas_f32 v1, v1, v10, v8
	v_div_fixup_f32 v6, v1, v5, v6
	global_store_dwordx2 v[2:3], v[6:7], off offset:384
	s_branch .LBB19_12
.LBB19_247:
	v_readlane_b32 s19, v234, 16
	v_readlane_b32 s29, v234, 11
	v_readlane_b32 s16, v234, 33
	v_readlane_b32 s12, v234, 17
	v_readlane_b32 s13, v234, 18
	s_andn2_b64 vcc, exec, s[10:11]
	s_cbranch_vccnz .LBB19_10
.LBB19_248:
	v_readlane_b32 s6, v234, 3
	s_abs_i32 s0, s6
	v_cvt_f32_u32_e32 v1, s0
	s_sub_i32 s3, 0, s0
	s_abs_i32 s2, s60
	s_xor_b32 s1, s60, s6
	v_rcp_iflag_f32_e32 v1, v1
	s_ashr_i32 s1, s1, 31
	v_readlane_b32 s8, v234, 2
	v_readlane_b32 s9, v234, 1
	v_mul_f32_e32 v1, 0x4f7ffffe, v1
	v_cvt_u32_f32_e32 v1, v1
	v_mov_b32_e32 v14, s57
	v_readfirstlane_b32 s4, v1
	s_mul_i32 s3, s3, s4
	s_mul_hi_u32 s3, s4, s3
	s_add_i32 s4, s4, s3
	s_mul_hi_u32 s3, s2, s4
	s_mul_i32 s4, s3, s0
	s_sub_i32 s2, s2, s4
	s_add_i32 s5, s3, 1
	s_sub_i32 s4, s2, s0
	s_cmp_ge_u32 s2, s0
	s_cselect_b32 s3, s5, s3
	s_cselect_b32 s2, s4, s2
	s_add_i32 s4, s3, 1
	s_cmp_ge_u32 s2, s0
	s_cselect_b32 s0, s4, s3
	s_abs_i32 s2, s8
	v_cvt_f32_u32_e32 v1, s2
	s_xor_b32 s0, s0, s1
	s_sub_i32 s5, s0, s1
	s_sub_i32 s3, 0, s2
	v_rcp_iflag_f32_e32 v1, v1
	s_mul_i32 s0, s5, s6
	s_sub_i32 s0, s60, s0
	s_abs_i32 s4, s0
	v_mul_f32_e32 v1, 0x4f7ffffe, v1
	v_cvt_u32_f32_e32 v1, v1
	s_xor_b32 s1, s0, s8
	s_ashr_i32 s1, s1, 31
	v_readfirstlane_b32 s6, v1
	s_mul_i32 s3, s3, s6
	s_mul_hi_u32 s3, s6, s3
	s_add_i32 s6, s6, s3
	s_mul_hi_u32 s3, s4, s6
	s_mul_i32 s6, s3, s2
	s_sub_i32 s4, s4, s6
	s_add_i32 s7, s3, 1
	s_sub_i32 s6, s4, s2
	s_cmp_ge_u32 s4, s2
	s_cselect_b32 s3, s7, s3
	s_cselect_b32 s4, s6, s4
	s_add_i32 s6, s3, 1
	s_cmp_ge_u32 s4, s2
	s_cselect_b32 s2, s6, s3
	s_abs_i32 s3, s9
	v_cvt_f32_u32_e32 v1, s3
	s_xor_b32 s2, s2, s1
	s_sub_i32 s4, 0, s3
	s_sub_i32 s6, s2, s1
	v_rcp_iflag_f32_e32 v1, v1
	s_mul_i32 s1, s6, s8
	s_sub_i32 s1, s0, s1
	s_abs_i32 s2, s1
	v_mul_f32_e32 v1, 0x4f7ffffe, v1
	v_cvt_u32_f32_e32 v1, v1
	s_xor_b32 s0, s1, s9
	s_ashr_i32 s0, s0, 31
	v_readfirstlane_b32 s7, v1
	s_mul_i32 s4, s4, s7
	s_mul_hi_u32 s4, s7, s4
	s_add_i32 s7, s7, s4
	s_mul_hi_u32 s4, s2, s7
	s_mul_i32 s7, s4, s3
	s_sub_i32 s2, s2, s7
	s_add_i32 s8, s4, 1
	s_sub_i32 s7, s2, s3
	s_cmp_ge_u32 s2, s3
	s_cselect_b32 s4, s8, s4
	s_cselect_b32 s2, s7, s2
	s_add_i32 s7, s4, 1
	s_cmp_ge_u32 s2, s3
	s_cselect_b32 s2, s7, s4
	s_xor_b32 s2, s2, s0
	s_sub_i32 s0, s2, s0
	s_mul_i32 s2, s0, s9
	s_sub_i32 s1, s1, s2
	s_ashr_i32 s2, s1, 31
	v_readlane_b32 s3, v234, 10
	s_abs_i32 s1, s1
	s_xor_b32 s2, s2, s3
	s_mul_hi_u32 s3, s1, s56
	s_mul_i32 s4, s3, s93
	s_sub_i32 s1, s1, s4
	s_add_i32 s4, s3, 1
	s_sub_i32 s7, s1, s93
	s_cmp_ge_u32 s1, s93
	s_cselect_b32 s3, s4, s3
	s_cselect_b32 s1, s7, s1
	s_add_i32 s4, s3, 1
	s_cmp_ge_u32 s1, s93
	s_cselect_b32 s1, s4, s3
	s_abs_i32 s7, s12
	v_cvt_f32_u32_e32 v1, s7
	s_xor_b32 s1, s1, s2
	s_sub_i32 s1, s1, s2
	s_cmp_eq_u64 s[46:47], 0
	v_rcp_iflag_f32_e32 v1, v1
	v_mul_f32_e32 v1, 0x4f7ffffe, v1
	v_cvt_u32_f32_e32 v1, v1
	v_readfirstlane_b32 s11, v1
	s_cbranch_scc1 .LBB19_250
; %bb.249:
	v_readlane_b32 s2, v234, 0
	s_mul_i32 s2, s5, s2
	s_add_i32 s2, s1, s2
	s_ashr_i32 s3, s2, 31
	s_lshl_b64 s[2:3], s[2:3], 2
	s_add_u32 s2, s46, s2
	s_addc_u32 s3, s47, s3
	v_mov_b32_e32 v1, 0
	global_load_dword v1, v1, s[2:3]
	s_waitcnt vmcnt(0)
	v_ashrrev_i32_e32 v2, 31, v1
	v_lshrrev_b32_e32 v2, 26, v2
	v_add_u32_e32 v1, v1, v2
	v_ashrrev_i32_e32 v1, 6, v1
	v_min_i32_e32 v14, s57, v1
.LBB19_250:
	v_readlane_b32 s8, v234, 4
	s_mul_i32 s2, s6, s33
	s_lshl_b32 s10, s0, 1
	v_readlane_b32 s9, v234, 5
	s_add_i32 s0, s10, s2
	s_mul_i32 s2, s5, s9
	s_ashr_i32 s3, s2, 31
	s_add_u32 s2, s36, s2
	s_mul_i32 s0, s0, s8
	v_and_b32_e32 v52, 0x3ff, v0
	s_addc_u32 s3, s37, s3
	s_ashr_i32 s4, s0, 31
	v_lshrrev_b32_e32 v60, 5, v52
	s_add_u32 s8, s2, s0
	v_bfe_u32 v0, v52, 5, 1
	v_add_u16_e32 v1, v60, v55
	s_addc_u32 s9, s3, s4
	s_lshl_b32 s4, s1, 4
	v_lshrrev_b16_e32 v1, 1, v1
	v_or_b32_e32 v2, s10, v0
	v_add_u32_e32 v1, s4, v1
	v_cmp_gt_i32_e64 s[0:1], s33, v2
	v_cmp_le_i32_e32 vcc, s20, v1
	s_xor_b64 s[0:1], s[0:1], -1
	v_and_b32_e32 v58, 31, v52
	v_add_u32_e32 v12, v60, v55
	s_or_b64 s[2:3], vcc, s[0:1]
	s_and_saveexec_b64 s[12:13], s[2:3]
	s_xor_b64 s[2:3], exec, s[12:13]
	s_cbranch_execz .LBB19_252
; %bb.251:
	v_mad_u32_u24 v1, v12, 60, v58
	v_lshl_add_u32 v1, v1, 2, 0
	v_mov_b32_e32 v2, 0
	ds_write_b32 v1, v2
                                        ; implicit-def: $vgpr1
.LBB19_252:
	s_andn2_saveexec_b64 s[2:3], s[2:3]
	s_cbranch_execz .LBB19_254
; %bb.253:
	v_mul_lo_u32 v1, v1, s61
	v_mul_lo_u32 v2, v0, s16
	v_add3_u32 v2, v2, v58, v1
	v_ashrrev_i32_e32 v3, 31, v2
	v_lshlrev_b64 v[2:3], 3, v[2:3]
	v_mov_b32_e32 v1, s9
	v_add_co_u32_e32 v2, vcc, s8, v2
	v_addc_co_u32_e32 v3, vcc, v1, v3, vcc
	global_load_dwordx2 v[2:3], v[2:3], off
	s_waitcnt vmcnt(0)
	v_cvt_f16_f32_e32 v1, v2
	v_cvt_f16_f32_e32 v2, v3
	v_mad_u32_u24 v3, v12, 60, v58
	v_pack_b32_f16 v1, v1, v2
	v_pk_mul_f16 v1, v47, v1
	v_lshl_add_u32 v2, v3, 2, 0
	ds_write_b32 v2, v1
.LBB19_254:
	s_or_b64 exec, exec, s[2:3]
	v_add_u32_e32 v13, 8, v12
	v_lshrrev_b32_e32 v1, 1, v13
	v_add_u32_e32 v1, s4, v1
	v_cmp_le_i32_e32 vcc, s20, v1
	s_or_b64 s[2:3], vcc, s[0:1]
	s_and_saveexec_b64 s[12:13], s[2:3]
	s_xor_b64 s[2:3], exec, s[12:13]
	s_cbranch_execz .LBB19_256
; %bb.255:
	v_mad_u32_u24 v1, v13, 60, v58
	v_lshl_add_u32 v1, v1, 2, 0
	v_mov_b32_e32 v2, 0
	ds_write_b32 v1, v2
                                        ; implicit-def: $vgpr1
.LBB19_256:
	s_andn2_saveexec_b64 s[2:3], s[2:3]
	s_cbranch_execz .LBB19_258
; %bb.257:
	v_mul_lo_u32 v1, v1, s61
	v_mul_lo_u32 v2, v0, s16
	v_add3_u32 v2, v2, v58, v1
	v_ashrrev_i32_e32 v3, 31, v2
	v_lshlrev_b64 v[2:3], 3, v[2:3]
	v_mov_b32_e32 v1, s9
	v_add_co_u32_e32 v2, vcc, s8, v2
	v_addc_co_u32_e32 v3, vcc, v1, v3, vcc
	global_load_dwordx2 v[2:3], v[2:3], off
	s_waitcnt vmcnt(0)
	v_cvt_f16_f32_e32 v1, v2
	v_cvt_f16_f32_e32 v2, v3
	v_mad_u32_u24 v3, v13, 60, v58
	v_pack_b32_f16 v1, v1, v2
	v_pk_mul_f16 v1, v47, v1
	v_lshl_add_u32 v2, v3, 2, 0
	ds_write_b32 v2, v1
.LBB19_258:
	s_or_b64 exec, exec, s[2:3]
	v_add_u32_e32 v1, 16, v12
	v_lshrrev_b32_e32 v2, 1, v1
	v_add_u32_e32 v2, s4, v2
	v_cmp_le_i32_e32 vcc, s20, v2
	s_or_b64 s[2:3], vcc, s[0:1]
	s_and_saveexec_b64 s[12:13], s[2:3]
	s_xor_b64 s[2:3], exec, s[12:13]
	s_cbranch_execz .LBB19_260
; %bb.259:
	v_mad_u32_u24 v1, v1, 60, v58
	v_lshl_add_u32 v1, v1, 2, 0
	v_mov_b32_e32 v2, 0
	ds_write_b32 v1, v2
                                        ; implicit-def: $vgpr2
                                        ; implicit-def: $vgpr1
.LBB19_260:
	s_andn2_saveexec_b64 s[2:3], s[2:3]
	s_cbranch_execz .LBB19_262
; %bb.261:
	v_mul_lo_u32 v2, v2, s61
	v_mul_lo_u32 v3, v0, s16
	v_add3_u32 v2, v3, v58, v2
	v_ashrrev_i32_e32 v3, 31, v2
	v_lshlrev_b64 v[2:3], 3, v[2:3]
	v_mov_b32_e32 v4, s9
	v_add_co_u32_e32 v2, vcc, s8, v2
	v_addc_co_u32_e32 v3, vcc, v4, v3, vcc
	global_load_dwordx2 v[2:3], v[2:3], off
	v_mad_u32_u24 v1, v1, 60, v58
	v_lshl_add_u32 v1, v1, 2, 0
	s_waitcnt vmcnt(0)
	v_cvt_f16_f32_e32 v2, v2
	v_cvt_f16_f32_e32 v3, v3
	v_pack_b32_f16 v2, v2, v3
	v_pk_mul_f16 v2, v47, v2
	ds_write_b32 v1, v2
.LBB19_262:
	s_or_b64 exec, exec, s[2:3]
	v_add_u32_e32 v1, 24, v12
	v_lshrrev_b32_e32 v2, 1, v1
	v_add_u32_e32 v2, s4, v2
	v_cmp_le_i32_e32 vcc, s20, v2
	s_or_b64 s[0:1], vcc, s[0:1]
	s_and_saveexec_b64 s[2:3], s[0:1]
	s_xor_b64 s[0:1], exec, s[2:3]
	s_cbranch_execz .LBB19_264
; %bb.263:
	v_mad_u32_u24 v0, v1, 60, v58
	v_lshl_add_u32 v0, v0, 2, 0
	v_mov_b32_e32 v1, 0
	ds_write_b32 v0, v1
                                        ; implicit-def: $vgpr2
                                        ; implicit-def: $vgpr0
                                        ; implicit-def: $vgpr1
.LBB19_264:
	s_andn2_saveexec_b64 s[0:1], s[0:1]
	s_cbranch_execz .LBB19_266
; %bb.265:
	v_mul_lo_u32 v2, v2, s61
	v_mul_lo_u32 v0, v0, s16
	v_add3_u32 v2, v0, v58, v2
	v_ashrrev_i32_e32 v3, 31, v2
	v_lshlrev_b64 v[2:3], 3, v[2:3]
	v_mov_b32_e32 v0, s9
	v_add_co_u32_e32 v2, vcc, s8, v2
	v_addc_co_u32_e32 v3, vcc, v0, v3, vcc
	global_load_dwordx2 v[2:3], v[2:3], off
	v_mad_u32_u24 v1, v1, 60, v58
	v_lshl_add_u32 v1, v1, 2, 0
	s_waitcnt vmcnt(0)
	v_cvt_f16_f32_e32 v0, v2
	v_cvt_f16_f32_e32 v2, v3
	v_pack_b32_f16 v0, v0, v2
	v_pk_mul_f16 v0, v47, v0
	ds_write_b32 v1, v0
.LBB19_266:
	s_or_b64 exec, exec, s[0:1]
	v_bfe_u32 v0, v52, 4, 1
	v_lshrrev_b32_e32 v59, 4, v52
	v_or_b32_e32 v2, s10, v0
	v_cmp_gt_i32_e32 vcc, s33, v2
	v_add_u16_e32 v2, v59, v53
	v_lshrrev_b16_e32 v2, 1, v2
	v_add_u32_e32 v2, s4, v2
	s_xor_b64 s[0:1], vcc, -1
	v_cmp_le_i32_e32 vcc, s20, v2
	s_sub_i32 s12, 0, s7
	v_and_b32_e32 v54, 15, v52
	v_add_u32_e32 v1, v59, v53
	s_mov_b32 s18, s16
	v_mul_lo_u32 v0, s16, v0
	s_or_b64 s[2:3], vcc, s[0:1]
	s_and_saveexec_b64 s[14:15], s[2:3]
	s_xor_b64 s[2:3], exec, s[14:15]
	s_cbranch_execz .LBB19_268
; %bb.267:
	v_mad_u32_u24 v2, v1, 60, v54
	v_lshl_add_u32 v2, v2, 2, 0
	v_mov_b32_e32 v3, 0
	ds_write_b32 v2, v3 offset:128
                                        ; implicit-def: $vgpr2
.LBB19_268:
	s_or_saveexec_b64 s[2:3], s[2:3]
	s_mul_i32 s12, s12, s11
	v_add3_u32 v0, v0, v54, 32
	s_xor_b64 exec, exec, s[2:3]
	s_cbranch_execz .LBB19_270
; %bb.269:
	v_mad_u64_u32 v[2:3], s[14:15], v2, s61, v[0:1]
	v_ashrrev_i32_e32 v3, 31, v2
	v_lshlrev_b64 v[2:3], 3, v[2:3]
	v_mov_b32_e32 v4, s9
	v_add_co_u32_e32 v2, vcc, s8, v2
	v_addc_co_u32_e32 v3, vcc, v4, v3, vcc
	global_load_dwordx2 v[2:3], v[2:3], off
	v_mad_u32_u24 v4, v1, 60, v54
	s_waitcnt vmcnt(0)
	v_cvt_f16_f32_e32 v2, v2
	v_cvt_f16_f32_e32 v3, v3
	v_pack_b32_f16 v2, v2, v3
	v_pk_mul_f16 v2, v47, v2
	v_lshl_add_u32 v3, v4, 2, 0
	ds_write_b32 v3, v2 offset:128
.LBB19_270:
	s_or_b64 exec, exec, s[2:3]
	v_add_u32_e32 v1, 16, v1
	v_lshrrev_b32_e32 v2, 1, v1
	v_add_u32_e32 v2, s4, v2
	v_cmp_le_i32_e32 vcc, s20, v2
	s_mul_hi_u32 s3, s11, s12
	s_or_b64 s[0:1], vcc, s[0:1]
	s_and_saveexec_b64 s[12:13], s[0:1]
	s_xor_b64 s[0:1], exec, s[12:13]
	s_mov_b32 s16, s18
	s_cbranch_execz .LBB19_272
; %bb.271:
	v_mad_u32_u24 v0, v1, 60, v54
	v_lshl_add_u32 v0, v0, 2, 0
	v_mov_b32_e32 v1, 0
	ds_write_b32 v0, v1 offset:128
                                        ; implicit-def: $vgpr0
                                        ; implicit-def: $vgpr2
                                        ; implicit-def: $vgpr1
.LBB19_272:
	s_or_saveexec_b64 s[0:1], s[0:1]
	s_abs_i32 s2, s5
	s_add_i32 s11, s11, s3
	s_xor_b64 exec, exec, s[0:1]
	s_cbranch_execz .LBB19_274
; %bb.273:
	v_mad_u64_u32 v[2:3], s[12:13], v2, s61, v[0:1]
	v_ashrrev_i32_e32 v3, 31, v2
	v_lshlrev_b64 v[2:3], 3, v[2:3]
	v_mov_b32_e32 v0, s9
	v_add_co_u32_e32 v2, vcc, s8, v2
	v_addc_co_u32_e32 v3, vcc, v0, v3, vcc
	global_load_dwordx2 v[2:3], v[2:3], off
	v_mad_u32_u24 v1, v1, 60, v54
	v_lshl_add_u32 v1, v1, 2, 0
	s_waitcnt vmcnt(0)
	v_cvt_f16_f32_e32 v0, v2
	v_cvt_f16_f32_e32 v2, v3
	v_pack_b32_f16 v0, v0, v2
	v_pk_mul_f16 v0, v47, v0
	ds_write_b32 v1, v0 offset:128
.LBB19_274:
	s_or_b64 exec, exec, s[0:1]
	v_lshrrev_b32_e32 v56, 3, v52
	v_add_u32_e32 v75, v81, v56
	v_lshrrev_b32_e32 v1, 1, v75
	v_and_b32_e32 v0, 1, v56
	v_add_u32_e32 v1, s4, v1
	v_or_b32_e32 v2, s10, v0
	v_cmp_le_i32_e32 vcc, s20, v1
	v_cmp_le_i32_e64 s[0:1], s33, v2
	s_mul_hi_u32 s3, s2, s11
	s_or_b64 s[0:1], vcc, s[0:1]
	s_and_saveexec_b64 s[10:11], s[0:1]
	s_xor_b64 s[0:1], exec, s[10:11]
	s_cbranch_execz .LBB19_276
; %bb.275:
	v_and_b32_e32 v0, 7, v52
	v_mad_u32_u24 v0, v75, 60, v0
	v_lshl_add_u32 v0, v0, 2, 0
	v_mov_b32_e32 v1, 0
	ds_write_b32 v0, v1 offset:192
                                        ; implicit-def: $vgpr1
                                        ; implicit-def: $vgpr0
                                        ; implicit-def: $vgpr47
.LBB19_276:
	s_or_saveexec_b64 s[0:1], s[0:1]
	s_ashr_i32 s14, s5, 31
	s_xor_b64 exec, exec, s[0:1]
	s_cbranch_execz .LBB19_278
; %bb.277:
	v_mul_lo_u32 v3, v1, s61
	v_and_b32_e32 v2, 7, v52
	v_mad_u64_u32 v[0:1], s[10:11], s16, v0, v[2:3]
	v_add3_u32 v0, v0, v3, 48
	v_ashrrev_i32_e32 v1, 31, v0
	v_lshlrev_b64 v[0:1], 3, v[0:1]
	v_mov_b32_e32 v3, s9
	v_add_co_u32_e32 v0, vcc, s8, v0
	v_addc_co_u32_e32 v1, vcc, v3, v1, vcc
	global_load_dwordx2 v[0:1], v[0:1], off
	v_mad_u32_u24 v2, v75, 60, v2
	s_waitcnt vmcnt(0)
	v_cvt_f16_f32_e32 v0, v0
	v_cvt_f16_f32_e32 v1, v1
	v_pack_b32_f16 v0, v0, v1
	v_pk_mul_f16 v0, v47, v0
	v_lshl_add_u32 v1, v2, 2, 0
	ds_write_b32 v1, v0 offset:192
.LBB19_278:
	s_or_b64 exec, exec, s[0:1]
	s_mul_i32 s0, s5, s25
	s_mul_hi_u32 s1, s5, s24
	s_add_i32 s0, s1, s0
	s_mul_i32 s1, s14, s24
	v_readlane_b32 s8, v234, 8
	s_add_i32 s0, s0, s1
	s_mul_i32 s1, s5, s24
	v_readlane_b32 s9, v234, 9
	s_add_u32 s1, s38, s1
	s_mul_i32 s8, s6, s9
	s_addc_u32 s0, s39, s0
	s_ashr_i32 s9, s8, 31
	s_add_u32 s10, s1, s8
	s_mul_i32 s3, s3, s7
	s_addc_u32 s11, s0, s9
	s_sub_i32 s0, s2, s3
	s_sub_i32 s1, s0, s7
	s_cmp_ge_u32 s0, s7
	s_cselect_b32 s0, s1, s0
	s_sub_i32 s1, s0, s7
	s_cmp_ge_u32 s0, s7
	s_cselect_b32 s0, s1, s0
	s_xor_b32 s0, s0, s14
	s_sub_i32 s0, s0, s14
	s_ashr_i32 s1, s0, 31
	s_mul_i32 s2, s0, s55
	s_mul_hi_u32 s3, s0, s54
	s_add_i32 s2, s3, s2
	s_mul_i32 s1, s1, s54
	s_add_i32 s2, s2, s1
	s_mul_i32 s0, s0, s54
	s_add_u32 s12, s42, s0
	s_addc_u32 s13, s43, s2
	v_readlane_b32 s2, v234, 6
	v_readlane_b32 s3, v234, 7
	s_mul_i32 s0, s5, s3
	s_mul_hi_u32 s1, s5, s2
	s_add_i32 s0, s1, s0
	s_mul_i32 s14, s14, s2
	s_add_i32 s0, s0, s14
	s_mul_i32 s5, s5, s2
	s_add_u32 s1, s40, s5
	s_mul_i32 s6, s6, s27
	s_addc_u32 s0, s41, s0
	s_ashr_i32 s2, s6, 31
	s_add_u32 s6, s1, s6
	s_addc_u32 s7, s0, s2
	v_and_b32_e32 v15, 0x1ff0, v81
	s_movk_i32 s0, 0xf0
	v_and_b32_e32 v62, 0x7e, v56
	v_mad_u32_u24 v0, v15, s0, 0
	v_mul_u32_u24_e32 v79, 0xf0, v54
	v_lshlrev_b32_e32 v78, 2, v62
	v_add3_u32 v16, v0, v79, v78
	s_waitcnt lgkmcnt(0)
	s_barrier
	ds_read2_b64 v[8:11], v16 offset1:4
	ds_read2_b64 v[4:7], v16 offset0:8 offset1:12
	ds_read2_b64 v[0:3], v16 offset0:16 offset1:20
	ds_read_b64 v[18:19], v16 offset:192
	v_add_u32_e32 v89, -1, v14
	v_cmp_lt_i32_e32 vcc, s53, v89
	v_lshlrev_b32_e32 v14, 1, v52
	s_mov_b32 s5, 0
	v_and_b32_e32 v14, 62, v14
	s_waitcnt lgkmcnt(0)
	s_barrier
	s_cbranch_vccnz .LBB19_281
; %bb.279:
	v_add_u32_e32 v16, s4, v12
	v_mul_hi_u32 v17, s30, v16
	v_add_u32_e32 v17, v16, v17
	v_lshrrev_b32_e32 v17, s31, v17
	v_mul_lo_u32 v17, v17, s20
	v_sub_u32_e32 v16, v16, v17
	v_mad_i64_i32 v[26:27], s[0:1], v16, s34, 0
	v_add_u32_e32 v16, s4, v13
	v_mul_hi_u32 v17, s30, v16
	v_add_u32_e32 v17, v16, v17
	v_lshrrev_b32_e32 v17, s31, v17
	v_mul_lo_u32 v17, v17, s20
	v_sub_u32_e32 v16, v16, v17
	s_movk_i32 s2, 0x90
	v_mov_b32_e32 v17, 0x480
	v_mad_i64_i32 v[28:29], s[0:1], v16, s34, 0
	v_lshrrev_b32_e32 v16, 1, v52
	v_mul_u32_u24_e32 v86, 0x90, v12
	v_mad_u32_u24 v88, v12, s2, v17
	s_ashr_i32 s3, s28, 31
	v_lshl_add_u32 v77, v57, 5, v16
	s_mov_b64 s[0:1], 0
	s_mov_b32 s9, 0xfeffffff
	s_mov_b32 s8, 0
	s_branch .LBB19_282
.LBB19_280:
                                        ; implicit-def: $sgpr64_sgpr65
	s_load_dwordx2 s[30:31], s[4:5], 0x5c
	s_branch .LBB19_7
.LBB19_281:
	s_mov_b64 s[0:1], -1
                                        ; implicit-def: $sgpr8
                                        ; implicit-def: $sgpr5
                                        ; implicit-def: $sgpr9
                                        ; implicit-def: $vgpr86
                                        ; implicit-def: $vgpr26_vgpr27
                                        ; implicit-def: $vgpr88
                                        ; implicit-def: $vgpr28_vgpr29
                                        ; implicit-def: $vgpr77
                                        ; implicit-def: $sgpr2_sgpr3
.LBB19_282:
	v_mul_lo_u32 v24, s28, v75
	v_mul_lo_u32 v16, s22, v75
	s_andn2_b64 vcc, exec, s[0:1]
	v_mov_b32_e32 v63, s8
	v_mov_b32_e32 v48, s5
	;; [unrolled: 1-line block ×3, first 2 shown]
	v_lshlrev_b32_e32 v90, 1, v14
	v_lshrrev_b32_e32 v66, 2, v52
	v_ashrrev_i32_e32 v25, 31, v24
	v_add_u32_e32 v67, 32, v75
	v_lshl_add_u32 v22, s28, 5, v24
	v_and_or_b32 v82, v52, 14, v15
	v_mbcnt_lo_u32_b32 v80, -1, 0
	v_and_b32_e32 v31, 8, v81
	v_ashrrev_i32_e32 v17, 31, v16
	v_lshlrev_b32_e32 v21, 1, v54
	v_mov_b32_e32 v64, s8
	v_mov_b32_e32 v84, s8
	;; [unrolled: 1-line block ×13, first 2 shown]
	s_cbranch_vccnz .LBB19_290
; %bb.283:
	v_mov_b32_e32 v14, s13
	v_add_co_u32_e32 v91, vcc, s12, v90
	v_addc_co_u32_e32 v92, vcc, 0, v14, vcc
	v_add_u32_e32 v14, s4, v12
	v_mul_hi_u32 v15, s30, v14
	v_add_u32_e32 v15, v14, v15
	v_and_b32_e32 v36, 16, v61
	v_and_b32_e32 v37, 0xfc, v66
	v_lshrrev_b32_e32 v15, s31, v15
	s_movk_i32 s2, 0x90
	v_mul_u32_u24_e32 v45, 0xf0, v36
	v_add_u32_e32 v38, v37, v36
	v_lshrrev_b32_e32 v39, 1, v82
	v_add_u16_e32 v36, v37, v36
	v_mul_lo_u32 v15, v15, s20
	v_mad_u32_u24 v39, v39, s2, 0
	v_lshrrev_b16_e32 v36, 1, v36
	v_sub_u32_e32 v14, v14, v15
	v_add_u32_e32 v13, s4, v13
	v_lshl_add_u32 v48, v36, 2, v39
	v_lshl_add_u32 v36, v38, 1, v39
	v_mad_i64_i32 v[26:27], s[0:1], v14, s34, 0
	v_mul_hi_u32 v14, s30, v13
	v_add_u32_e32 v94, 64, v36
	v_add_u32_e32 v95, 0x44, v36
	v_mbcnt_hi_u32_b32 v36, -1, v80
	v_add_u32_e32 v14, v13, v14
	v_and_b32_e32 v38, 64, v36
	v_lshrrev_b32_e32 v14, s31, v14
	v_add_u32_e32 v38, 64, v38
	v_xor_b32_e32 v39, 32, v36
	v_mul_lo_u32 v14, v14, s20
	v_cmp_lt_i32_e32 vcc, v39, v38
	v_sub_u32_e32 v13, v13, v14
	v_mov_b32_e32 v14, 0x480
	v_cndmask_b32_e32 v39, v36, v39, vcc
	v_mul_u32_u24_e32 v86, 0x90, v12
	v_mad_u32_u24 v88, v12, s2, v14
	v_lshrrev_b32_e32 v12, 1, v52
	v_lshlrev_b32_e32 v33, 2, v52
	v_lshlrev_b32_e32 v96, 2, v39
	v_xor_b32_e32 v39, 16, v36
	v_lshl_add_u32 v77, v57, 5, v12
	s_movk_i32 s4, 0xf0
	v_and_b32_e32 v30, 4, v33
	v_cmp_lt_i32_e32 vcc, v39, v38
	v_mad_u32_u24 v14, v77, s4, 0
	v_lshlrev_b32_e32 v15, 2, v30
	s_movk_i32 s5, 0xc0
	v_add_u32_e32 v20, v61, v66
	v_cndmask_b32_e32 v36, v36, v39, vcc
	v_mul_u32_u24_e32 v38, 0x78, v37
	s_movk_i32 s2, 0x1e0
	v_add3_u32 v93, v14, v15, s5
	v_mad_u32_u24 v34, v20, s4, 0
	v_mul_lo_u32 v14, s28, v20
	v_lshlrev_b32_e32 v97, 2, v36
	v_or_b32_e32 v36, 3, v66
	v_mul_u32_u24_e32 v39, 0xf0, v37
	v_or_b32_e32 v38, v38, v54
	v_mul_lo_u32 v42, s22, v20
	v_mul_u32_u24_e32 v20, 0x1e0, v31
	v_mad_u32_u24 v49, v31, s2, 0
	v_mul_u32_u24_e32 v36, 0xf0, v36
	v_lshlrev_b32_e32 v38, 1, v38
	v_add3_u32 v99, v49, v39, v21
	v_add3_u32 v39, 0, 32, v20
	;; [unrolled: 1-line block ×3, first 2 shown]
	s_add_i32 s8, 0, 0x60
	v_add_u32_e32 v98, v49, v38
	v_add3_u32 v100, v49, v36, v21
	v_add_u32_e32 v103, v39, v38
	v_mad_u32_u24 v49, v37, s4, v39
	v_add3_u32 v105, v39, v36, v21
	v_add_u32_e32 v107, v20, v38
	v_mad_u32_u24 v39, v37, s4, v20
	v_add3_u32 v109, v20, v36, v21
	v_mov_b32_e32 v20, s8
	s_movk_i32 s5, 0x1e00
	v_mad_u32_u24 v20, v31, s2, v20
	s_add_i32 s9, 0, 0x80
	v_add3_u32 v108, v39, v21, s5
	v_add_u32_e32 v111, v20, v38
	v_mad_u32_u24 v39, v37, s4, v20
	v_add3_u32 v113, v20, v36, v21
	v_mov_b32_e32 v20, s9
	v_mad_u32_u24 v20, v31, s2, v20
	s_add_i32 s9, 0, 0xa0
	v_add3_u32 v112, v39, v21, s5
	v_add_u32_e32 v115, v20, v38
	v_mad_u32_u24 v39, v37, s4, v20
	v_add3_u32 v117, v20, v36, v21
	v_mov_b32_e32 v20, s9
	;; [unrolled: 7-line block ×3, first 2 shown]
	v_mad_u32_u24 v20, v31, s2, v20
	v_add_u32_e32 v123, v20, v38
	v_and_b32_e32 v38, 28, v33
	v_mul_lo_u32 v12, s28, v77
	v_mul_u32_u24_e32 v35, 0xf0, v75
	v_mul_lo_u32 v40, s22, v77
	v_mul_lo_u32 v46, s22, v67
	v_mad_u32_u24 v37, v37, s4, v20
	v_add3_u32 v125, v20, v36, v21
	v_and_b32_e32 v20, 12, v33
	v_lshlrev_b32_e32 v33, 2, v38
	v_add_u32_e32 v32, 0, v90
	v_mad_i64_i32 v[28:29], s[0:1], v13, s34, 0
	v_ashrrev_i32_e32 v13, 31, v12
	v_ashrrev_i32_e32 v15, 31, v14
	;; [unrolled: 1-line block ×3, first 2 shown]
	v_add3_u32 v44, 0, v79, v78
	v_ashrrev_i32_e32 v41, 31, v40
	v_ashrrev_i32_e32 v47, 31, v46
	;; [unrolled: 1-line block ×3, first 2 shown]
	s_movk_i32 s8, 0x80
	v_lshlrev_b32_e32 v36, 2, v20
	v_add3_u32 v127, 0, v35, v33
	v_mov_b32_e32 v134, 0
	s_ashr_i32 s3, s28, 31
	v_cmp_gt_u32_e64 s[0:1], 64, v77
	v_add_u32_e32 v101, 0x1e00, v99
	v_add_u32_e32 v102, 32, v99
	v_add3_u32 v104, v49, v21, s5
	v_add_u32_e32 v106, 64, v99
	v_add_u32_e32 v110, 0x60, v99
	;; [unrolled: 1-line block ×4, first 2 shown]
	v_add3_u32 v120, v39, v21, s5
	v_add_u32_e32 v122, 0xc0, v99
	v_add3_u32 v124, v37, v21, s5
	v_add3_u32 v126, v34, v36, s8
	v_add_u32_e32 v128, 0x1e00, v127
	s_lshl_b32 s4, s53, 6
	v_mov_b32_e32 v135, 0xfeffffff
	v_add_u32_e32 v129, v32, v86
	v_lshlrev_b64 v[32:33], 2, v[12:13]
	v_lshlrev_b64 v[34:35], 2, v[14:15]
	v_lshlrev_b32_e32 v130, 2, v20
	v_lshlrev_b64 v[36:37], 2, v[24:25]
	v_lshlrev_b32_e32 v131, 2, v38
	v_lshlrev_b64 v[38:39], 2, v[22:23]
	v_add_u32_e32 v23, v44, v45
	v_add_u32_e32 v132, 0x3c00, v48
	v_lshlrev_b64 v[40:41], 2, v[40:41]
	s_mov_b32 s2, 0x3fb8aa3b
	s_mov_b32 s14, 0xc2ce8ed0
	;; [unrolled: 1-line block ×4, first 2 shown]
	v_lshlrev_b64 v[42:43], 2, v[42:43]
	v_lshlrev_b64 v[44:45], 2, v[16:17]
	;; [unrolled: 1-line block ×3, first 2 shown]
	s_mov_b32 s17, 0x5040100
	v_mov_b32_e32 v133, 0x7f800000
	v_mov_b32_e32 v76, 0
	;; [unrolled: 1-line block ×15, first 2 shown]
.LBB19_284:                             ; =>This Inner Loop Header: Depth=1
	s_ashr_i32 s5, s4, 31
	s_lshl_b64 s[8:9], s[4:5], 1
	v_mov_b32_e32 v12, s9
	v_add_co_u32_e32 v20, vcc, s8, v91
	v_addc_co_u32_e32 v48, vcc, v92, v12, vcc
	v_lshlrev_b64 v[12:13], 1, v[26:27]
	v_add_co_u32_e32 v12, vcc, v20, v12
	v_addc_co_u32_e32 v13, vcc, v48, v13, vcc
	v_lshlrev_b64 v[14:15], 1, v[28:29]
	v_add_co_u32_e32 v14, vcc, v20, v14
	v_addc_co_u32_e32 v15, vcc, v48, v15, vcc
	global_load_dword v12, v[12:13], off
	s_nop 0
	global_load_dword v13, v[14:15], off
	s_mul_hi_i32 s9, s4, s28
	s_mul_i32 s8, s4, s28
	s_lshl_b64 s[8:9], s[8:9], 2
	s_add_u32 s5, s10, s8
	s_addc_u32 s18, s11, s9
	s_waitcnt vmcnt(1)
	ds_write_b32 v129, v12 offset:15360
	s_waitcnt vmcnt(0)
	ds_write_b32 v129, v13 offset:16512
	s_and_saveexec_b64 s[8:9], s[0:1]
	s_cbranch_execz .LBB19_286
; %bb.285:                              ;   in Loop: Header=BB19_284 Depth=1
	v_mov_b32_e32 v12, s18
	v_add_co_u32_e32 v13, vcc, s5, v32
	v_addc_co_u32_e32 v14, vcc, v12, v33, vcc
	v_lshlrev_b32_e32 v12, 2, v30
	v_add_co_u32_e32 v12, vcc, v13, v12
	v_addc_co_u32_e32 v13, vcc, 0, v14, vcc
	global_load_dwordx4 v[12:15], v[12:13], off offset:192
	s_waitcnt vmcnt(0)
	ds_write_b128 v93, v[12:15]
.LBB19_286:                             ;   in Loop: Header=BB19_284 Depth=1
	s_or_b64 exec, exec, s[8:9]
	v_mov_b32_e32 v12, s18
	v_add_co_u32_e32 v13, vcc, s5, v34
	v_addc_co_u32_e32 v14, vcc, v12, v35, vcc
	v_add_co_u32_e32 v12, vcc, v13, v130
	v_addc_co_u32_e32 v13, vcc, 0, v14, vcc
	v_mov_b32_e32 v14, s18
	v_add_co_u32_e32 v15, vcc, s5, v36
	v_addc_co_u32_e32 v14, vcc, v14, v37, vcc
	v_add_co_u32_e32 v48, vcc, v15, v131
	v_addc_co_u32_e32 v49, vcc, 0, v14, vcc
	v_mov_b32_e32 v20, s18
	v_add_co_u32_e32 v136, vcc, s5, v38
	v_addc_co_u32_e32 v20, vcc, v20, v39, vcc
	global_load_dwordx4 v[12:15], v[12:13], off offset:128
	s_nop 0
	global_load_dwordx4 v[48:51], v[48:49], off
	v_add_co_u32_e32 v136, vcc, v136, v131
	v_addc_co_u32_e32 v137, vcc, 0, v20, vcc
	global_load_dwordx4 v[136:139], v[136:137], off
	v_add_u32_e32 v20, 0x1800, v23
	s_mul_hi_i32 s9, s4, s22
	s_mul_i32 s8, s4, s22
	s_lshl_b64 s[8:9], s[8:9], 2
	s_add_u32 s5, s6, s8
	s_addc_u32 s18, s7, s9
	s_waitcnt vmcnt(2)
	ds_write_b128 v126, v[12:15]
	s_waitcnt vmcnt(1)
	ds_write_b128 v127, v[48:51]
	;; [unrolled: 2-line block ×3, first 2 shown]
	s_waitcnt lgkmcnt(0)
	s_barrier
	ds_read2_b64 v[12:15], v23 offset1:4
	ds_read2_b64 v[136:139], v20 offset0:192 offset1:196
	s_waitcnt lgkmcnt(1)
	v_mfma_f32_16x16x16f16 v[48:51], v[12:13], v[8:9], 0
	s_waitcnt lgkmcnt(0)
	v_mfma_f32_16x16x16f16 v[140:143], v[136:137], v[8:9], 0
	v_mfma_f32_16x16x16f16 v[12:15], v[14:15], v[10:11], v[48:51]
	;; [unrolled: 1-line block ×3, first 2 shown]
	ds_read2_b64 v[136:139], v23 offset0:8 offset1:12
	s_nop 7
	ds_read2_b64 v[140:143], v20 offset0:200 offset1:204
	s_waitcnt lgkmcnt(1)
	v_mfma_f32_16x16x16f16 v[12:15], v[136:137], v[4:5], v[12:15]
	s_waitcnt lgkmcnt(0)
	v_mfma_f32_16x16x16f16 v[48:51], v[140:141], v[4:5], v[48:51]
	v_mfma_f32_16x16x16f16 v[12:15], v[138:139], v[6:7], v[12:15]
	ds_read2_b64 v[136:139], v23 offset0:16 offset1:20
	v_mfma_f32_16x16x16f16 v[48:51], v[142:143], v[6:7], v[48:51]
	ds_read2_b64 v[140:143], v20 offset0:208 offset1:212
	s_waitcnt lgkmcnt(1)
	v_mfma_f32_16x16x16f16 v[12:15], v[136:137], v[0:1], v[12:15]
	s_waitcnt lgkmcnt(0)
	v_mfma_f32_16x16x16f16 v[48:51], v[140:141], v[0:1], v[48:51]
	v_mfma_f32_16x16x16f16 v[12:15], v[138:139], v[2:3], v[12:15]
	ds_read_b64 v[136:137], v23 offset:192
	ds_read_b64 v[138:139], v23 offset:7872
	s_waitcnt lgkmcnt(0)
	s_barrier
	ds_read2_b32 v[140:141], v132 offset1:1
	ds_read_b32 v20, v94 offset:15360
	ds_read_b32 v146, v95 offset:15360
	s_waitcnt lgkmcnt(2)
	v_cvt_f32_f16_e32 v144, v140
	v_mfma_f32_16x16x16f16 v[48:51], v[142:143], v[2:3], v[48:51]
	v_cvt_f32_f16_sdwa v145, v140 dst_sel:DWORD dst_unused:UNUSED_PAD src0_sel:WORD_1
	v_cvt_f32_f16_e32 v142, v141
	v_cvt_f32_f16_sdwa v143, v141 dst_sel:DWORD dst_unused:UNUSED_PAD src0_sel:WORD_1
	s_waitcnt lgkmcnt(0)
	v_cvt_f32_f16_sdwa v141, v146 dst_sel:DWORD dst_unused:UNUSED_PAD src0_sel:WORD_1
	v_cvt_f32_f16_e32 v140, v146
	v_cvt_f32_f16_sdwa v147, v20 dst_sel:DWORD dst_unused:UNUSED_PAD src0_sel:WORD_1
	v_cvt_f32_f16_e32 v146, v20
	v_mfma_f32_16x16x16f16 v[12:15], v[136:137], v[18:19], v[12:15]
	v_mfma_f32_16x16x16f16 v[136:139], v[138:139], v[18:19], v[48:51]
	s_nop 7
	s_nop 1
	v_pk_add_f32 v[50:51], v[12:13], v[144:145]
	v_pk_add_f32 v[48:49], v[14:15], v[142:143]
	;; [unrolled: 1-line block ×4, first 2 shown]
	v_add_f32_e32 v137, 0x40051340, v50
	v_add_f32_e32 v138, 0x40051340, v51
	;; [unrolled: 1-line block ×4, first 2 shown]
	v_max3_f32 v137, v135, v137, v138
	v_add_f32_e32 v141, 0x40051340, v14
	v_add_f32_e32 v142, 0x40051340, v15
	v_max3_f32 v20, v137, v20, v136
	v_add_f32_e32 v139, 0x40051340, v12
	v_add_f32_e32 v140, 0x40051340, v13
	v_max3_f32 v20, v20, v141, v142
	v_max3_f32 v20, v20, v139, v140
	ds_bpermute_b32 v136, v96, v20
	s_waitcnt lgkmcnt(0)
	v_max_f32_e32 v136, v136, v136
	v_max_f32_e32 v20, v20, v136
	ds_bpermute_b32 v136, v97, v20
	s_and_saveexec_b64 s[8:9], s[0:1]
	s_cbranch_execz .LBB19_288
; %bb.287:                              ;   in Loop: Header=BB19_284 Depth=1
	v_mov_b32_e32 v137, s18
	v_add_co_u32_e32 v138, vcc, s5, v40
	v_addc_co_u32_e32 v137, vcc, v137, v41, vcc
	v_lshlrev_b32_e32 v139, 2, v30
	v_add_co_u32_e32 v138, vcc, v138, v139
	v_addc_co_u32_e32 v139, vcc, 0, v137, vcc
	global_load_dwordx4 v[138:141], v[138:139], off offset:192
	s_waitcnt vmcnt(0)
	ds_write_b128 v93, v[138:141]
.LBB19_288:                             ;   in Loop: Header=BB19_284 Depth=1
	s_or_b64 exec, exec, s[8:9]
	s_waitcnt lgkmcnt(0)
	v_max_f32_e32 v136, v136, v136
	v_max_f32_e32 v20, v20, v20
	;; [unrolled: 1-line block ×3, first 2 shown]
	v_pk_add_f32 v[50:51], v[50:51], v[20:21] op_sel_hi:[1,0] neg_lo:[0,1] neg_hi:[0,1]
	v_mul_f32_e32 v136, 0x3fb8aa3b, v51
	v_fma_f32 v137, v51, s2, -v136
	v_rndne_f32_e32 v138, v136
	v_fmac_f32_e32 v137, 0x32a5705f, v51
	v_sub_f32_e32 v136, v136, v138
	v_add_f32_e32 v136, v136, v137
	v_exp_f32_e32 v136, v136
	v_cvt_i32_f32_e32 v137, v138
	v_cmp_ngt_f32_e32 vcc, s14, v51
	v_pk_add_f32 v[48:49], v[48:49], v[20:21] op_sel_hi:[1,0] neg_lo:[0,1] neg_hi:[0,1]
	v_pk_add_f32 v[14:15], v[14:15], v[20:21] op_sel_hi:[1,0] neg_lo:[0,1] neg_hi:[0,1]
	v_ldexp_f32 v136, v136, v137
	v_mul_f32_e32 v137, 0x3fb8aa3b, v50
	v_fma_f32 v138, v50, s2, -v137
	v_rndne_f32_e32 v139, v137
	v_fmac_f32_e32 v138, 0x32a5705f, v50
	v_sub_f32_e32 v137, v137, v139
	v_add_f32_e32 v137, v137, v138
	v_exp_f32_e32 v137, v137
	v_cvt_i32_f32_e32 v138, v139
	v_cndmask_b32_e32 v136, 0, v136, vcc
	v_cmp_nlt_f32_e32 vcc, s15, v51
	v_cndmask_b32_e32 v148, v133, v136, vcc
	v_mul_f32_e32 v136, 0x3fb8aa3b, v49
	v_ldexp_f32 v51, v137, v138
	v_fma_f32 v137, v49, s2, -v136
	v_rndne_f32_e32 v138, v136
	v_fmac_f32_e32 v137, 0x32a5705f, v49
	v_sub_f32_e32 v136, v136, v138
	v_add_f32_e32 v136, v136, v137
	v_exp_f32_e32 v136, v136
	v_cvt_i32_f32_e32 v137, v138
	v_cmp_ngt_f32_e32 vcc, s14, v50
	v_cndmask_b32_e32 v51, 0, v51, vcc
	v_cmp_nlt_f32_e32 vcc, s15, v50
	v_cndmask_b32_e32 v149, v133, v51, vcc
	v_mul_f32_e32 v51, 0x3fb8aa3b, v48
	v_ldexp_f32 v50, v136, v137
	v_fma_f32 v136, v48, s2, -v51
	v_rndne_f32_e32 v137, v51
	v_fmac_f32_e32 v136, 0x32a5705f, v48
	v_sub_f32_e32 v51, v51, v137
	v_add_f32_e32 v51, v51, v136
	v_exp_f32_e32 v51, v51
	v_cvt_i32_f32_e32 v136, v137
	v_cmp_ngt_f32_e32 vcc, s14, v49
	;; [unrolled: 13-line block ×3, first 2 shown]
	v_cndmask_b32_e32 v49, 0, v49, vcc
	v_cmp_nlt_f32_e32 vcc, s15, v48
	v_cndmask_b32_e32 v151, v133, v49, vcc
	v_ldexp_f32 v48, v50, v51
	v_cmp_ngt_f32_e32 vcc, s14, v15
	v_cndmask_b32_e32 v152, 0, v48, vcc
	v_mul_f32_e32 v48, 0x3fb8aa3b, v14
	v_fma_f32 v49, v14, s2, -v48
	v_rndne_f32_e32 v50, v48
	v_fmac_f32_e32 v49, 0x32a5705f, v14
	v_sub_f32_e32 v48, v48, v50
	v_add_f32_e32 v48, v48, v49
	v_exp_f32_e32 v153, v48
	v_mov_b32_e32 v48, s18
	v_add_co_u32_e32 v49, vcc, s5, v42
	v_cvt_i32_f32_e32 v154, v50
	v_addc_co_u32_e32 v50, vcc, v48, v43, vcc
	v_add_co_u32_e32 v48, vcc, v49, v130
	v_addc_co_u32_e32 v49, vcc, 0, v50, vcc
	v_mov_b32_e32 v50, s18
	v_add_co_u32_e32 v51, vcc, s5, v44
	v_addc_co_u32_e32 v136, vcc, v50, v45, vcc
	v_add_co_u32_e32 v50, vcc, v51, v131
	v_addc_co_u32_e32 v51, vcc, 0, v136, vcc
	global_load_dwordx4 v[136:139], v[48:49], off offset:128
	global_load_dwordx4 v[140:143], v[50:51], off
	v_mov_b32_e32 v48, s18
	v_add_co_u32_e32 v49, vcc, s5, v46
	v_addc_co_u32_e32 v50, vcc, v48, v47, vcc
	v_add_co_u32_e32 v48, vcc, v49, v131
	v_addc_co_u32_e32 v49, vcc, 0, v50, vcc
	global_load_dwordx4 v[144:147], v[48:49], off
	v_pk_add_f32 v[12:13], v[12:13], v[20:21] op_sel_hi:[1,0] neg_lo:[0,1] neg_hi:[0,1]
	v_mul_f32_e32 v49, 0x3fb8aa3b, v13
	v_fma_f32 v50, v13, s2, -v49
	v_rndne_f32_e32 v51, v49
	v_fmac_f32_e32 v50, 0x32a5705f, v13
	v_sub_f32_e32 v49, v49, v51
	v_add_f32_e32 v49, v49, v50
	v_exp_f32_e32 v49, v49
	v_cvt_i32_f32_e32 v50, v51
	v_cmp_nlt_f32_e32 vcc, s15, v15
	v_cndmask_b32_e32 v15, v133, v152, vcc
	v_ldexp_f32 v48, v153, v154
	v_cmp_ngt_f32_e32 vcc, s14, v14
	v_cndmask_b32_e32 v48, 0, v48, vcc
	v_cmp_nlt_f32_e32 vcc, s15, v14
	v_cndmask_b32_e32 v14, v133, v48, vcc
	v_ldexp_f32 v48, v49, v50
	v_mul_f32_e32 v49, 0x3fb8aa3b, v12
	v_fma_f32 v50, v12, s2, -v49
	v_rndne_f32_e32 v51, v49
	v_fmac_f32_e32 v50, 0x32a5705f, v12
	v_sub_f32_e32 v49, v49, v51
	v_add_f32_e32 v49, v49, v50
	v_exp_f32_e32 v49, v49
	v_cvt_i32_f32_e32 v50, v51
	v_cmp_ngt_f32_e32 vcc, s14, v13
	v_cndmask_b32_e32 v48, 0, v48, vcc
	v_cmp_nlt_f32_e32 vcc, s15, v13
	v_cndmask_b32_e32 v13, v133, v48, vcc
	v_ldexp_f32 v48, v49, v50
	v_cmp_ngt_f32_e32 vcc, s14, v12
	v_cndmask_b32_e32 v48, 0, v48, vcc
	v_cmp_nlt_f32_e32 vcc, s15, v12
	v_cndmask_b32_e32 v49, v133, v48, vcc
	v_sub_f32_e32 v48, v135, v20
	v_mul_f32_e32 v50, 0x3fb8aa3b, v48
	v_fma_f32 v51, v48, s2, -v50
	v_rndne_f32_e32 v135, v50
	v_fmac_f32_e32 v51, 0x32a5705f, v48
	v_sub_f32_e32 v50, v50, v135
	v_add_f32_e32 v50, v50, v51
	v_exp_f32_e32 v50, v50
	v_cvt_i32_f32_e32 v51, v135
	v_cmp_ngt_f32_e32 vcc, s14, v48
	v_add_f32_e32 v12, v149, v148
	v_add_f32_e32 v12, v151, v12
	v_ldexp_f32 v50, v50, v51
	v_cndmask_b32_e32 v50, 0, v50, vcc
	v_cmp_nlt_f32_e32 vcc, s15, v48
	v_cndmask_b32_e32 v50, v133, v50, vcc
	v_cmp_le_f32_e32 vcc, s16, v48
	v_add_f32_e32 v12, v150, v12
	v_cndmask_b32_e32 v50, 0, v50, vcc
	v_add_f32_e32 v12, v14, v12
	v_cvt_f16_f32_e32 v135, v50
	v_add_f32_e32 v12, v15, v12
	v_add_f32_e32 v12, v49, v12
	;; [unrolled: 1-line block ×3, first 2 shown]
	v_fmac_f32_e32 v48, v134, v50
	v_pk_mul_f16 v50, v135, v85 op_sel_hi:[0,1]
	v_pk_mul_f16 v134, v135, v68 op_sel_hi:[0,1]
	;; [unrolled: 1-line block ×3, first 2 shown]
	v_cvt_f16_f32_e32 v68, v15
	v_cvt_f16_f32_e32 v70, v13
	s_waitcnt vmcnt(2)
	ds_write_b128 v126, v[136:139]
	s_waitcnt vmcnt(1)
	ds_write_b128 v127, v[140:143]
	s_waitcnt vmcnt(0)
	ds_write_b128 v128, v[144:147]
	s_waitcnt lgkmcnt(0)
	s_barrier
	v_cvt_f32_f16_e32 v12, v50
	v_cvt_f32_f16_sdwa v13, v50 dst_sel:DWORD dst_unused:UNUSED_PAD src0_sel:WORD_1
	ds_read_u16 v15, v99 offset:240
	ds_read_u16 v50, v99 offset:480
	ds_read_u16 v51, v100
	ds_read_u16 v136, v100 offset:32
	ds_read_u16 v137, v100 offset:64
	;; [unrolled: 1-line block ×5, first 2 shown]
	v_pk_mul_f16 v152, v135, v71 op_sel_hi:[0,1]
	v_cvt_f16_f32_e32 v71, v148
	v_cvt_f16_f32_e32 v148, v149
	;; [unrolled: 1-line block ×4, first 2 shown]
	s_waitcnt lgkmcnt(5)
	v_perm_b32 v51, v51, v50, s17
	ds_read_u16 v50, v98
	ds_read_u16 v145, v98 offset:32
	ds_read_u16 v146, v98 offset:64
	;; [unrolled: 1-line block ×7, first 2 shown]
	v_pk_mul_f16 v84, v135, v84 op_sel_hi:[0,1]
	s_waitcnt lgkmcnt(7)
	v_perm_b32 v50, v15, v50, s17
	v_pk_mul_f16 v85, v135, v87 op_sel_hi:[0,1]
	v_pk_mul_f16 v87, v135, v69 op_sel_hi:[0,1]
	v_cvt_f16_f32_e32 v69, v14
	v_cvt_f32_f16_e32 v14, v84
	v_cvt_f32_f16_sdwa v15, v84 dst_sel:DWORD dst_unused:UNUSED_PAD src0_sel:WORD_1
	v_pack_b32_f16 v138, v148, v71
	v_pack_b32_f16 v139, v150, v149
	v_cvt_f16_f32_e32 v49, v49
	v_pk_mul_f16 v72, v135, v72 op_sel_hi:[0,1]
	v_mfma_f32_16x16x16f16 v[12:15], v[50:51], v[138:139], v[12:15]
	ds_read_u16 v50, v101 offset:480
	ds_read_u16 v71, v102 offset:240
	;; [unrolled: 1-line block ×7, first 2 shown]
	v_pk_mul_f16 v74, v135, v74 op_sel_hi:[0,1]
	v_pk_mul_f16 v73, v135, v73 op_sel_hi:[0,1]
	;; [unrolled: 1-line block ×3, first 2 shown]
	ds_read_u16 v150, v100 offset:192
	s_waitcnt lgkmcnt(1)
	v_perm_b32 v51, v51, v50, s17
	v_perm_b32 v50, v141, v140, s17
	v_cvt_f16_f32_e32 v12, v12
	v_cvt_f16_f32_e32 v13, v13
	v_cvt_f16_f32_e32 v14, v14
	v_cvt_f16_f32_e32 v15, v15
	v_cvt_f32_f16_e32 v12, v12
	v_cvt_f32_f16_e32 v13, v13
	;; [unrolled: 1-line block ×4, first 2 shown]
	v_pack_b32_f16 v140, v69, v68
	v_pack_b32_f16 v141, v49, v70
	v_cvt_f32_f16_e32 v68, v85
	v_cvt_f32_f16_sdwa v69, v85 dst_sel:DWORD dst_unused:UNUSED_PAD src0_sel:WORD_1
	v_mfma_f32_16x16x16f16 v[12:15], v[50:51], v[140:141], v[12:15]
	v_perm_b32 v51, v136, v84, s17
	v_perm_b32 v50, v71, v145, s17
	v_cvt_f32_f16_e32 v70, v72
	v_cvt_f32_f16_sdwa v71, v72 dst_sel:DWORD dst_unused:UNUSED_PAD src0_sel:WORD_1
	v_pk_mul_f16 v49, v135, v64 op_sel_hi:[0,1]
	v_pk_mul_f16 v65, v135, v65 op_sel_hi:[0,1]
	;; [unrolled: 1-line block ×3, first 2 shown]
	v_mfma_f32_16x16x16f16 v[68:71], v[50:51], v[138:139], v[68:71]
	s_nop 2
	v_cvt_f16_f32_e32 v64, v12
	v_cvt_f16_f32_e32 v85, v13
	s_add_i32 s53, s53, 1
	v_cmp_lt_i32_e32 vcc, s53, v89
	s_and_b64 vcc, exec, vcc
	v_pack_b32_f16 v85, v64, v85
	s_add_i32 s4, s4, 64
	s_nop 0
	v_cvt_f16_f32_e32 v12, v68
	v_cvt_f16_f32_e32 v50, v69
	;; [unrolled: 1-line block ×4, first 2 shown]
	v_cvt_f32_f16_e32 v68, v12
	v_cvt_f32_f16_e32 v69, v50
	ds_read_u16 v12, v104 offset:480
	ds_read_u16 v50, v105 offset:7680
	;; [unrolled: 1-line block ×8, first 2 shown]
	v_cvt_f32_f16_e32 v70, v51
	s_waitcnt lgkmcnt(6)
	v_perm_b32 v51, v50, v12, s17
	v_perm_b32 v50, v149, v148, s17
	v_cvt_f32_f16_e32 v71, v71
	v_cvt_f16_f32_e32 v148, v14
	v_cvt_f16_f32_e32 v149, v15
	v_mfma_f32_16x16x16f16 v[12:15], v[50:51], v[140:141], v[68:71]
	s_waitcnt lgkmcnt(4)
	v_perm_b32 v51, v137, v84, s17
	v_perm_b32 v50, v72, v146, s17
	v_pack_b32_f16 v84, v148, v149
	s_nop 2
	v_cvt_f32_f16_e32 v68, v87
	v_cvt_f32_f16_sdwa v69, v87 dst_sel:DWORD dst_unused:UNUSED_PAD src0_sel:WORD_1
	v_cvt_f32_f16_e32 v70, v134
	v_cvt_f32_f16_sdwa v71, v134 dst_sel:DWORD dst_unused:UNUSED_PAD src0_sel:WORD_1
	v_cvt_f16_f32_e32 v64, v12
	v_cvt_f16_f32_e32 v72, v13
	v_mfma_f32_16x16x16f16 v[68:71], v[50:51], v[138:139], v[68:71]
	v_cvt_f16_f32_e32 v134, v14
	v_pack_b32_f16 v87, v64, v72
	s_nop 7
	s_nop 0
	v_cvt_f16_f32_e32 v50, v69
	v_cvt_f16_f32_e32 v51, v70
	;; [unrolled: 1-line block ×4, first 2 shown]
	v_cvt_f32_f16_e32 v69, v50
	v_cvt_f32_f16_e32 v70, v51
	s_waitcnt lgkmcnt(0)
	v_perm_b32 v51, v156, v145, s17
	v_perm_b32 v50, v136, v135, s17
	v_cvt_f32_f16_e32 v68, v12
	v_cvt_f32_f16_e32 v71, v71
	v_cvt_f16_f32_e32 v135, v15
	v_pack_b32_f16 v72, v134, v135
	v_mfma_f32_16x16x16f16 v[12:15], v[50:51], v[140:141], v[68:71]
	ds_read_u16 v50, v110 offset:240
	ds_read_u16 v51, v110 offset:480
	;; [unrolled: 1-line block ×8, first 2 shown]
	s_waitcnt lgkmcnt(6)
	v_perm_b32 v51, v142, v51, s17
	v_perm_b32 v50, v50, v147, s17
	v_cvt_f32_f16_e32 v68, v152
	v_cvt_f32_f16_sdwa v69, v152 dst_sel:DWORD dst_unused:UNUSED_PAD src0_sel:WORD_1
	v_cvt_f32_f16_e32 v70, v153
	v_cvt_f32_f16_sdwa v71, v153 dst_sel:DWORD dst_unused:UNUSED_PAD src0_sel:WORD_1
	v_cvt_f16_f32_e32 v64, v12
	v_cvt_f16_f32_e32 v142, v13
	v_mfma_f32_16x16x16f16 v[68:71], v[50:51], v[138:139], v[68:71]
	v_cvt_f32_f16_e32 v134, v74
	v_cvt_f32_f16_sdwa v135, v74 dst_sel:DWORD dst_unused:UNUSED_PAD src0_sel:WORD_1
	s_nop 7
	s_nop 0
	v_cvt_f16_f32_e32 v50, v69
	v_cvt_f16_f32_e32 v51, v70
	;; [unrolled: 1-line block ×4, first 2 shown]
	v_cvt_f32_f16_e32 v69, v50
	v_cvt_f32_f16_e32 v70, v51
	s_waitcnt lgkmcnt(2)
	v_perm_b32 v51, v146, v145, s17
	v_perm_b32 v50, v137, v136, s17
	v_cvt_f32_f16_e32 v68, v12
	v_cvt_f32_f16_e32 v71, v71
	v_cvt_f16_f32_e32 v145, v14
	v_cvt_f16_f32_e32 v146, v15
	v_mfma_f32_16x16x16f16 v[12:15], v[50:51], v[140:141], v[68:71]
	s_waitcnt lgkmcnt(0)
	v_perm_b32 v51, v143, v149, s17
	v_perm_b32 v50, v148, v151, s17
	v_cvt_f32_f16_e32 v136, v73
	v_cvt_f32_f16_sdwa v137, v73 dst_sel:DWORD dst_unused:UNUSED_PAD src0_sel:WORD_1
	s_nop 1
	v_pack_b32_f16 v69, v64, v142
	v_pack_b32_f16 v68, v145, v146
	s_nop 1
	v_cvt_f16_f32_e32 v64, v12
	v_mfma_f32_16x16x16f16 v[134:137], v[50:51], v[138:139], v[134:137]
	v_cvt_f16_f32_e32 v145, v14
	v_cvt_f16_f32_e32 v146, v15
	s_nop 7
	s_nop 0
	v_cvt_f16_f32_e32 v12, v134
	v_cvt_f16_f32_e32 v50, v135
	;; [unrolled: 1-line block ×4, first 2 shown]
	v_cvt_f32_f16_e32 v134, v12
	v_cvt_f32_f16_e32 v135, v50
	;; [unrolled: 1-line block ×3, first 2 shown]
	ds_read_u16 v12, v115 offset:7680
	ds_read_u16 v50, v116 offset:240
	;; [unrolled: 1-line block ×8, first 2 shown]
	s_waitcnt lgkmcnt(4)
	v_perm_b32 v51, v71, v51, s17
	v_perm_b32 v50, v50, v12, s17
	v_cvt_f32_f16_e32 v137, v70
	v_cvt_f16_f32_e32 v70, v13
	v_pack_b32_f16 v71, v64, v70
	v_mfma_f32_16x16x16f16 v[12:15], v[50:51], v[140:141], v[134:137]
	s_waitcnt lgkmcnt(2)
	v_perm_b32 v51, v144, v74, s17
	v_perm_b32 v50, v73, v154, s17
	v_pack_b32_f16 v70, v145, v146
	s_nop 2
	v_cvt_f32_f16_e32 v134, v76
	v_cvt_f32_f16_sdwa v135, v76 dst_sel:DWORD dst_unused:UNUSED_PAD src0_sel:WORD_1
	v_cvt_f32_f16_e32 v136, v65
	v_cvt_f32_f16_sdwa v137, v65 dst_sel:DWORD dst_unused:UNUSED_PAD src0_sel:WORD_1
	v_cvt_f16_f32_e32 v64, v12
	s_nop 0
	v_mfma_f32_16x16x16f16 v[134:137], v[50:51], v[138:139], v[134:137]
	s_nop 7
	s_nop 2
	v_cvt_f16_f32_e32 v12, v134
	v_cvt_f16_f32_e32 v50, v135
	;; [unrolled: 1-line block ×4, first 2 shown]
	v_cvt_f32_f16_e32 v134, v12
	v_cvt_f32_f16_e32 v135, v50
	ds_read_u16 v12, v120 offset:480
	ds_read_u16 v50, v121 offset:7680
	;; [unrolled: 1-line block ×8, first 2 shown]
	v_cvt_f32_f16_e32 v136, v51
	s_waitcnt lgkmcnt(6)
	v_perm_b32 v51, v50, v12, s17
	v_perm_b32 v50, v143, v142, s17
	v_cvt_f32_f16_e32 v137, v65
	v_cvt_f16_f32_e32 v65, v13
	v_cvt_f16_f32_e32 v142, v14
	;; [unrolled: 1-line block ×3, first 2 shown]
	v_mfma_f32_16x16x16f16 v[12:15], v[50:51], v[140:141], v[134:137]
	s_waitcnt lgkmcnt(4)
	v_perm_b32 v51, v150, v74, s17
	v_perm_b32 v50, v73, v155, s17
	v_pack_b32_f16 v74, v64, v65
	v_pack_b32_f16 v73, v142, v143
	s_waitcnt lgkmcnt(0)
	s_nop 0
	v_cvt_f32_f16_e32 v134, v49
	v_cvt_f32_f16_sdwa v135, v49 dst_sel:DWORD dst_unused:UNUSED_PAD src0_sel:WORD_1
	v_cvt_f32_f16_e32 v136, v63
	v_cvt_f32_f16_sdwa v137, v63 dst_sel:DWORD dst_unused:UNUSED_PAD src0_sel:WORD_1
	v_cvt_f16_f32_e32 v49, v12
	v_cvt_f16_f32_e32 v64, v14
	v_mfma_f32_16x16x16f16 v[134:137], v[50:51], v[138:139], v[134:137]
	v_cvt_f16_f32_e32 v65, v15
	s_barrier
	v_pack_b32_f16 v65, v64, v65
	s_nop 7
	v_cvt_f16_f32_e32 v50, v135
	v_cvt_f16_f32_e32 v51, v136
	;; [unrolled: 1-line block ×4, first 2 shown]
	v_cvt_f32_f16_e32 v135, v50
	v_cvt_f32_f16_e32 v136, v51
	v_perm_b32 v51, v146, v145, s17
	v_perm_b32 v50, v144, v76, s17
	v_cvt_f32_f16_e32 v134, v12
	v_cvt_f32_f16_e32 v137, v63
	v_cvt_f16_f32_e32 v63, v13
	v_pack_b32_f16 v76, v49, v63
	v_mfma_f32_16x16x16f16 v[12:15], v[50:51], v[140:141], v[134:137]
	s_nop 7
	s_nop 2
	v_cvt_f16_f32_e32 v12, v12
	v_cvt_f16_f32_e32 v13, v13
	;; [unrolled: 1-line block ×4, first 2 shown]
	v_pack_b32_f16 v64, v12, v13
	v_pack_b32_f16 v63, v14, v15
	s_cbranch_vccz .LBB19_290
; %bb.289:                              ;   in Loop: Header=BB19_284 Depth=1
	v_mov_b32_e32 v134, v48
	v_mov_b32_e32 v135, v20
	s_branch .LBB19_284
.LBB19_290:
	s_lshl_b32 s4, s53, 6
	s_ashr_i32 s5, s4, 31
	s_lshl_b64 s[0:1], s[4:5], 1
	s_add_u32 s0, s12, s0
	s_addc_u32 s1, s13, s1
	v_mov_b32_e32 v12, s1
	v_add_co_u32_e32 v23, vcc, s0, v90
	v_addc_co_u32_e32 v30, vcc, 0, v12, vcc
	v_lshlrev_b64 v[12:13], 1, v[26:27]
	v_add_co_u32_e32 v12, vcc, v23, v12
	v_addc_co_u32_e32 v13, vcc, v30, v13, vcc
	v_lshlrev_b64 v[14:15], 1, v[28:29]
	v_add_co_u32_e32 v14, vcc, v23, v14
	v_addc_co_u32_e32 v15, vcc, v30, v15, vcc
	global_load_dword v23, v[12:13], off
	global_load_dword v26, v[14:15], off
	s_mul_hi_u32 s1, s28, s4
	s_mul_i32 s2, s3, s4
	s_mul_i32 s3, s28, s5
	s_add_i32 s1, s1, s3
	s_mul_i32 s0, s28, s4
	s_add_i32 s1, s1, s2
	s_lshl_b64 s[0:1], s[0:1], 2
	v_add_u32_e32 v12, 0, v90
	s_add_u32 s5, s10, s0
	v_add_u32_e32 v13, v12, v86
	v_add_u32_e32 v12, v12, v88
	s_addc_u32 s8, s11, s1
	v_cmp_gt_u32_e32 vcc, 64, v77
                                        ; implicit-def: $vgpr14
                                        ; implicit-def: $vgpr28
	s_waitcnt vmcnt(1)
	ds_write_b32 v13, v23 offset:15360
	s_waitcnt vmcnt(0)
	ds_write_b32 v12, v26 offset:15360
                                        ; implicit-def: $vgpr12
	s_and_saveexec_b64 s[0:1], vcc
	s_xor_b64 s[2:3], exec, s[0:1]
	s_cbranch_execz .LBB19_292
; %bb.291:
	v_mul_lo_u32 v12, v77, s28
	v_ashrrev_i32_e32 v13, 31, v12
	v_lshlrev_b64 v[12:13], 2, v[12:13]
	v_mov_b32_e32 v14, s8
	v_add_co_u32_e64 v12, s[0:1], s5, v12
	v_addc_co_u32_e64 v13, s[0:1], v14, v13, s[0:1]
	v_lshlrev_b32_e32 v14, 2, v52
	v_and_b32_e32 v15, 4, v14
	v_lshlrev_b32_e32 v23, 2, v15
	v_add_co_u32_e64 v12, s[0:1], v12, v23
	v_addc_co_u32_e64 v13, s[0:1], 0, v13, s[0:1]
	global_load_dwordx4 v[32:35], v[12:13], off offset:192
	v_mul_i32_i24_e32 v28, 0xf0, v77
	v_or_b32_e32 v12, 48, v15
	v_add3_u32 v15, 0, v28, v23
	v_mov_b32_e32 v13, 0
	s_waitcnt vmcnt(0)
	ds_write_b128 v15, v[32:35] offset:192
.LBB19_292:
	s_andn2_saveexec_b64 s[0:1], s[2:3]
; %bb.293:
	v_lshlrev_b32_e32 v14, 2, v52
	v_mul_i32_i24_e32 v28, 0xf0, v77
	v_and_or_b32 v12, v14, 4, 48
	v_mov_b32_e32 v13, 0
; %bb.294:
	s_or_b64 exec, exec, s[0:1]
	v_add_u32_e32 v27, v61, v66
	v_mul_lo_u32 v32, s28, v27
	v_ashrrev_i32_e32 v33, 31, v32
	v_lshlrev_b64 v[32:33], 2, v[32:33]
	v_mov_b32_e32 v15, s8
	v_add_co_u32_e64 v23, s[0:1], s5, v32
	v_and_b32_e32 v26, 12, v14
	v_addc_co_u32_e64 v15, s[0:1], v15, v33, s[0:1]
	v_lshlrev_b32_e32 v26, 2, v26
	v_add_co_u32_e64 v40, s[0:1], v23, v26
	v_addc_co_u32_e64 v41, s[0:1], 0, v15, s[0:1]
	v_and_b32_e32 v14, 28, v14
	v_lshlrev_b64 v[24:25], 2, v[24:25]
	v_lshlrev_b32_e32 v15, 2, v14
	v_mov_b32_e32 v14, s8
	v_add_co_u32_e64 v23, s[0:1], s5, v24
	v_addc_co_u32_e64 v14, s[0:1], v14, v25, s[0:1]
	v_add_co_u32_e64 v24, s[0:1], v23, v15
	v_ashrrev_i32_e32 v23, 31, v22
	v_addc_co_u32_e64 v25, s[0:1], 0, v14, s[0:1]
	v_lshlrev_b64 v[22:23], 2, v[22:23]
	v_mov_b32_e32 v14, s8
	v_add_co_u32_e64 v22, s[0:1], s5, v22
	v_addc_co_u32_e64 v14, s[0:1], v14, v23, s[0:1]
	global_load_dwordx4 v[32:35], v[40:41], off offset:128
	global_load_dwordx4 v[36:39], v[24:25], off
	v_add_co_u32_e64 v22, s[0:1], v22, v15
	v_addc_co_u32_e64 v23, s[0:1], 0, v14, s[0:1]
	global_load_dwordx4 v[22:25], v[22:23], off
	v_and_b32_e32 v29, 16, v61
	v_add_u32_e32 v30, 0, v79
	v_mul_u32_u24_e32 v40, 0xf0, v27
	v_mul_u32_u24_e32 v41, 0xf0, v29
	;; [unrolled: 1-line block ×3, first 2 shown]
	v_add3_u32 v44, 0, v40, v26
	v_add3_u32 v30, v30, v78, v41
	;; [unrolled: 1-line block ×3, first 2 shown]
	v_add_u32_e32 v45, 0x1800, v30
	s_movk_i32 s0, 0x90
	v_mbcnt_hi_u32_b32 v46, -1, v80
	s_movk_i32 s1, 0x3c00
	v_xor_b32_e32 v47, 16, v46
	s_waitcnt vmcnt(2)
	ds_write_b128 v44, v[32:35] offset:128
	s_waitcnt vmcnt(1)
	ds_write_b128 v14, v[36:39]
	s_waitcnt vmcnt(0)
	ds_write_b128 v14, v[22:25] offset:7680
	s_waitcnt lgkmcnt(0)
	s_barrier
	ds_read2_b64 v[22:25], v30 offset1:4
	ds_read2_b64 v[36:39], v45 offset0:192 offset1:196
	s_waitcnt lgkmcnt(1)
	v_mfma_f32_16x16x16f16 v[32:35], v[22:23], v[8:9], 0
	s_waitcnt lgkmcnt(0)
	v_mfma_f32_16x16x16f16 v[40:43], v[36:37], v[8:9], 0
	v_mfma_f32_16x16x16f16 v[22:25], v[24:25], v[10:11], v[32:35]
	s_nop 7
	ds_read2_b64 v[32:35], v30 offset0:8 offset1:12
	v_mfma_f32_16x16x16f16 v[8:11], v[38:39], v[10:11], v[40:43]
	ds_read2_b64 v[36:39], v45 offset0:200 offset1:204
	s_waitcnt lgkmcnt(1)
	v_mfma_f32_16x16x16f16 v[22:25], v[32:33], v[4:5], v[22:25]
	s_waitcnt lgkmcnt(0)
	v_mfma_f32_16x16x16f16 v[8:11], v[36:37], v[4:5], v[8:11]
	v_mfma_f32_16x16x16f16 v[22:25], v[34:35], v[6:7], v[22:25]
	ds_read2_b64 v[32:35], v30 offset0:16 offset1:20
	v_mfma_f32_16x16x16f16 v[4:7], v[38:39], v[6:7], v[8:11]
	ds_read2_b64 v[36:39], v45 offset0:208 offset1:212
	s_waitcnt lgkmcnt(1)
	v_mfma_f32_16x16x16f16 v[22:25], v[32:33], v[0:1], v[22:25]
	s_nop 4
	v_and_b32_e32 v8, 0xfc, v66
	v_lshrrev_b32_e32 v9, 1, v82
	v_mad_u32_u24 v11, v9, s0, 0
	v_add_u16_e32 v9, v8, v29
	v_add_u32_e32 v10, v8, v29
	v_lshl_add_u32 v10, v10, 1, v11
	v_xor_b32_e32 v29, 32, v46
	s_waitcnt lgkmcnt(0)
	v_mfma_f32_16x16x16f16 v[4:7], v[36:37], v[0:1], v[4:7]
	v_and_b32_e32 v0, 64, v46
	v_lshrrev_b16_e32 v1, 1, v9
	v_add_u32_e32 v49, 64, v0
	v_lshlrev_b32_e32 v0, 2, v1
	v_add_u32_e32 v9, 0x80, v44
	v_mfma_f32_16x16x16f16 v[32:35], v[34:35], v[2:3], v[22:25]
	s_nop 6
	v_add3_u32 v24, v11, v0, s1
	v_mfma_f32_16x16x16f16 v[0:3], v[38:39], v[2:3], v[4:7]
	v_add_u32_e32 v25, 0x3c00, v10
	ds_read_b64 v[10:11], v30 offset:192
	ds_read_b64 v[22:23], v30 offset:7872
	s_waitcnt lgkmcnt(0)
	s_barrier
	s_nop 1
	ds_read2_b32 v[4:5], v24 offset1:1
	v_cmp_lt_i32_e64 s[0:1], v29, v49
	v_cndmask_b32_e64 v6, v46, v29, s[0:1]
	v_mfma_f32_16x16x16f16 v[32:35], v[10:11], v[18:19], v[32:35]
	v_lshlrev_b32_e32 v24, 2, v6
	ds_read2_b32 v[6:7], v25 offset0:16 offset1:17
	s_waitcnt lgkmcnt(1)
	v_cvt_f32_f16_e32 v10, v4
	v_cvt_f32_f16_sdwa v11, v4 dst_sel:DWORD dst_unused:UNUSED_PAD src0_sel:WORD_1
	v_cvt_f32_f16_e32 v40, v5
	v_cvt_f32_f16_sdwa v41, v5 dst_sel:DWORD dst_unused:UNUSED_PAD src0_sel:WORD_1
	s_waitcnt lgkmcnt(0)
	v_cvt_f32_f16_e32 v44, v6
	v_mfma_f32_16x16x16f16 v[36:39], v[22:23], v[18:19], v[0:3]
	v_cvt_f32_f16_sdwa v45, v6 dst_sel:DWORD dst_unused:UNUSED_PAD src0_sel:WORD_1
	v_cvt_f32_f16_e32 v42, v7
	v_cvt_f32_f16_sdwa v43, v7 dst_sel:DWORD dst_unused:UNUSED_PAD src0_sel:WORD_1
	v_pk_add_f32 v[6:7], v[32:33], v[10:11]
	v_pk_add_f32 v[4:5], v[34:35], v[40:41]
	v_add_f32_e32 v18, 0x40051340, v6
	v_add_f32_e32 v19, 0x40051340, v7
	s_nop 3
	v_pk_add_f32 v[2:3], v[36:37], v[44:45]
	v_add_f32_e32 v10, 0x40051340, v4
	v_add_f32_e32 v11, 0x40051340, v5
	v_max3_f32 v18, v20, v18, v19
	v_pk_add_f32 v[0:1], v[38:39], v[42:43]
	v_add_f32_e32 v25, 0x40051340, v2
	v_add_f32_e32 v29, 0x40051340, v3
	v_max3_f32 v10, v18, v10, v11
	v_add_f32_e32 v22, 0x40051340, v0
	v_add_f32_e32 v23, 0x40051340, v1
	v_max3_f32 v10, v10, v25, v29
	v_max3_f32 v11, v10, v22, v23
	ds_bpermute_b32 v18, v24, v11
	v_cmp_lt_i32_e64 s[0:1], v47, v49
	v_cndmask_b32_e64 v19, v46, v47, s[0:1]
	v_lshlrev_b32_e32 v29, 2, v19
	s_mul_hi_i32 s1, s4, s22
	s_waitcnt lgkmcnt(0)
	v_max_f32_e32 v18, v18, v18
	v_max_f32_e32 v11, v11, v18
	ds_bpermute_b32 v18, v29, v11
	s_mul_i32 s0, s4, s22
	s_lshl_b64 s[0:1], s[0:1], 2
	s_add_u32 s3, s6, s0
	v_add_u32_e32 v10, 0x1e00, v14
	s_addc_u32 s4, s7, s1
	s_and_saveexec_b64 s[0:1], vcc
	s_cbranch_execz .LBB19_296
; %bb.295:
	v_mul_lo_u32 v22, v77, s22
	v_ashrrev_i32_e32 v23, 31, v22
	v_lshlrev_b64 v[22:23], 2, v[22:23]
	v_mov_b32_e32 v19, s4
	v_add_co_u32_e32 v25, vcc, s3, v22
	v_addc_co_u32_e32 v19, vcc, v19, v23, vcc
	v_lshlrev_b64 v[22:23], 2, v[12:13]
	v_add_co_u32_e32 v22, vcc, v25, v22
	v_addc_co_u32_e32 v23, vcc, v19, v23, vcc
	global_load_dwordx4 v[32:35], v[22:23], off
	v_lshlrev_b32_e32 v12, 2, v12
	v_add3_u32 v12, 0, v28, v12
	s_waitcnt vmcnt(0)
	ds_write_b128 v12, v[32:35]
.LBB19_296:
	s_or_b64 exec, exec, s[0:1]
	s_waitcnt lgkmcnt(0)
	v_max_f32_e32 v12, v18, v18
	v_max_f32_e32 v11, v11, v11
	;; [unrolled: 1-line block ×3, first 2 shown]
	v_pk_add_f32 v[6:7], v[6:7], v[28:29] op_sel_hi:[1,0] neg_lo:[0,1] neg_hi:[0,1]
	s_mov_b32 s2, 0x3fb8aa3b
	v_mul_f32_e32 v11, 0x3fb8aa3b, v7
	v_fma_f32 v12, v7, s2, -v11
	v_rndne_f32_e32 v13, v11
	v_fmac_f32_e32 v12, 0x32a5705f, v7
	v_sub_f32_e32 v11, v11, v13
	v_add_f32_e32 v11, v11, v12
	v_exp_f32_e32 v11, v11
	v_cvt_i32_f32_e32 v12, v13
	s_mov_b32 s0, 0xc2ce8ed0
	v_cmp_ngt_f32_e32 vcc, s0, v7
	s_mov_b32 s1, 0x42b17218
	v_ldexp_f32 v11, v11, v12
	v_mul_f32_e32 v12, 0x3fb8aa3b, v6
	v_fma_f32 v13, v6, s2, -v12
	v_rndne_f32_e32 v18, v12
	v_fmac_f32_e32 v13, 0x32a5705f, v6
	v_sub_f32_e32 v12, v12, v18
	v_add_f32_e32 v12, v12, v13
	v_exp_f32_e32 v12, v12
	v_cvt_i32_f32_e32 v13, v18
	v_cndmask_b32_e32 v11, 0, v11, vcc
	v_mov_b32_e32 v30, 0x7f800000
	v_cmp_nlt_f32_e32 vcc, s1, v7
	v_pk_add_f32 v[4:5], v[4:5], v[28:29] op_sel_hi:[1,0] neg_lo:[0,1] neg_hi:[0,1]
	v_cndmask_b32_e32 v18, v30, v11, vcc
	v_mul_f32_e32 v11, 0x3fb8aa3b, v5
	v_ldexp_f32 v7, v12, v13
	v_fma_f32 v12, v5, s2, -v11
	v_rndne_f32_e32 v13, v11
	v_fmac_f32_e32 v12, 0x32a5705f, v5
	v_sub_f32_e32 v11, v11, v13
	v_add_f32_e32 v11, v11, v12
	v_exp_f32_e32 v11, v11
	v_cvt_i32_f32_e32 v12, v13
	v_cmp_ngt_f32_e32 vcc, s0, v6
	v_cndmask_b32_e32 v7, 0, v7, vcc
	v_cmp_nlt_f32_e32 vcc, s1, v6
	v_cndmask_b32_e32 v19, v30, v7, vcc
	v_mul_f32_e32 v7, 0x3fb8aa3b, v4
	v_ldexp_f32 v6, v11, v12
	v_fma_f32 v11, v4, s2, -v7
	v_rndne_f32_e32 v12, v7
	v_fmac_f32_e32 v11, 0x32a5705f, v4
	v_sub_f32_e32 v7, v7, v12
	v_add_f32_e32 v7, v7, v11
	v_exp_f32_e32 v7, v7
	v_cvt_i32_f32_e32 v11, v12
	v_cmp_ngt_f32_e32 vcc, s0, v5
	v_cndmask_b32_e32 v6, 0, v6, vcc
	v_cmp_nlt_f32_e32 vcc, s1, v5
	v_cndmask_b32_e32 v22, v30, v6, vcc
	v_ldexp_f32 v5, v7, v11
	v_pk_add_f32 v[6:7], v[2:3], v[28:29] op_sel_hi:[1,0] neg_lo:[0,1] neg_hi:[0,1]
	v_mul_f32_e32 v2, 0x3fb8aa3b, v7
	v_fma_f32 v3, v7, s2, -v2
	v_rndne_f32_e32 v11, v2
	v_fmac_f32_e32 v3, 0x32a5705f, v7
	v_sub_f32_e32 v2, v2, v11
	v_add_f32_e32 v2, v2, v3
	v_exp_f32_e32 v2, v2
	v_cvt_i32_f32_e32 v3, v11
	v_cmp_ngt_f32_e32 vcc, s0, v4
	v_cndmask_b32_e32 v5, 0, v5, vcc
	v_cmp_nlt_f32_e32 vcc, s1, v4
	v_ldexp_f32 v11, v2, v3
	v_mul_lo_u32 v2, s22, v27
	v_ashrrev_i32_e32 v3, 31, v2
	v_lshlrev_b64 v[2:3], 2, v[2:3]
	v_cndmask_b32_e32 v23, v30, v5, vcc
	v_mov_b32_e32 v4, s4
	v_add_co_u32_e32 v2, vcc, s3, v2
	v_addc_co_u32_e32 v3, vcc, v4, v3, vcc
	v_add_co_u32_e32 v26, vcc, v2, v26
	v_addc_co_u32_e32 v27, vcc, 0, v3, vcc
	v_lshlrev_b64 v[2:3], 2, v[16:17]
	v_add_co_u32_e32 v2, vcc, s3, v2
	v_mul_lo_u32 v12, s22, v67
	v_addc_co_u32_e32 v3, vcc, v4, v3, vcc
	v_ashrrev_i32_e32 v13, 31, v12
	v_add_co_u32_e32 v16, vcc, v2, v15
	v_addc_co_u32_e32 v17, vcc, 0, v3, vcc
	v_lshlrev_b64 v[12:13], 2, v[12:13]
	global_load_dwordx4 v[2:5], v[26:27], off offset:128
	global_load_dwordx4 v[32:35], v[16:17], off
	v_mov_b32_e32 v16, s4
	v_add_co_u32_e32 v12, vcc, s3, v12
	v_addc_co_u32_e32 v13, vcc, v16, v13, vcc
	v_add_co_u32_e32 v12, vcc, v12, v15
	v_addc_co_u32_e32 v13, vcc, 0, v13, vcc
	global_load_dwordx4 v[36:39], v[12:13], off
	v_mul_f32_e32 v12, 0x3fb8aa3b, v6
	v_fma_f32 v13, v6, s2, -v12
	v_rndne_f32_e32 v15, v12
	v_fmac_f32_e32 v13, 0x32a5705f, v6
	v_sub_f32_e32 v12, v12, v15
	v_add_f32_e32 v12, v12, v13
	v_exp_f32_e32 v12, v12
	v_cvt_i32_f32_e32 v13, v15
	v_cmp_ngt_f32_e32 vcc, s0, v7
	v_cndmask_b32_e32 v11, 0, v11, vcc
	v_cmp_nlt_f32_e32 vcc, s1, v7
	v_pk_add_f32 v[0:1], v[0:1], v[28:29] op_sel_hi:[1,0] neg_lo:[0,1] neg_hi:[0,1]
	v_cndmask_b32_e32 v25, v30, v11, vcc
	v_mul_f32_e32 v11, 0x3fb8aa3b, v1
	v_ldexp_f32 v7, v12, v13
	v_fma_f32 v12, v1, s2, -v11
	v_rndne_f32_e32 v13, v11
	v_fmac_f32_e32 v12, 0x32a5705f, v1
	v_sub_f32_e32 v11, v11, v13
	v_add_f32_e32 v11, v11, v12
	v_exp_f32_e32 v11, v11
	v_cvt_i32_f32_e32 v12, v13
	v_cmp_ngt_f32_e32 vcc, s0, v6
	v_cndmask_b32_e32 v7, 0, v7, vcc
	v_cmp_nlt_f32_e32 vcc, s1, v6
	v_cndmask_b32_e32 v42, v30, v7, vcc
	v_mul_f32_e32 v7, 0x3fb8aa3b, v0
	v_ldexp_f32 v6, v11, v12
	v_fma_f32 v11, v0, s2, -v7
	v_rndne_f32_e32 v12, v7
	v_fmac_f32_e32 v11, 0x32a5705f, v0
	v_sub_f32_e32 v7, v7, v12
	v_add_f32_e32 v7, v7, v11
	v_cvt_i32_f32_e32 v11, v12
	v_sub_f32_e32 v12, v20, v28
	v_mul_f32_e32 v13, 0x3fb8aa3b, v12
	v_fma_f32 v15, v12, s2, -v13
	v_rndne_f32_e32 v16, v13
	v_fmac_f32_e32 v15, 0x32a5705f, v12
	v_sub_f32_e32 v13, v13, v16
	v_add_f32_e32 v13, v13, v15
	v_exp_f32_e32 v13, v13
	v_cvt_i32_f32_e32 v15, v16
	v_cmp_ngt_f32_e32 vcc, s0, v1
	v_cndmask_b32_e32 v6, 0, v6, vcc
	v_exp_f32_e32 v7, v7
	v_cmp_nlt_f32_e32 vcc, s1, v1
	v_cndmask_b32_e32 v26, v30, v6, vcc
	v_ldexp_f32 v6, v13, v15
	v_cmp_ngt_f32_e32 vcc, s0, v12
	v_cndmask_b32_e32 v6, 0, v6, vcc
	v_cmp_nlt_f32_e32 vcc, s1, v12
	s_mov_b32 s2, 0xc1a00000
	v_cndmask_b32_e32 v6, v30, v6, vcc
	v_cmp_le_f32_e32 vcc, s2, v12
	v_ldexp_f32 v1, v7, v11
	v_cndmask_b32_e32 v27, 0, v6, vcc
	v_cmp_ngt_f32_e32 vcc, s0, v0
	v_cndmask_b32_e32 v1, 0, v1, vcc
	v_cmp_nlt_f32_e32 vcc, s1, v0
	s_movk_i32 s1, 0x1e0
	v_mul_u32_u24_e32 v44, 0xf0, v8
	s_waitcnt vmcnt(2)
	ds_write_b128 v9, v[2:5]
	s_waitcnt vmcnt(1)
	ds_write_b128 v14, v[32:35]
	;; [unrolled: 2-line block ×3, first 2 shown]
	v_mad_u32_u24 v2, v31, s1, 0
	v_add3_u32 v9, v2, v44, v21
	v_or_b32_e32 v0, 3, v66
	s_waitcnt lgkmcnt(0)
	s_barrier
	ds_read_u16 v4, v9 offset:480
	v_mul_u32_u24_e32 v43, 0xf0, v0
	v_mul_u32_u24_e32 v0, 0x78, v8
	v_cvt_f16_f32_e32 v20, v27
	v_or_b32_e32 v0, v0, v54
	v_lshlrev_b32_e32 v45, 1, v0
	v_add_u32_e32 v3, v2, v45
	v_add3_u32 v5, v2, v43, v21
	s_mov_b32 s0, 0x5040100
	ds_read_u16 v10, v9 offset:240
	ds_read_u16 v14, v9 offset:272
	;; [unrolled: 1-line block ×6, first 2 shown]
	ds_read_u16 v34, v5
	ds_read_u16 v41, v5 offset:32
	ds_read_u16 v46, v5 offset:64
	;; [unrolled: 1-line block ×8, first 2 shown]
	s_waitcnt lgkmcnt(8)
	v_perm_b32 v5, v34, v4, s0
	ds_read_u16 v4, v3
	ds_read_u16 v34, v3 offset:32
	ds_read_u16 v67, v3 offset:64
	;; [unrolled: 1-line block ×7, first 2 shown]
	v_cndmask_b32_e32 v30, v30, v1, vcc
	v_pk_mul_f16 v1, v20, v85 op_sel_hi:[0,1]
	v_pk_mul_f16 v6, v20, v84 op_sel_hi:[0,1]
	v_cvt_f16_f32_e32 v13, v18
	v_cvt_f16_f32_e32 v15, v19
	v_cvt_f16_f32_e32 v16, v22
	v_cvt_f16_f32_e32 v17, v23
	s_waitcnt lgkmcnt(7)
	v_perm_b32 v4, v10, v4, s0
	v_cvt_f32_f16_e32 v0, v1
	v_cvt_f32_f16_sdwa v1, v1 dst_sel:DWORD dst_unused:UNUSED_PAD src0_sel:WORD_1
	v_cvt_f32_f16_e32 v2, v6
	v_cvt_f32_f16_sdwa v3, v6 dst_sel:DWORD dst_unused:UNUSED_PAD src0_sel:WORD_1
	v_pack_b32_f16 v36, v15, v13
	v_pack_b32_f16 v37, v17, v16
	v_cvt_f16_f32_e32 v8, v25
	v_cvt_f16_f32_e32 v11, v42
	v_mfma_f32_16x16x16f16 v[0:3], v[4:5], v[36:37], v[0:3]
	ds_read_u16 v4, v9 offset:7920
	ds_read_u16 v5, v9 offset:8160
	v_cvt_f16_f32_e32 v12, v26
	v_cvt_f16_f32_e32 v6, v30
	v_pk_mul_f16 v7, v20, v87 op_sel_hi:[0,1]
	s_waitcnt lgkmcnt(1)
	v_perm_b32 v4, v4, v39, s0
	s_waitcnt lgkmcnt(0)
	v_perm_b32 v5, v38, v5, s0
	ds_read_u16 v10, v9 offset:512
	ds_read_u16 v13, v9 offset:544
	;; [unrolled: 1-line block ×6, first 2 shown]
	v_cvt_f16_f32_e32 v0, v0
	v_cvt_f16_f32_e32 v1, v1
	;; [unrolled: 1-line block ×4, first 2 shown]
	v_cvt_f32_f16_e32 v0, v0
	v_cvt_f32_f16_e32 v1, v1
	;; [unrolled: 1-line block ×4, first 2 shown]
	v_pk_mul_f16 v16, v20, v72 op_sel_hi:[0,1]
	v_pack_b32_f16 v38, v11, v8
	v_pack_b32_f16 v39, v6, v12
	s_waitcnt lgkmcnt(5)
	v_perm_b32 v9, v41, v10, s0
	v_perm_b32 v8, v14, v34, s0
	v_mfma_f32_16x16x16f16 v[0:3], v[4:5], v[38:39], v[0:3]
	v_cvt_f32_f16_e32 v4, v7
	v_cvt_f32_f16_sdwa v5, v7 dst_sel:DWORD dst_unused:UNUSED_PAD src0_sel:WORD_1
	v_cvt_f32_f16_e32 v6, v16
	v_cvt_f32_f16_sdwa v7, v16 dst_sel:DWORD dst_unused:UNUSED_PAD src0_sel:WORD_1
	v_mul_u32_u24_e32 v10, 0x1e0, v31
	s_waitcnt lgkmcnt(4)
	v_perm_b32 v13, v46, v13, s0
	s_add_i32 s2, 0, 0x60
	v_mfma_f32_16x16x16f16 v[4:7], v[8:9], v[36:37], v[4:7]
	v_add3_u32 v8, 0, 32, v10
	v_add3_u32 v10, 0, 64, v10
	v_add_u32_e32 v9, v8, v45
	v_add3_u32 v11, v8, v44, v21
	v_add3_u32 v8, v8, v43, v21
	;; [unrolled: 1-line block ×3, first 2 shown]
	v_add_u32_e32 v12, v10, v45
	s_nop 3
	v_cvt_f16_f32_e32 v4, v4
	v_cvt_f16_f32_e32 v5, v5
	;; [unrolled: 1-line block ×4, first 2 shown]
	v_add3_u32 v10, v10, v43, v21
	ds_read_u16 v16, v9 offset:7680
	ds_read_u16 v17, v11 offset:7920
	;; [unrolled: 1-line block ×8, first 2 shown]
	s_waitcnt lgkmcnt(4)
	v_perm_b32 v9, v8, v9, s0
	v_perm_b32 v8, v17, v16, s0
	v_cvt_f32_f16_e32 v4, v4
	v_cvt_f32_f16_e32 v5, v5
	;; [unrolled: 1-line block ×4, first 2 shown]
	v_pk_mul_f16 v10, v20, v69 op_sel_hi:[0,1]
	v_pk_mul_f16 v11, v20, v68 op_sel_hi:[0,1]
	v_perm_b32 v12, v32, v67, s0
	v_mfma_f32_16x16x16f16 v[4:7], v[8:9], v[38:39], v[4:7]
	v_cvt_f32_f16_e32 v8, v10
	v_cvt_f32_f16_sdwa v9, v10 dst_sel:DWORD dst_unused:UNUSED_PAD src0_sel:WORD_1
	v_cvt_f32_f16_e32 v10, v11
	v_cvt_f32_f16_sdwa v11, v11 dst_sel:DWORD dst_unused:UNUSED_PAD src0_sel:WORD_1
	v_pk_mul_f16 v32, v20, v70 op_sel_hi:[0,1]
	v_perm_b32 v17, v47, v15, s0
	v_perm_b32 v16, v33, v75, s0
	v_mfma_f32_16x16x16f16 v[8:11], v[12:13], v[36:37], v[8:11]
	s_waitcnt lgkmcnt(0)
	v_perm_b32 v13, v72, v14, s0
	v_perm_b32 v12, v41, v34, s0
	v_pk_mul_f16 v14, v20, v71 op_sel_hi:[0,1]
	v_cvt_f32_f16_sdwa v15, v32 dst_sel:DWORD dst_unused:UNUSED_PAD src0_sel:WORD_1
	v_perm_b32 v40, v40, v78, s0
	s_nop 4
	v_cvt_f16_f32_e32 v8, v8
	v_cvt_f16_f32_e32 v9, v9
	;; [unrolled: 1-line block ×4, first 2 shown]
	v_cvt_f32_f16_e32 v8, v8
	v_cvt_f32_f16_e32 v9, v9
	;; [unrolled: 1-line block ×4, first 2 shown]
	s_nop 1
	v_mfma_f32_16x16x16f16 v[8:11], v[12:13], v[38:39], v[8:11]
	v_cvt_f32_f16_e32 v12, v14
	v_cvt_f32_f16_sdwa v13, v14 dst_sel:DWORD dst_unused:UNUSED_PAD src0_sel:WORD_1
	v_cvt_f32_f16_e32 v14, v32
	s_nop 1
	v_mfma_f32_16x16x16f16 v[12:15], v[16:17], v[36:37], v[12:15]
	v_mov_b32_e32 v16, s2
	s_add_i32 s2, 0, 0x80
	v_mov_b32_e32 v33, s2
	v_mad_u32_u24 v16, v31, s1, v16
	v_mad_u32_u24 v33, v31, s1, v33
	v_add_u32_e32 v17, v16, v45
	v_add3_u32 v32, v16, v44, v21
	s_nop 3
	v_cvt_f16_f32_e32 v12, v12
	v_cvt_f16_f32_e32 v13, v13
	;; [unrolled: 1-line block ×4, first 2 shown]
	v_add3_u32 v16, v16, v43, v21
	v_add3_u32 v41, v33, v44, v21
	v_add_u32_e32 v34, v33, v45
	v_add3_u32 v33, v33, v43, v21
	ds_read_u16 v46, v17 offset:7680
	ds_read_u16 v47, v32 offset:7920
	;; [unrolled: 1-line block ×8, first 2 shown]
	s_waitcnt lgkmcnt(4)
	v_perm_b32 v17, v16, v17, s0
	v_perm_b32 v16, v47, v46, s0
	v_cvt_f32_f16_e32 v12, v12
	v_cvt_f32_f16_e32 v13, v13
	;; [unrolled: 1-line block ×4, first 2 shown]
	v_pk_mul_f16 v33, v20, v74 op_sel_hi:[0,1]
	v_pk_mul_f16 v46, v20, v73 op_sel_hi:[0,1]
	v_mfma_f32_16x16x16f16 v[12:15], v[16:17], v[38:39], v[12:15]
	v_perm_b32 v17, v49, v80, s0
	v_perm_b32 v16, v35, v77, s0
	v_cvt_f32_f16_e32 v32, v33
	v_cvt_f32_f16_sdwa v33, v33 dst_sel:DWORD dst_unused:UNUSED_PAD src0_sel:WORD_1
	v_cvt_f32_f16_e32 v34, v46
	v_cvt_f32_f16_sdwa v35, v46 dst_sel:DWORD dst_unused:UNUSED_PAD src0_sel:WORD_1
	v_add_f32_e32 v46, v19, v18
	v_pk_mul_f16 v47, v20, v65 op_sel_hi:[0,1]
	v_mfma_f32_16x16x16f16 v[32:35], v[16:17], v[36:37], v[32:35]
	v_add_f32_e32 v23, v23, v46
	v_add_f32_e32 v22, v22, v23
	v_add_f32_e32 v42, v42, v22
	s_add_i32 s2, 0, 0xa0
	v_add_f32_e32 v25, v25, v42
	v_pk_mul_f16 v42, v20, v63 op_sel_hi:[0,1]
	v_add_f32_e32 v25, v30, v25
	s_nop 3
	v_cvt_f16_f32_e32 v16, v32
	v_cvt_f16_f32_e32 v17, v33
	;; [unrolled: 1-line block ×4, first 2 shown]
	v_cvt_f32_f16_e32 v32, v16
	v_cvt_f32_f16_e32 v33, v17
	s_waitcnt lgkmcnt(0)
	v_perm_b32 v17, v69, v41, s0
	v_perm_b32 v16, v68, v67, s0
	v_cvt_f32_f16_e32 v34, v34
	v_cvt_f32_f16_e32 v35, v35
	v_pk_mul_f16 v41, v20, v76 op_sel_hi:[0,1]
	s_nop 0
	v_mfma_f32_16x16x16f16 v[16:19], v[16:17], v[38:39], v[32:35]
	s_nop 6
	v_cvt_f32_f16_e32 v32, v41
	v_cvt_f32_f16_sdwa v33, v41 dst_sel:DWORD dst_unused:UNUSED_PAD src0_sel:WORD_1
	v_perm_b32 v41, v50, v82, s0
	v_cvt_f32_f16_e32 v34, v47
	v_cvt_f32_f16_sdwa v35, v47 dst_sel:DWORD dst_unused:UNUSED_PAD src0_sel:WORD_1
	s_nop 1
	v_mfma_f32_16x16x16f16 v[32:35], v[40:41], v[36:37], v[32:35]
	s_nop 7
	s_nop 2
	v_cvt_f16_f32_e32 v22, v32
	v_cvt_f16_f32_e32 v23, v33
	v_mov_b32_e32 v32, s2
	v_mad_u32_u24 v32, v31, s1, v32
	s_add_i32 s2, 0, 0xc0
	v_cvt_f16_f32_e32 v34, v34
	v_cvt_f16_f32_e32 v35, v35
	v_add_u32_e32 v40, v32, v45
	v_add3_u32 v41, v32, v44, v21
	v_add3_u32 v46, v32, v43, v21
	v_cvt_f32_f16_e32 v32, v22
	v_mov_b32_e32 v22, s2
	v_mad_u32_u24 v22, v31, s1, v22
	v_cvt_f32_f16_e32 v33, v23
	v_add_u32_e32 v23, v22, v45
	v_add3_u32 v31, v22, v44, v21
	v_add3_u32 v21, v22, v43, v21
	ds_read_u16 v22, v40 offset:7680
	ds_read_u16 v40, v41 offset:7920
	;; [unrolled: 1-line block ×8, first 2 shown]
	s_waitcnt lgkmcnt(4)
	v_perm_b32 v23, v43, v41, s0
	v_perm_b32 v22, v40, v22, s0
	v_cvt_f32_f16_e32 v34, v34
	v_cvt_f32_f16_e32 v35, v35
	v_pk_mul_f16 v31, v20, v64 op_sel_hi:[0,1]
	v_perm_b32 v41, v66, v84, s0
	v_perm_b32 v40, v51, v79, s0
	v_mfma_f32_16x16x16f16 v[20:23], v[22:23], v[38:39], v[32:35]
	s_waitcnt lgkmcnt(0)
	s_barrier
	s_nop 4
	v_cvt_f32_f16_e32 v32, v31
	v_cvt_f32_f16_sdwa v33, v31 dst_sel:DWORD dst_unused:UNUSED_PAD src0_sel:WORD_1
	v_cvt_f32_f16_e32 v34, v42
	v_cvt_f32_f16_sdwa v35, v42 dst_sel:DWORD dst_unused:UNUSED_PAD src0_sel:WORD_1
	v_add_f32_e32 v42, v26, v25
	v_fmac_f32_e32 v42, v48, v27
	v_mfma_f32_16x16x16f16 v[30:33], v[40:41], v[36:37], v[32:35]
	s_nop 6
	ds_bpermute_b32 v34, v24, v42
	s_nop 2
	v_cvt_f16_f32_e32 v26, v31
	v_cvt_f16_f32_e32 v27, v32
	;; [unrolled: 1-line block ×4, first 2 shown]
	v_cvt_f32_f16_e32 v31, v26
	v_cvt_f32_f16_e32 v32, v27
	v_perm_b32 v27, v47, v46, s0
	v_perm_b32 v26, v45, v44, s0
	v_cvt_f32_f16_e32 v30, v25
	v_cvt_f32_f16_e32 v33, v33
	v_cmp_gt_u32_e64 s[0:1], 16, v52
	s_nop 0
	v_mfma_f32_16x16x16f16 v[24:27], v[26:27], v[38:39], v[30:33]
	s_waitcnt lgkmcnt(0)
	s_nop 5
	v_add_f32_e32 v30, v42, v34
	ds_bpermute_b32 v31, v29, v30
	s_and_saveexec_b64 s[2:3], s[0:1]
	s_cbranch_execz .LBB19_298
; %bb.297:
	s_waitcnt lgkmcnt(0)
	v_add_f32_e32 v30, v30, v31
	v_or_b32_e32 v31, v61, v52
	s_movk_i32 s4, 0xf0
	v_mad_u32_u24 v31, v31, s4, 0
	ds_write2_b32 v31, v28, v30 offset0:56 offset1:57
.LBB19_298:
	s_or_b64 exec, exec, s[2:3]
	v_cmp_eq_u32_e32 vcc, 0, v83
	v_cmp_eq_u32_e64 s[2:3], 1, v83
	s_waitcnt lgkmcnt(0)
	s_barrier
	s_and_saveexec_b64 s[4:5], s[2:3]
	s_xor_b64 s[2:3], exec, s[4:5]
	s_cbranch_execz .LBB19_300
; %bb.299:
	s_barrier
	s_waitcnt lgkmcnt(0)
                                        ; implicit-def: $vgpr81
                                        ; implicit-def: $vgpr29
.LBB19_300:
	s_andn2_saveexec_b64 s[4:5], s[2:3]
	s_cbranch_execz .LBB19_306
; %bb.301:
	v_or_b32_e32 v32, v61, v58
	s_movk_i32 s2, 0xf0
	v_mad_u32_u24 v28, v32, s2, 0
	ds_read_b64 v[34:35], v28 offset:224
	s_mov_b32 s2, 0x3fb8aa3b
	s_mov_b32 s6, 0x42b17218
	s_waitcnt lgkmcnt(0)
	s_barrier
	ds_bpermute_b32 v28, v29, v34
	v_max_f32_e32 v30, v34, v34
	s_waitcnt lgkmcnt(0)
	v_max_f32_e32 v28, v28, v28
	v_max_f32_e32 v28, v30, v28
	v_sub_f32_e32 v30, v34, v28
	v_mul_f32_e32 v31, 0x3fb8aa3b, v30
	v_fma_f32 v33, v30, s2, -v31
	v_rndne_f32_e32 v34, v31
	v_fmac_f32_e32 v33, 0x32a5705f, v30
	v_sub_f32_e32 v31, v31, v34
	v_add_f32_e32 v31, v31, v33
	v_cvt_i32_f32_e32 v34, v34
	v_exp_f32_e32 v31, v31
	s_mov_b32 s2, 0xc2ce8ed0
	v_cmp_ngt_f32_e64 s[2:3], s2, v30
	v_mov_b32_e32 v33, 0x7f800000
	v_ldexp_f32 v31, v31, v34
	v_cndmask_b32_e64 v31, 0, v31, s[2:3]
	v_cmp_nlt_f32_e64 s[2:3], s6, v30
	v_cndmask_b32_e64 v30, v33, v31, s[2:3]
	v_mul_f32_e32 v31, v35, v30
	ds_bpermute_b32 v31, v29, v31
	v_cmp_gt_u32_e64 s[2:3], 32, v52
	s_waitcnt lgkmcnt(0)
	v_fmac_f32_e32 v31, v35, v30
	s_and_saveexec_b64 s[8:9], s[2:3]
	s_cbranch_execz .LBB19_303
; %bb.302:
	v_mul_u32_u24_e32 v29, 0xf0, v32
	v_add_u32_e32 v29, 0, v29
	ds_write_b64 v29, v[30:31] offset:224
.LBB19_303:
	s_or_b64 exec, exec, s[8:9]
	s_and_saveexec_b64 s[2:3], s[0:1]
	s_cbranch_execz .LBB19_305
; %bb.304:
	s_add_i32 s0, s29, s19
	s_lshl_b32 s0, s0, 5
	s_mov_b32 s1, 0
	s_lshl_b64 s[0:1], s[0:1], 3
	s_add_u32 s0, s50, s0
	v_or_b32_e32 v29, v81, v52
	s_addc_u32 s1, s51, s1
	v_lshlrev_b32_e32 v30, 3, v29
	v_mov_b32_e32 v29, v31
	global_store_dwordx2 v30, v[28:29], s[0:1]
.LBB19_305:
	s_or_b64 exec, exec, s[2:3]
.LBB19_306:
	s_or_b64 exec, exec, s[4:5]
	v_cvt_f16_f32_e32 v0, v0
	v_cvt_f16_f32_e32 v2, v2
	v_cvt_f16_f32_e32 v3, v3
	v_cvt_f16_f32_e32 v1, v1
	v_cvt_f16_f32_e32 v9, v9
	s_mov_b32 s3, 0
	v_pack_b32_f16 v2, v2, v3
	v_pack_b32_f16 v0, v0, v1
	v_cvt_f16_f32_e32 v1, v4
	v_cvt_f16_f32_e32 v3, v5
	;; [unrolled: 1-line block ×7, first 2 shown]
	v_pack_b32_f16 v4, v4, v5
	v_pack_b32_f16 v1, v1, v3
	v_pack_b32_f16 v5, v6, v9
	v_pack_b32_f16 v3, v7, v8
	v_cvt_f16_f32_e32 v6, v12
	v_cvt_f16_f32_e32 v7, v13
	;; [unrolled: 1-line block ×8, first 2 shown]
	v_pack_b32_f16 v8, v8, v9
	v_pack_b32_f16 v6, v6, v7
	;; [unrolled: 1-line block ×4, first 2 shown]
	v_cvt_f16_f32_e32 v12, v22
	v_cvt_f16_f32_e32 v13, v23
	;; [unrolled: 1-line block ×8, first 2 shown]
	v_pack_b32_f16 v12, v12, v13
	v_pack_b32_f16 v13, v14, v17
	v_or_b32_e32 v14, v61, v54
	v_mad_u32_u24 v14, v14, 60, v62
	v_lshl_add_u32 v14, v14, 2, 0
	v_pack_b32_f16 v10, v10, v11
	v_pack_b32_f16 v11, v15, v16
	ds_write2_b32 v14, v0, v2 offset1:1
	ds_write2_b32 v14, v1, v4 offset0:8 offset1:9
	ds_write2_b32 v14, v5, v3 offset0:16 offset1:17
	;; [unrolled: 1-line block ×6, first 2 shown]
	s_waitcnt lgkmcnt(0)
	s_barrier
	s_and_saveexec_b64 s[0:1], vcc
	s_cbranch_execz .LBB19_308
; %bb.307:
	s_mul_i32 s2, s19, 0x700
	v_add_u32_e32 v12, v60, v57
	s_lshl_b64 s[4:5], s[2:3], 3
	v_lshlrev_b32_e32 v13, 1, v12
	v_and_b32_e32 v14, 15, v12
	s_movk_i32 s2, 0xfe0
	s_add_u32 s6, s50, s4
	v_and_or_b32 v0, v13, s2, v14
	s_movk_i32 s4, 0xf0
	v_mad_u32_u24 v2, v0, s4, 0
	v_lshlrev_b32_e32 v15, 2, v58
	v_add_u32_e32 v0, v2, v15
	ds_read2st64_b32 v[0:1], v0 offset1:15
	v_add_u32_e32 v2, 0xe0, v2
	ds_read2st64_b32 v[2:3], v2 offset1:15
	s_addc_u32 s5, s51, s5
	s_lshl_b32 s2, s29, 6
	s_waitcnt lgkmcnt(1)
	v_cvt_f32_f16_e32 v4, v0
	v_cvt_f32_f16_sdwa v5, v0 dst_sel:DWORD dst_unused:UNUSED_PAD src0_sel:WORD_1
	s_lshl_b64 s[2:3], s[2:3], 3
	s_add_u32 s2, s6, s2
	s_addc_u32 s3, s5, s3
	s_waitcnt lgkmcnt(0)
	v_pk_fma_f32 v[4:5], v[2:3], v[4:5], 0 op_sel_hi:[0,1,0]
	v_add_u32_e32 v2, 4, v12
	v_lshlrev_b32_e32 v6, 1, v2
	v_and_b32_e32 v2, 15, v2
	s_movk_i32 s5, 0x1fe0
	v_and_or_b32 v2, v6, s5, v2
	v_mad_u32_u24 v8, v2, s4, 0
	v_add_u32_e32 v2, v8, v15
	ds_read2st64_b32 v[6:7], v2 offset1:15
	v_cvt_f32_f16_e32 v0, v1
	v_cvt_f32_f16_sdwa v1, v1 dst_sel:DWORD dst_unused:UNUSED_PAD src0_sel:WORD_1
	v_mov_b32_e32 v2, v3
	v_add_u32_e32 v3, 0xe0, v8
	ds_read2st64_b32 v[8:9], v3 offset1:15
	s_waitcnt lgkmcnt(1)
	v_cvt_f32_f16_e32 v10, v6
	v_cvt_f32_f16_sdwa v11, v6 dst_sel:DWORD dst_unused:UNUSED_PAD src0_sel:WORD_1
	v_pk_fma_f32 v[0:1], v[2:3], v[0:1], v[4:5] op_sel_hi:[0,1,1]
	v_add_u32_e32 v3, 8, v12
	v_mul_u32_u24_e32 v16, 56, v12
	v_lshlrev_b32_e32 v4, 1, v3
	v_and_b32_e32 v3, 15, v3
	v_add_lshl_u32 v16, v16, v58, 3
	v_and_or_b32 v3, v4, s5, v3
	global_store_dwordx2 v16, v[0:1], s[2:3]
	s_waitcnt lgkmcnt(0)
	v_pk_fma_f32 v[0:1], v[8:9], v[10:11], 0 op_sel_hi:[0,1,0]
	v_mad_u32_u24 v8, v3, s4, 0
	v_add_u32_e32 v3, v8, v15
	ds_read2st64_b32 v[4:5], v3 offset1:15
	v_cvt_f32_f16_e32 v2, v7
	v_cvt_f32_f16_sdwa v3, v7 dst_sel:DWORD dst_unused:UNUSED_PAD src0_sel:WORD_1
	v_add_u32_e32 v7, 0xe0, v8
	v_mov_b32_e32 v6, v9
	ds_read2st64_b32 v[8:9], v7 offset1:15
	s_waitcnt lgkmcnt(1)
	v_cvt_f32_f16_e32 v10, v4
	v_cvt_f32_f16_sdwa v11, v4 dst_sel:DWORD dst_unused:UNUSED_PAD src0_sel:WORD_1
	v_pk_fma_f32 v[0:1], v[6:7], v[2:3], v[0:1] op_sel_hi:[0,1,1]
	v_add_u32_e32 v3, 12, v12
	v_lshlrev_b32_e32 v4, 1, v3
	v_and_b32_e32 v3, 15, v3
	v_and_or_b32 v3, v4, s5, v3
	global_store_dwordx2 v16, v[0:1], s[2:3] offset:1792
	s_waitcnt lgkmcnt(0)
	v_pk_fma_f32 v[0:1], v[8:9], v[10:11], 0 op_sel_hi:[0,1,0]
	v_mad_u32_u24 v8, v3, s4, 0
	v_add_u32_e32 v3, v8, v15
	ds_read2st64_b32 v[6:7], v3 offset1:15
	v_cvt_f32_f16_e32 v2, v5
	v_cvt_f32_f16_sdwa v3, v5 dst_sel:DWORD dst_unused:UNUSED_PAD src0_sel:WORD_1
	v_add_u32_e32 v5, 0xe0, v8
	v_mov_b32_e32 v4, v9
	ds_read2st64_b32 v[8:9], v5 offset1:15
	s_waitcnt lgkmcnt(1)
	v_cvt_f32_f16_e32 v10, v6
	v_cvt_f32_f16_sdwa v11, v6 dst_sel:DWORD dst_unused:UNUSED_PAD src0_sel:WORD_1
	v_pk_fma_f32 v[0:1], v[4:5], v[2:3], v[0:1] op_sel_hi:[0,1,1]
	v_add_u32_e32 v3, 32, v13
	v_add_u32_e32 v17, 0xe00, v16
	v_and_or_b32 v3, v3, s5, v14
	global_store_dwordx2 v17, v[0:1], s[2:3]
	s_waitcnt lgkmcnt(0)
	v_pk_fma_f32 v[0:1], v[8:9], v[10:11], 0 op_sel_hi:[0,1,0]
	v_mad_u32_u24 v8, v3, s4, 0
	v_add_u32_e32 v3, v8, v15
	ds_read2st64_b32 v[4:5], v3 offset1:15
	v_cvt_f32_f16_e32 v2, v7
	v_cvt_f32_f16_sdwa v3, v7 dst_sel:DWORD dst_unused:UNUSED_PAD src0_sel:WORD_1
	v_add_u32_e32 v7, 0xe0, v8
	v_mov_b32_e32 v6, v9
	ds_read2st64_b32 v[8:9], v7 offset1:15
	s_waitcnt lgkmcnt(1)
	v_cvt_f32_f16_e32 v10, v4
	v_cvt_f32_f16_sdwa v11, v4 dst_sel:DWORD dst_unused:UNUSED_PAD src0_sel:WORD_1
	v_pk_fma_f32 v[0:1], v[6:7], v[2:3], v[0:1] op_sel_hi:[0,1,1]
	v_add_u32_e32 v3, 20, v12
	v_lshlrev_b32_e32 v4, 1, v3
	v_and_b32_e32 v3, 15, v3
	v_add_u32_e32 v17, 0x1500, v16
	v_and_or_b32 v3, v4, s5, v3
	global_store_dwordx2 v17, v[0:1], s[2:3]
	s_waitcnt lgkmcnt(0)
	v_pk_fma_f32 v[0:1], v[8:9], v[10:11], 0 op_sel_hi:[0,1,0]
	v_mad_u32_u24 v8, v3, s4, 0
	v_add_u32_e32 v3, v8, v15
	ds_read2st64_b32 v[6:7], v3 offset1:15
	v_cvt_f32_f16_e32 v2, v5
	v_cvt_f32_f16_sdwa v3, v5 dst_sel:DWORD dst_unused:UNUSED_PAD src0_sel:WORD_1
	v_add_u32_e32 v5, 0xe0, v8
	v_mov_b32_e32 v4, v9
	ds_read2st64_b32 v[8:9], v5 offset1:15
	s_waitcnt lgkmcnt(1)
	v_cvt_f32_f16_e32 v10, v6
	v_cvt_f32_f16_sdwa v11, v6 dst_sel:DWORD dst_unused:UNUSED_PAD src0_sel:WORD_1
	v_pk_fma_f32 v[0:1], v[4:5], v[2:3], v[0:1] op_sel_hi:[0,1,1]
	v_add_u32_e32 v3, 24, v12
	v_lshlrev_b32_e32 v4, 1, v3
	v_and_b32_e32 v3, 15, v3
	v_add_u32_e32 v13, 0x1c00, v16
	v_and_or_b32 v3, v4, s5, v3
	global_store_dwordx2 v13, v[0:1], s[2:3]
	s_waitcnt lgkmcnt(0)
	v_pk_fma_f32 v[0:1], v[8:9], v[10:11], 0 op_sel_hi:[0,1,0]
	v_mad_u32_u24 v8, v3, s4, 0
	v_add_u32_e32 v3, v8, v15
	ds_read2st64_b32 v[4:5], v3 offset1:15
	v_cvt_f32_f16_e32 v2, v7
	v_cvt_f32_f16_sdwa v3, v7 dst_sel:DWORD dst_unused:UNUSED_PAD src0_sel:WORD_1
	v_mov_b32_e32 v6, v9
	v_add_u32_e32 v7, 0xe0, v8
	ds_read2st64_b32 v[8:9], v7 offset1:15
	v_pk_fma_f32 v[0:1], v[6:7], v[2:3], v[0:1] op_sel_hi:[0,1,1]
	s_waitcnt lgkmcnt(1)
	v_cvt_f32_f16_e32 v2, v5
	v_cvt_f32_f16_sdwa v3, v5 dst_sel:DWORD dst_unused:UNUSED_PAD src0_sel:WORD_1
	v_add_u32_e32 v5, 28, v12
	v_lshlrev_b32_e32 v6, 1, v5
	v_and_b32_e32 v5, 15, v5
	v_cvt_f32_f16_e32 v10, v4
	v_cvt_f32_f16_sdwa v11, v4 dst_sel:DWORD dst_unused:UNUSED_PAD src0_sel:WORD_1
	v_and_or_b32 v5, v6, s5, v5
	v_mad_u32_u24 v5, v5, s4, 0
	v_add_u32_e32 v6, v5, v15
	v_add_u32_e32 v13, 0x2300, v16
	ds_read2st64_b32 v[6:7], v6 offset1:15
	global_store_dwordx2 v13, v[0:1], s[2:3]
	s_waitcnt lgkmcnt(1)
	v_pk_fma_f32 v[0:1], v[8:9], v[10:11], 0 op_sel_hi:[0,1,0]
	v_mov_b32_e32 v4, v9
	v_add_u32_e32 v13, 0x2a00, v16
	v_pk_fma_f32 v[0:1], v[4:5], v[2:3], v[0:1] op_sel_hi:[0,1,1]
	global_store_dwordx2 v13, v[0:1], s[2:3]
	v_add_u32_e32 v0, 0xe0, v5
	ds_read2st64_b32 v[0:1], v0 offset1:15
	s_waitcnt lgkmcnt(1)
	v_cvt_f32_f16_e32 v2, v6
	v_cvt_f32_f16_sdwa v3, v6 dst_sel:DWORD dst_unused:UNUSED_PAD src0_sel:WORD_1
	v_cvt_f32_f16_e32 v4, v7
	v_cvt_f32_f16_sdwa v5, v7 dst_sel:DWORD dst_unused:UNUSED_PAD src0_sel:WORD_1
	v_add_u32_e32 v6, 0x3100, v16
	s_waitcnt lgkmcnt(0)
	v_pk_fma_f32 v[2:3], v[0:1], v[2:3], 0 op_sel_hi:[0,1,0]
	v_mov_b32_e32 v0, v1
	v_pk_fma_f32 v[0:1], v[0:1], v[4:5], v[2:3] op_sel_hi:[0,1,1]
	v_add_u32_e32 v4, v59, v55
	v_lshlrev_b32_e32 v10, 1, v4
	v_and_b32_e32 v11, 15, v4
	global_store_dwordx2 v6, v[0:1], s[2:3]
	v_and_or_b32 v0, v10, s5, v11
	v_mad_u32_u24 v2, v0, s4, 0
	v_lshlrev_b32_e32 v12, 2, v54
	v_add_u32_e32 v0, v2, v12
	v_add_u32_e32 v0, 0x80, v0
	ds_read2st64_b32 v[0:1], v0 offset1:15
	v_add_u32_e32 v2, 0xe0, v2
	ds_read2st64_b32 v[2:3], v2 offset1:15
	v_mul_u32_u24_e32 v8, 56, v4
	v_add_lshl_u32 v8, v8, v54, 3
	s_waitcnt lgkmcnt(1)
	v_cvt_f32_f16_e32 v6, v0
	v_cvt_f32_f16_sdwa v7, v0 dst_sel:DWORD dst_unused:UNUSED_PAD src0_sel:WORD_1
	v_cvt_f32_f16_e32 v0, v1
	v_cvt_f32_f16_sdwa v1, v1 dst_sel:DWORD dst_unused:UNUSED_PAD src0_sel:WORD_1
	s_movk_i32 s5, 0x3fe0
	s_waitcnt lgkmcnt(0)
	v_pk_fma_f32 v[6:7], v[2:3], v[6:7], 0 op_sel_hi:[0,1,0]
	v_mov_b32_e32 v2, v3
	v_pk_fma_f32 v[0:1], v[2:3], v[0:1], v[6:7] op_sel_hi:[0,1,1]
	global_store_dwordx2 v8, v[0:1], s[2:3] offset:256
	v_add_u32_e32 v0, 8, v4
	v_lshlrev_b32_e32 v1, 1, v0
	v_and_b32_e32 v0, 15, v0
	v_and_or_b32 v0, v1, s5, v0
	v_mad_u32_u24 v2, v0, s4, 0
	v_mov_b32_e32 v0, 0x1c0
	v_mad_u32_u24 v6, v4, 56, v0
	v_add_u32_e32 v0, 0xe0, v2
	v_add_u32_e32 v2, v2, v12
	v_add_u32_e32 v2, 0x80, v2
	ds_read2st64_b32 v[2:3], v2 offset1:15
	ds_read2st64_b32 v[0:1], v0 offset1:15
	v_add_co_u32_e32 v6, vcc, v6, v54
	v_addc_co_u32_e64 v7, s[6:7], 0, 0, vcc
	s_waitcnt lgkmcnt(1)
	v_cvt_f32_f16_e32 v8, v2
	v_cvt_f32_f16_sdwa v9, v2 dst_sel:DWORD dst_unused:UNUSED_PAD src0_sel:WORD_1
	v_cvt_f32_f16_e32 v2, v3
	v_cvt_f32_f16_sdwa v3, v3 dst_sel:DWORD dst_unused:UNUSED_PAD src0_sel:WORD_1
	v_lshlrev_b64 v[6:7], 3, v[6:7]
	v_mov_b32_e32 v13, s3
	v_add_co_u32_e32 v6, vcc, s2, v6
	s_waitcnt lgkmcnt(0)
	v_pk_fma_f32 v[8:9], v[0:1], v[8:9], 0 op_sel_hi:[0,1,0]
	v_mov_b32_e32 v0, v1
	v_addc_co_u32_e32 v7, vcc, v13, v7, vcc
	v_pk_fma_f32 v[0:1], v[0:1], v[2:3], v[8:9] op_sel_hi:[0,1,1]
	global_store_dwordx2 v[6:7], v[0:1], off offset:256
	v_add_u32_e32 v0, 32, v10
	v_and_or_b32 v0, v0, s5, v11
	v_mad_u32_u24 v2, v0, s4, 0
	v_mov_b32_e32 v0, 0x380
	v_mad_u32_u24 v6, v4, 56, v0
	v_add_u32_e32 v0, 0xe0, v2
	v_add_u32_e32 v2, v2, v12
	;; [unrolled: 1-line block ×3, first 2 shown]
	ds_read2st64_b32 v[2:3], v2 offset1:15
	ds_read2st64_b32 v[0:1], v0 offset1:15
	v_add_co_u32_e32 v6, vcc, v6, v54
	v_addc_co_u32_e64 v7, s[6:7], 0, 0, vcc
	s_waitcnt lgkmcnt(1)
	v_cvt_f32_f16_e32 v8, v2
	v_cvt_f32_f16_sdwa v9, v2 dst_sel:DWORD dst_unused:UNUSED_PAD src0_sel:WORD_1
	v_cvt_f32_f16_e32 v2, v3
	v_cvt_f32_f16_sdwa v3, v3 dst_sel:DWORD dst_unused:UNUSED_PAD src0_sel:WORD_1
	v_lshlrev_b64 v[6:7], 3, v[6:7]
	v_mov_b32_e32 v10, s3
	v_add_co_u32_e32 v6, vcc, s2, v6
	s_waitcnt lgkmcnt(0)
	v_pk_fma_f32 v[8:9], v[0:1], v[8:9], 0 op_sel_hi:[0,1,0]
	v_mov_b32_e32 v0, v1
	v_addc_co_u32_e32 v7, vcc, v10, v7, vcc
	v_pk_fma_f32 v[0:1], v[0:1], v[2:3], v[8:9] op_sel_hi:[0,1,1]
	global_store_dwordx2 v[6:7], v[0:1], off offset:256
	v_add_u32_e32 v0, 24, v4
	v_lshlrev_b32_e32 v1, 1, v0
	v_and_b32_e32 v0, 15, v0
	v_and_or_b32 v0, v1, s5, v0
	v_mad_u32_u24 v2, v0, s4, 0
	v_mov_b32_e32 v0, 0x540
	v_mad_u32_u24 v4, v4, 56, v0
	v_add_u32_e32 v0, 0xe0, v2
	v_add_u32_e32 v2, v2, v12
	;; [unrolled: 1-line block ×3, first 2 shown]
	ds_read2st64_b32 v[2:3], v2 offset1:15
	ds_read2st64_b32 v[0:1], v0 offset1:15
	v_add_co_u32_e32 v6, vcc, v4, v54
	v_addc_co_u32_e64 v7, s[6:7], 0, 0, vcc
	s_waitcnt lgkmcnt(1)
	v_cvt_f32_f16_e32 v8, v2
	v_cvt_f32_f16_sdwa v9, v2 dst_sel:DWORD dst_unused:UNUSED_PAD src0_sel:WORD_1
	v_cvt_f32_f16_e32 v2, v3
	v_cvt_f32_f16_sdwa v3, v3 dst_sel:DWORD dst_unused:UNUSED_PAD src0_sel:WORD_1
	v_lshlrev_b64 v[6:7], 3, v[6:7]
	v_mov_b32_e32 v4, s3
	v_add_co_u32_e32 v6, vcc, s2, v6
	s_waitcnt lgkmcnt(0)
	v_pk_fma_f32 v[8:9], v[0:1], v[8:9], 0 op_sel_hi:[0,1,0]
	v_mov_b32_e32 v0, v1
	v_addc_co_u32_e32 v7, vcc, v4, v7, vcc
	v_pk_fma_f32 v[0:1], v[0:1], v[2:3], v[8:9] op_sel_hi:[0,1,1]
	global_store_dwordx2 v[6:7], v[0:1], off offset:256
	v_add_u32_e32 v0, v56, v53
	v_lshlrev_b32_e32 v10, 1, v0
	v_and_b32_e32 v11, 15, v0
	v_and_b32_e32 v4, 7, v52
	v_and_or_b32 v1, v10, s5, v11
	v_mad_u32_u24 v1, v1, s4, 0
	v_lshlrev_b32_e32 v12, 2, v4
	v_mul_u32_u24_e32 v6, 56, v0
	v_add_u32_e32 v0, v1, v12
	v_add_u32_e32 v2, 0xe0, v1
	;; [unrolled: 1-line block ×3, first 2 shown]
	ds_read2st64_b32 v[0:1], v0 offset1:15
	ds_read2st64_b32 v[2:3], v2 offset1:15
	v_mov_b32_e32 v5, 0
	v_or_b32_e32 v4, v6, v4
	v_lshlrev_b64 v[6:7], 3, v[4:5]
	s_waitcnt lgkmcnt(1)
	v_cvt_f32_f16_e32 v8, v0
	v_cvt_f32_f16_sdwa v9, v0 dst_sel:DWORD dst_unused:UNUSED_PAD src0_sel:WORD_1
	v_cvt_f32_f16_e32 v0, v1
	v_cvt_f32_f16_sdwa v1, v1 dst_sel:DWORD dst_unused:UNUSED_PAD src0_sel:WORD_1
	v_add_co_u32_e32 v6, vcc, s2, v6
	s_waitcnt lgkmcnt(0)
	v_pk_fma_f32 v[8:9], v[2:3], v[8:9], 0 op_sel_hi:[0,1,0]
	v_mov_b32_e32 v2, v3
	v_addc_co_u32_e32 v7, vcc, v13, v7, vcc
	v_pk_fma_f32 v[0:1], v[2:3], v[0:1], v[8:9] op_sel_hi:[0,1,1]
	global_store_dwordx2 v[6:7], v[0:1], off offset:384
	v_add_u32_e32 v0, 32, v10
	s_movk_i32 s5, 0x7fe0
	v_and_or_b32 v0, v0, s5, v11
	v_mad_u32_u24 v0, v0, s4, 0
	v_add_u32_e32 v2, 0xe0, v0
	v_add_u32_e32 v0, v0, v12
	;; [unrolled: 1-line block ×3, first 2 shown]
	ds_read2st64_b32 v[0:1], v0 offset1:15
	ds_read2st64_b32 v[2:3], v2 offset1:15
	v_add_u32_e32 v4, 0x380, v4
	v_lshlrev_b64 v[4:5], 3, v[4:5]
	v_mov_b32_e32 v8, s3
	s_waitcnt lgkmcnt(1)
	v_cvt_f32_f16_e32 v6, v0
	v_cvt_f32_f16_sdwa v7, v0 dst_sel:DWORD dst_unused:UNUSED_PAD src0_sel:WORD_1
	v_cvt_f32_f16_e32 v0, v1
	v_cvt_f32_f16_sdwa v1, v1 dst_sel:DWORD dst_unused:UNUSED_PAD src0_sel:WORD_1
	v_add_co_u32_e32 v4, vcc, s2, v4
	s_waitcnt lgkmcnt(0)
	v_pk_fma_f32 v[6:7], v[2:3], v[6:7], 0 op_sel_hi:[0,1,0]
	v_mov_b32_e32 v2, v3
	v_addc_co_u32_e32 v5, vcc, v8, v5, vcc
	v_pk_fma_f32 v[0:1], v[2:3], v[0:1], v[6:7] op_sel_hi:[0,1,1]
	global_store_dwordx2 v[4:5], v[0:1], off offset:384
.LBB19_308:
	s_or_b64 exec, exec, s[0:1]
	s_barrier
	s_endpgm
	.section	.rodata,"a",@progbits
	.p2align	6, 0x0
	.amdhsa_kernel _ZL18flash_attn_ext_f16ILi112ELi112ELi16ELi2ELb0ELb0EEvPKcS1_S1_S1_S1_PKiPfP15HIP_vector_typeIfLj2EEffffjfiS5_IjLj3EEiiiiiiiiiiiliiliiiiil
		.amdhsa_group_segment_fixed_size 0
		.amdhsa_private_segment_fixed_size 0
		.amdhsa_kernarg_size 464
		.amdhsa_user_sgpr_count 6
		.amdhsa_user_sgpr_private_segment_buffer 1
		.amdhsa_user_sgpr_dispatch_ptr 0
		.amdhsa_user_sgpr_queue_ptr 0
		.amdhsa_user_sgpr_kernarg_segment_ptr 1
		.amdhsa_user_sgpr_dispatch_id 0
		.amdhsa_user_sgpr_flat_scratch_init 0
		.amdhsa_user_sgpr_kernarg_preload_length 0
		.amdhsa_user_sgpr_kernarg_preload_offset 0
		.amdhsa_user_sgpr_private_segment_size 0
		.amdhsa_uses_dynamic_stack 0
		.amdhsa_system_sgpr_private_segment_wavefront_offset 0
		.amdhsa_system_sgpr_workgroup_id_x 1
		.amdhsa_system_sgpr_workgroup_id_y 0
		.amdhsa_system_sgpr_workgroup_id_z 0
		.amdhsa_system_sgpr_workgroup_info 0
		.amdhsa_system_vgpr_workitem_id 1
		.amdhsa_next_free_vgpr 235
		.amdhsa_next_free_sgpr 96
		.amdhsa_accum_offset 236
		.amdhsa_reserve_vcc 1
		.amdhsa_reserve_flat_scratch 0
		.amdhsa_float_round_mode_32 0
		.amdhsa_float_round_mode_16_64 0
		.amdhsa_float_denorm_mode_32 3
		.amdhsa_float_denorm_mode_16_64 3
		.amdhsa_dx10_clamp 1
		.amdhsa_ieee_mode 1
		.amdhsa_fp16_overflow 0
		.amdhsa_tg_split 0
		.amdhsa_exception_fp_ieee_invalid_op 0
		.amdhsa_exception_fp_denorm_src 0
		.amdhsa_exception_fp_ieee_div_zero 0
		.amdhsa_exception_fp_ieee_overflow 0
		.amdhsa_exception_fp_ieee_underflow 0
		.amdhsa_exception_fp_ieee_inexact 0
		.amdhsa_exception_int_div_zero 0
	.end_amdhsa_kernel
	.section	.text._ZL18flash_attn_ext_f16ILi112ELi112ELi16ELi2ELb0ELb0EEvPKcS1_S1_S1_S1_PKiPfP15HIP_vector_typeIfLj2EEffffjfiS5_IjLj3EEiiiiiiiiiiiliiliiiiil,"axG",@progbits,_ZL18flash_attn_ext_f16ILi112ELi112ELi16ELi2ELb0ELb0EEvPKcS1_S1_S1_S1_PKiPfP15HIP_vector_typeIfLj2EEffffjfiS5_IjLj3EEiiiiiiiiiiiliiliiiiil,comdat
.Lfunc_end19:
	.size	_ZL18flash_attn_ext_f16ILi112ELi112ELi16ELi2ELb0ELb0EEvPKcS1_S1_S1_S1_PKiPfP15HIP_vector_typeIfLj2EEffffjfiS5_IjLj3EEiiiiiiiiiiiliiliiiiil, .Lfunc_end19-_ZL18flash_attn_ext_f16ILi112ELi112ELi16ELi2ELb0ELb0EEvPKcS1_S1_S1_S1_PKiPfP15HIP_vector_typeIfLj2EEffffjfiS5_IjLj3EEiiiiiiiiiiiliiliiiiil
                                        ; -- End function
	.section	.AMDGPU.csdata,"",@progbits
; Kernel info:
; codeLenInByte = 45320
; NumSgprs: 100
; NumVgprs: 235
; NumAgprs: 0
; TotalNumVgprs: 235
; ScratchSize: 0
; MemoryBound: 0
; FloatMode: 240
; IeeeMode: 1
; LDSByteSize: 0 bytes/workgroup (compile time only)
; SGPRBlocks: 12
; VGPRBlocks: 29
; NumSGPRsForWavesPerEU: 100
; NumVGPRsForWavesPerEU: 235
; AccumOffset: 236
; Occupancy: 2
; WaveLimiterHint : 1
; COMPUTE_PGM_RSRC2:SCRATCH_EN: 0
; COMPUTE_PGM_RSRC2:USER_SGPR: 6
; COMPUTE_PGM_RSRC2:TRAP_HANDLER: 0
; COMPUTE_PGM_RSRC2:TGID_X_EN: 1
; COMPUTE_PGM_RSRC2:TGID_Y_EN: 0
; COMPUTE_PGM_RSRC2:TGID_Z_EN: 0
; COMPUTE_PGM_RSRC2:TIDIG_COMP_CNT: 1
; COMPUTE_PGM_RSRC3_GFX90A:ACCUM_OFFSET: 58
; COMPUTE_PGM_RSRC3_GFX90A:TG_SPLIT: 0
	.section	.text._ZL18flash_attn_ext_f16ILi112ELi112ELi16ELi2ELb1ELb0EEvPKcS1_S1_S1_S1_PKiPfP15HIP_vector_typeIfLj2EEffffjfiS5_IjLj3EEiiiiiiiiiiiliiliiiiil,"axG",@progbits,_ZL18flash_attn_ext_f16ILi112ELi112ELi16ELi2ELb1ELb0EEvPKcS1_S1_S1_S1_PKiPfP15HIP_vector_typeIfLj2EEffffjfiS5_IjLj3EEiiiiiiiiiiiliiliiiiil,comdat
	.globl	_ZL18flash_attn_ext_f16ILi112ELi112ELi16ELi2ELb1ELb0EEvPKcS1_S1_S1_S1_PKiPfP15HIP_vector_typeIfLj2EEffffjfiS5_IjLj3EEiiiiiiiiiiiliiliiiiil ; -- Begin function _ZL18flash_attn_ext_f16ILi112ELi112ELi16ELi2ELb1ELb0EEvPKcS1_S1_S1_S1_PKiPfP15HIP_vector_typeIfLj2EEffffjfiS5_IjLj3EEiiiiiiiiiiiliiliiiiil
	.p2align	8
	.type	_ZL18flash_attn_ext_f16ILi112ELi112ELi16ELi2ELb1ELb0EEvPKcS1_S1_S1_S1_PKiPfP15HIP_vector_typeIfLj2EEffffjfiS5_IjLj3EEiiiiiiiiiiiliiliiiiil,@function
_ZL18flash_attn_ext_f16ILi112ELi112ELi16ELi2ELb1ELb0EEvPKcS1_S1_S1_S1_PKiPfP15HIP_vector_typeIfLj2EEffffjfiS5_IjLj3EEiiiiiiiiiiiliiliiiiil: ; @_ZL18flash_attn_ext_f16ILi112ELi112ELi16ELi2ELb1ELb0EEvPKcS1_S1_S1_S1_PKiPfP15HIP_vector_typeIfLj2EEffffjfiS5_IjLj3EEiiiiiiiiiiiliiliiiiil
; %bb.0:
	s_add_u32 flat_scratch_lo, s6, s9
	s_addc_u32 flat_scratch_hi, s7, 0
	s_add_u32 s0, s0, s9
	s_addc_u32 s1, s1, 0
	s_add_u32 s8, s4, 0xd0
	s_addc_u32 s9, s5, 0
	s_mov_b32 s32, 0
	s_getpc_b64 s[4:5]
	s_add_u32 s4, s4, _ZL14no_device_codePKciS0_iS0_@rel32@lo+4
	s_addc_u32 s5, s5, _ZL14no_device_codePKciS0_iS0_@rel32@hi+12
	s_swappc_b64 s[30:31], s[4:5]
	.section	.rodata,"a",@progbits
	.p2align	6, 0x0
	.amdhsa_kernel _ZL18flash_attn_ext_f16ILi112ELi112ELi16ELi2ELb1ELb0EEvPKcS1_S1_S1_S1_PKiPfP15HIP_vector_typeIfLj2EEffffjfiS5_IjLj3EEiiiiiiiiiiiliiliiiiil
		.amdhsa_group_segment_fixed_size 0
		.amdhsa_private_segment_fixed_size 16
		.amdhsa_kernarg_size 464
		.amdhsa_user_sgpr_count 8
		.amdhsa_user_sgpr_private_segment_buffer 1
		.amdhsa_user_sgpr_dispatch_ptr 0
		.amdhsa_user_sgpr_queue_ptr 0
		.amdhsa_user_sgpr_kernarg_segment_ptr 1
		.amdhsa_user_sgpr_dispatch_id 0
		.amdhsa_user_sgpr_flat_scratch_init 1
		.amdhsa_user_sgpr_kernarg_preload_length 0
		.amdhsa_user_sgpr_kernarg_preload_offset 0
		.amdhsa_user_sgpr_private_segment_size 0
		.amdhsa_uses_dynamic_stack 0
		.amdhsa_system_sgpr_private_segment_wavefront_offset 1
		.amdhsa_system_sgpr_workgroup_id_x 1
		.amdhsa_system_sgpr_workgroup_id_y 0
		.amdhsa_system_sgpr_workgroup_id_z 0
		.amdhsa_system_sgpr_workgroup_info 0
		.amdhsa_system_vgpr_workitem_id 0
		.amdhsa_next_free_vgpr 39
		.amdhsa_next_free_sgpr 34
		.amdhsa_accum_offset 40
		.amdhsa_reserve_vcc 1
		.amdhsa_reserve_flat_scratch 1
		.amdhsa_float_round_mode_32 0
		.amdhsa_float_round_mode_16_64 0
		.amdhsa_float_denorm_mode_32 3
		.amdhsa_float_denorm_mode_16_64 3
		.amdhsa_dx10_clamp 1
		.amdhsa_ieee_mode 1
		.amdhsa_fp16_overflow 0
		.amdhsa_tg_split 0
		.amdhsa_exception_fp_ieee_invalid_op 0
		.amdhsa_exception_fp_denorm_src 0
		.amdhsa_exception_fp_ieee_div_zero 0
		.amdhsa_exception_fp_ieee_overflow 0
		.amdhsa_exception_fp_ieee_underflow 0
		.amdhsa_exception_fp_ieee_inexact 0
		.amdhsa_exception_int_div_zero 0
	.end_amdhsa_kernel
	.section	.text._ZL18flash_attn_ext_f16ILi112ELi112ELi16ELi2ELb1ELb0EEvPKcS1_S1_S1_S1_PKiPfP15HIP_vector_typeIfLj2EEffffjfiS5_IjLj3EEiiiiiiiiiiiliiliiiiil,"axG",@progbits,_ZL18flash_attn_ext_f16ILi112ELi112ELi16ELi2ELb1ELb0EEvPKcS1_S1_S1_S1_PKiPfP15HIP_vector_typeIfLj2EEffffjfiS5_IjLj3EEiiiiiiiiiiiliiliiiiil,comdat
.Lfunc_end20:
	.size	_ZL18flash_attn_ext_f16ILi112ELi112ELi16ELi2ELb1ELb0EEvPKcS1_S1_S1_S1_PKiPfP15HIP_vector_typeIfLj2EEffffjfiS5_IjLj3EEiiiiiiiiiiiliiliiiiil, .Lfunc_end20-_ZL18flash_attn_ext_f16ILi112ELi112ELi16ELi2ELb1ELb0EEvPKcS1_S1_S1_S1_PKiPfP15HIP_vector_typeIfLj2EEffffjfiS5_IjLj3EEiiiiiiiiiiiliiliiiiil
                                        ; -- End function
	.section	.AMDGPU.csdata,"",@progbits
; Kernel info:
; codeLenInByte = 56
; NumSgprs: 40
; NumVgprs: 39
; NumAgprs: 0
; TotalNumVgprs: 39
; ScratchSize: 16
; MemoryBound: 0
; FloatMode: 240
; IeeeMode: 1
; LDSByteSize: 0 bytes/workgroup (compile time only)
; SGPRBlocks: 4
; VGPRBlocks: 4
; NumSGPRsForWavesPerEU: 40
; NumVGPRsForWavesPerEU: 39
; AccumOffset: 40
; Occupancy: 8
; WaveLimiterHint : 1
; COMPUTE_PGM_RSRC2:SCRATCH_EN: 1
; COMPUTE_PGM_RSRC2:USER_SGPR: 8
; COMPUTE_PGM_RSRC2:TRAP_HANDLER: 0
; COMPUTE_PGM_RSRC2:TGID_X_EN: 1
; COMPUTE_PGM_RSRC2:TGID_Y_EN: 0
; COMPUTE_PGM_RSRC2:TGID_Z_EN: 0
; COMPUTE_PGM_RSRC2:TIDIG_COMP_CNT: 0
; COMPUTE_PGM_RSRC3_GFX90A:ACCUM_OFFSET: 9
; COMPUTE_PGM_RSRC3_GFX90A:TG_SPLIT: 0
	.section	.text._ZL33flash_attn_stream_k_fixup_uniformILi112ELi16ELi2EEvPfPK15HIP_vector_typeIfLj2EEiiiiiiS1_IjLj3EES5_S5_,"axG",@progbits,_ZL33flash_attn_stream_k_fixup_uniformILi112ELi16ELi2EEvPfPK15HIP_vector_typeIfLj2EEiiiiiiS1_IjLj3EES5_S5_,comdat
	.globl	_ZL33flash_attn_stream_k_fixup_uniformILi112ELi16ELi2EEvPfPK15HIP_vector_typeIfLj2EEiiiiiiS1_IjLj3EES5_S5_ ; -- Begin function _ZL33flash_attn_stream_k_fixup_uniformILi112ELi16ELi2EEvPfPK15HIP_vector_typeIfLj2EEiiiiiiS1_IjLj3EES5_S5_
	.p2align	8
	.type	_ZL33flash_attn_stream_k_fixup_uniformILi112ELi16ELi2EEvPfPK15HIP_vector_typeIfLj2EEiiiiiiS1_IjLj3EES5_S5_,@function
_ZL33flash_attn_stream_k_fixup_uniformILi112ELi16ELi2EEvPfPK15HIP_vector_typeIfLj2EEiiiiiiS1_IjLj3EES5_S5_: ; @_ZL33flash_attn_stream_k_fixup_uniformILi112ELi16ELi2EEvPfPK15HIP_vector_typeIfLj2EEiiiiiiS1_IjLj3EES5_S5_
; %bb.0:
	s_load_dwordx8 s[12:19], s[4:5], 0x1c
	s_load_dwordx2 s[10:11], s[4:5], 0x10
	s_load_dwordx4 s[0:3], s[4:5], 0x3c
	s_waitcnt lgkmcnt(0)
	s_mul_hi_u32 s9, s15, s6
	s_add_i32 s9, s6, s9
	s_lshr_b32 s9, s9, s16
	s_mul_i32 s15, s9, s17
	s_sub_i32 s16, s6, s15
	s_mul_hi_u32 s15, s16, s18
	s_add_i32 s15, s16, s15
	s_lshr_b32 s15, s15, s19
	s_mul_i32 s0, s15, s0
	s_sub_i32 s0, s16, s0
	;; [unrolled: 5-line block ×3, first 2 shown]
	s_lshl_b32 s0, s16, 4
	s_lshl_b32 s17, s1, 1
	s_add_i32 s0, s0, s7
	s_cmp_lt_i32 s0, s10
	s_cselect_b64 s[0:1], -1, 0
	s_add_i32 s17, s17, s8
	s_cmp_lt_i32 s17, s13
	s_cselect_b64 s[2:3], -1, 0
	s_and_b64 s[0:1], s[0:1], s[2:3]
	s_andn2_b64 vcc, exec, s[0:1]
	s_cbranch_vccnz .LBB21_6
; %bb.1:
	s_load_dwordx4 s[0:3], s[4:5], 0x0
	s_mul_i32 s4, s9, s10
	s_mul_i32 s15, s15, s13
	s_add_i32 s4, s4, s7
	s_mul_i32 s4, s4, s11
	s_add_i32 s9, s17, s15
	;; [unrolled: 2-line block ×3, first 2 shown]
	s_mulk_i32 s5, 0x700
	s_mulk_i32 s4, 0x70
	s_add_i32 s4, s4, s5
	v_add_u32_e32 v2, s4, v0
	v_ashrrev_i32_e32 v3, 31, v2
	v_lshlrev_b64 v[2:3], 2, v[2:3]
	s_waitcnt lgkmcnt(0)
	v_mov_b32_e32 v1, s1
	v_add_co_u32_e32 v2, vcc, s0, v2
	v_addc_co_u32_e32 v3, vcc, v1, v3, vcc
	global_load_dword v8, v[2:3], off
	s_mul_i32 s9, s6, s14
	s_lshl_b32 s4, s7, 1
	s_add_i32 s11, s9, s14
	s_add_i32 s0, s4, s8
	s_lshl_b32 s1, s11, 5
	s_add_i32 s0, s0, s1
	s_sub_i32 s0, s0, 32
	s_ashr_i32 s1, s0, 31
	s_lshl_b64 s[0:1], s[0:1], 3
	s_add_u32 s0, s2, s0
	s_addc_u32 s1, s3, s1
	s_load_dword s5, s[0:1], 0x4
	s_add_i32 s10, s11, -2
	s_cmp_lt_i32 s10, s9
	s_cbranch_scc1 .LBB21_4
; %bb.2:
	s_lshl_b32 s16, s12, 7
	s_ashr_i32 s17, s16, 31
	s_lshl_b64 s[16:17], s[16:17], 2
	s_add_u32 s10, s2, s16
	s_addc_u32 s13, s3, s17
	s_add_i32 s6, s6, 1
	s_load_dword s0, s[0:1], 0x0
	s_mul_i32 s1, s14, s6
	s_lshl_b32 s6, s1, 5
	s_add_i32 s6, s8, s6
	s_lshl_b32 s12, s12, 5
	s_add_i32 s6, s6, s12
	s_add_i32 s6, s6, s4
	s_sub_i32 s4, s6, 64
	s_mulk_i32 s7, 0xe0
	s_mul_i32 s6, s8, 0x70
	s_mulk_i32 s1, 0xe00
	s_add_i32 s6, s6, s7
	s_add_i32 s6, s6, s1
	v_add_u32_e32 v0, s6, v0
	s_add_i32 s11, s11, -1
	v_add_u32_e32 v0, 0xffffe400, v0
	s_waitcnt lgkmcnt(0)
	v_mov_b32_e32 v7, s5
	v_mov_b32_e32 v6, s0
	;; [unrolled: 1-line block ×3, first 2 shown]
	s_mov_b32 s6, 0x3fb8aa3b
	s_mov_b32 s7, 0xc2ce8ed0
	;; [unrolled: 1-line block ×3, first 2 shown]
	v_mov_b32_e32 v5, 0x7f800000
	s_mov_b32 s12, 0xc1a00000
.LBB21_3:                               ; =>This Inner Loop Header: Depth=1
	v_ashrrev_i32_e32 v1, 31, v0
	v_lshlrev_b64 v[10:11], 2, v[0:1]
	v_add_co_u32_e32 v10, vcc, s10, v10
	v_addc_co_u32_e32 v11, vcc, v4, v11, vcc
	global_load_dword v1, v[10:11], off
	s_ashr_i32 s5, s4, 31
	s_lshl_b64 s[0:1], s[4:5], 3
	s_add_u32 s0, s2, s0
	s_addc_u32 s1, s3, s1
	s_load_dwordx2 s[14:15], s[0:1], 0x0
	s_waitcnt vmcnt(1)
	v_mov_b32_e32 v9, v8
	v_max_f32_e32 v8, v6, v6
	v_mov_b32_e32 v10, v7
	s_add_i32 s11, s11, -1
	s_waitcnt lgkmcnt(0)
	v_max_f32_e64 v7, s14, s14
	v_max_f32_e32 v7, v8, v7
	v_sub_f32_e32 v11, s14, v7
	v_sub_f32_e32 v8, v6, v7
	v_mul_f32_e32 v12, 0x3fb8aa3b, v11
	v_mov_b32_e32 v6, v7
	v_mul_f32_e32 v7, 0x3fb8aa3b, v8
	v_fma_f32 v15, v11, s6, -v12
	v_rndne_f32_e32 v16, v12
	v_fma_f32 v13, v8, s6, -v7
	v_rndne_f32_e32 v14, v7
	v_fmac_f32_e32 v15, 0x32a5705f, v11
	v_sub_f32_e32 v12, v12, v16
	v_fmac_f32_e32 v13, 0x32a5705f, v8
	v_sub_f32_e32 v7, v7, v14
	v_add_f32_e32 v12, v12, v15
	v_cvt_i32_f32_e32 v16, v16
	v_add_f32_e32 v7, v7, v13
	v_exp_f32_e32 v12, v12
	v_cvt_i32_f32_e32 v14, v14
	v_exp_f32_e32 v7, v7
	v_cmp_ngt_f32_e32 vcc, s7, v11
	v_ldexp_f32 v12, v12, v16
	v_cmp_ngt_f32_e64 s[0:1], s7, v8
	v_ldexp_f32 v7, v7, v14
	v_cndmask_b32_e32 v12, 0, v12, vcc
	v_cmp_nlt_f32_e32 vcc, s8, v11
	v_cndmask_b32_e64 v7, 0, v7, s[0:1]
	v_cmp_nlt_f32_e64 s[0:1], s8, v8
	v_cndmask_b32_e32 v12, v5, v12, vcc
	v_cmp_le_f32_e32 vcc, s12, v11
	v_cndmask_b32_e64 v7, v5, v7, s[0:1]
	v_cmp_le_f32_e64 s[0:1], s12, v8
	v_cndmask_b32_e32 v8, 0, v12, vcc
	s_sub_i32 s4, s4, 32
	v_cndmask_b32_e64 v11, 0, v7, s[0:1]
	v_mul_f32_e32 v7, s15, v8
	v_add_u32_e32 v0, 0xfffff200, v0
	s_cmp_le_i32 s11, s9
	v_fmac_f32_e32 v7, v10, v11
	s_waitcnt vmcnt(0)
	v_mul_f32_e32 v8, v1, v8
	v_fmac_f32_e32 v8, v9, v11
	s_cbranch_scc0 .LBB21_3
	s_branch .LBB21_5
.LBB21_4:
	s_waitcnt lgkmcnt(0)
	v_mov_b32_e32 v7, s5
.LBB21_5:
	s_waitcnt vmcnt(0)
	v_div_scale_f32 v0, s[0:1], v7, v7, v8
	v_rcp_f32_e32 v1, v0
	v_div_scale_f32 v4, vcc, v8, v7, v8
	v_fma_f32 v5, -v0, v1, 1.0
	v_fmac_f32_e32 v1, v5, v1
	v_mul_f32_e32 v5, v4, v1
	v_fma_f32 v6, -v0, v5, v4
	v_fmac_f32_e32 v5, v6, v1
	v_fma_f32 v0, -v0, v5, v4
	v_div_fmas_f32 v0, v0, v1, v5
	v_div_fixup_f32 v0, v0, v7, v8
	global_store_dword v[2:3], v0, off
.LBB21_6:
	s_endpgm
	.section	.rodata,"a",@progbits
	.p2align	6, 0x0
	.amdhsa_kernel _ZL33flash_attn_stream_k_fixup_uniformILi112ELi16ELi2EEvPfPK15HIP_vector_typeIfLj2EEiiiiiiS1_IjLj3EES5_S5_
		.amdhsa_group_segment_fixed_size 0
		.amdhsa_private_segment_fixed_size 0
		.amdhsa_kernarg_size 76
		.amdhsa_user_sgpr_count 6
		.amdhsa_user_sgpr_private_segment_buffer 1
		.amdhsa_user_sgpr_dispatch_ptr 0
		.amdhsa_user_sgpr_queue_ptr 0
		.amdhsa_user_sgpr_kernarg_segment_ptr 1
		.amdhsa_user_sgpr_dispatch_id 0
		.amdhsa_user_sgpr_flat_scratch_init 0
		.amdhsa_user_sgpr_kernarg_preload_length 0
		.amdhsa_user_sgpr_kernarg_preload_offset 0
		.amdhsa_user_sgpr_private_segment_size 0
		.amdhsa_uses_dynamic_stack 0
		.amdhsa_system_sgpr_private_segment_wavefront_offset 0
		.amdhsa_system_sgpr_workgroup_id_x 1
		.amdhsa_system_sgpr_workgroup_id_y 1
		.amdhsa_system_sgpr_workgroup_id_z 1
		.amdhsa_system_sgpr_workgroup_info 0
		.amdhsa_system_vgpr_workitem_id 0
		.amdhsa_next_free_vgpr 17
		.amdhsa_next_free_sgpr 20
		.amdhsa_accum_offset 20
		.amdhsa_reserve_vcc 1
		.amdhsa_reserve_flat_scratch 0
		.amdhsa_float_round_mode_32 0
		.amdhsa_float_round_mode_16_64 0
		.amdhsa_float_denorm_mode_32 3
		.amdhsa_float_denorm_mode_16_64 3
		.amdhsa_dx10_clamp 1
		.amdhsa_ieee_mode 1
		.amdhsa_fp16_overflow 0
		.amdhsa_tg_split 0
		.amdhsa_exception_fp_ieee_invalid_op 0
		.amdhsa_exception_fp_denorm_src 0
		.amdhsa_exception_fp_ieee_div_zero 0
		.amdhsa_exception_fp_ieee_overflow 0
		.amdhsa_exception_fp_ieee_underflow 0
		.amdhsa_exception_fp_ieee_inexact 0
		.amdhsa_exception_int_div_zero 0
	.end_amdhsa_kernel
	.section	.text._ZL33flash_attn_stream_k_fixup_uniformILi112ELi16ELi2EEvPfPK15HIP_vector_typeIfLj2EEiiiiiiS1_IjLj3EES5_S5_,"axG",@progbits,_ZL33flash_attn_stream_k_fixup_uniformILi112ELi16ELi2EEvPfPK15HIP_vector_typeIfLj2EEiiiiiiS1_IjLj3EES5_S5_,comdat
.Lfunc_end21:
	.size	_ZL33flash_attn_stream_k_fixup_uniformILi112ELi16ELi2EEvPfPK15HIP_vector_typeIfLj2EEiiiiiiS1_IjLj3EES5_S5_, .Lfunc_end21-_ZL33flash_attn_stream_k_fixup_uniformILi112ELi16ELi2EEvPfPK15HIP_vector_typeIfLj2EEiiiiiiS1_IjLj3EES5_S5_
                                        ; -- End function
	.section	.AMDGPU.csdata,"",@progbits
; Kernel info:
; codeLenInByte = 856
; NumSgprs: 24
; NumVgprs: 17
; NumAgprs: 0
; TotalNumVgprs: 17
; ScratchSize: 0
; MemoryBound: 0
; FloatMode: 240
; IeeeMode: 1
; LDSByteSize: 0 bytes/workgroup (compile time only)
; SGPRBlocks: 2
; VGPRBlocks: 2
; NumSGPRsForWavesPerEU: 24
; NumVGPRsForWavesPerEU: 17
; AccumOffset: 20
; Occupancy: 8
; WaveLimiterHint : 0
; COMPUTE_PGM_RSRC2:SCRATCH_EN: 0
; COMPUTE_PGM_RSRC2:USER_SGPR: 6
; COMPUTE_PGM_RSRC2:TRAP_HANDLER: 0
; COMPUTE_PGM_RSRC2:TGID_X_EN: 1
; COMPUTE_PGM_RSRC2:TGID_Y_EN: 1
; COMPUTE_PGM_RSRC2:TGID_Z_EN: 1
; COMPUTE_PGM_RSRC2:TIDIG_COMP_CNT: 0
; COMPUTE_PGM_RSRC3_GFX90A:ACCUM_OFFSET: 4
; COMPUTE_PGM_RSRC3_GFX90A:TG_SPLIT: 0
	.section	.text._ZL33flash_attn_stream_k_fixup_generalILi112ELi16ELi2EEvPfPK15HIP_vector_typeIfLj2EEiiiiS1_IjLj3EES5_S5_S5_,"axG",@progbits,_ZL33flash_attn_stream_k_fixup_generalILi112ELi16ELi2EEvPfPK15HIP_vector_typeIfLj2EEiiiiS1_IjLj3EES5_S5_S5_,comdat
	.globl	_ZL33flash_attn_stream_k_fixup_generalILi112ELi16ELi2EEvPfPK15HIP_vector_typeIfLj2EEiiiiS1_IjLj3EES5_S5_S5_ ; -- Begin function _ZL33flash_attn_stream_k_fixup_generalILi112ELi16ELi2EEvPfPK15HIP_vector_typeIfLj2EEiiiiS1_IjLj3EES5_S5_S5_
	.p2align	8
	.type	_ZL33flash_attn_stream_k_fixup_generalILi112ELi16ELi2EEvPfPK15HIP_vector_typeIfLj2EEiiiiS1_IjLj3EES5_S5_S5_,@function
_ZL33flash_attn_stream_k_fixup_generalILi112ELi16ELi2EEvPfPK15HIP_vector_typeIfLj2EEiiiiS1_IjLj3EES5_S5_S5_: ; @_ZL33flash_attn_stream_k_fixup_generalILi112ELi16ELi2EEvPfPK15HIP_vector_typeIfLj2EEiiiiS1_IjLj3EES5_S5_S5_
; %bb.0:
	s_load_dwordx4 s[12:15], s[4:5], 0x10
	s_load_dword s9, s[4:5], 0x50
	s_mov_b32 s2, 0
	s_waitcnt lgkmcnt(0)
	s_mul_hi_i32 s3, s15, s6
	s_cmp_lg_u64 s[2:3], 0
	s_mul_i32 s2, s15, s6
	s_cbranch_scc0 .LBB22_21
; %bb.1:
	v_cvt_f32_u32_e32 v1, s9
	v_cvt_f32_ubyte0_e32 v2, 0
	s_sub_u32 s10, 0, s9
	s_subb_u32 s11, 0, 0
	v_madmk_f32 v1, v2, 0x4f800000, v1
	v_rcp_f32_e32 v1, v1
	v_mul_f32_e32 v1, 0x5f7ffffc, v1
	v_mul_f32_e32 v2, 0x2f800000, v1
	v_trunc_f32_e32 v2, v2
	v_madmk_f32 v1, v2, 0xcf800000, v1
	v_cvt_u32_f32_e32 v2, v2
	v_cvt_u32_f32_e32 v1, v1
	v_readfirstlane_b32 s16, v2
	v_readfirstlane_b32 s17, v1
	s_mul_i32 s18, s10, s16
	s_mul_hi_u32 s20, s10, s17
	s_mul_i32 s19, s11, s17
	s_add_i32 s18, s20, s18
	s_add_i32 s18, s18, s19
	s_mul_i32 s21, s10, s17
	s_mul_hi_u32 s19, s17, s18
	s_mul_i32 s20, s17, s18
	s_mul_hi_u32 s17, s17, s21
	s_add_u32 s17, s17, s20
	s_addc_u32 s19, 0, s19
	s_mul_hi_u32 s22, s16, s21
	s_mul_i32 s21, s16, s21
	s_add_u32 s17, s17, s21
	s_mul_hi_u32 s20, s16, s18
	s_addc_u32 s17, s19, s22
	s_addc_u32 s19, s20, 0
	s_mul_i32 s18, s16, s18
	s_add_u32 s17, s17, s18
	s_addc_u32 s18, 0, s19
	v_add_co_u32_e32 v1, vcc, s17, v1
	s_cmp_lg_u64 vcc, 0
	s_addc_u32 s16, s16, s18
	v_readfirstlane_b32 s18, v1
	s_mul_i32 s17, s10, s16
	s_mul_hi_u32 s19, s10, s18
	s_add_i32 s17, s19, s17
	s_mul_i32 s11, s11, s18
	s_add_i32 s17, s17, s11
	s_mul_i32 s10, s10, s18
	s_mul_hi_u32 s19, s16, s10
	s_mul_i32 s20, s16, s10
	s_mul_i32 s22, s18, s17
	s_mul_hi_u32 s10, s18, s10
	s_mul_hi_u32 s21, s18, s17
	s_add_u32 s10, s10, s22
	s_addc_u32 s18, 0, s21
	s_add_u32 s10, s10, s20
	s_mul_hi_u32 s11, s16, s17
	s_addc_u32 s10, s18, s19
	s_addc_u32 s11, s11, 0
	s_mul_i32 s17, s16, s17
	s_add_u32 s10, s10, s17
	s_addc_u32 s11, 0, s11
	v_add_co_u32_e32 v1, vcc, s10, v1
	s_cmp_lg_u64 vcc, 0
	s_addc_u32 s18, s16, s11
	s_ashr_i32 s10, s3, 31
	s_add_u32 s16, s2, s10
	s_mov_b32 s11, s10
	s_addc_u32 s17, s3, s10
	s_xor_b64 s[16:17], s[16:17], s[10:11]
	v_readfirstlane_b32 s20, v1
	s_mul_i32 s19, s16, s18
	s_mul_hi_u32 s21, s16, s20
	s_mul_hi_u32 s3, s16, s18
	s_add_u32 s19, s21, s19
	s_addc_u32 s3, 0, s3
	s_mul_hi_u32 s22, s17, s20
	s_mul_i32 s20, s17, s20
	s_add_u32 s19, s19, s20
	s_mul_hi_u32 s21, s17, s18
	s_addc_u32 s3, s3, s22
	s_addc_u32 s19, s21, 0
	s_mul_i32 s18, s17, s18
	s_add_u32 s3, s3, s18
	s_addc_u32 s18, 0, s19
	s_add_u32 s19, s3, 1
	s_addc_u32 s20, s18, 0
	s_add_u32 s21, s3, 2
	s_mul_i32 s23, s9, s18
	s_mul_hi_u32 s24, s9, s3
	s_addc_u32 s22, s18, 0
	s_add_i32 s24, s24, s23
	s_mul_i32 s23, s9, s3
	v_mov_b32_e32 v1, s23
	v_sub_co_u32_e32 v1, vcc, s16, v1
	s_cmp_lg_u64 vcc, 0
	s_subb_u32 s16, s17, s24
	v_subrev_co_u32_e32 v2, vcc, s9, v1
	s_cmp_lg_u64 vcc, 0
	s_subb_u32 s17, s16, 0
	v_readfirstlane_b32 s23, v2
	s_cmp_ge_u32 s23, s9
	s_cselect_b32 s23, -1, 0
	s_cmp_eq_u32 s17, 0
	s_cselect_b32 s17, s23, -1
	s_cmp_lg_u32 s17, 0
	s_cselect_b32 s17, s22, s20
	v_readfirstlane_b32 s20, v1
	s_cselect_b32 s19, s21, s19
	s_cmp_ge_u32 s20, s9
	s_cselect_b32 s20, -1, 0
	s_cmp_eq_u32 s16, 0
	s_cselect_b32 s16, s20, -1
	s_cmp_lg_u32 s16, 0
	s_cselect_b32 s17, s17, s18
	s_cselect_b32 s16, s19, s3
	s_xor_b64 s[16:17], s[16:17], s[10:11]
	s_sub_u32 s20, s16, s10
	s_load_dwordx4 s[16:19], s[4:5], 0x44
	s_cbranch_execnz .LBB22_3
.LBB22_2:
	v_cvt_f32_u32_e32 v1, s9
	s_sub_i32 s0, 0, s9
	v_rcp_iflag_f32_e32 v1, v1
	v_mul_f32_e32 v1, 0x4f7ffffe, v1
	v_cvt_u32_f32_e32 v1, v1
	v_readfirstlane_b32 s1, v1
	s_mul_i32 s0, s0, s1
	s_mul_hi_u32 s0, s1, s0
	s_add_i32 s1, s1, s0
	s_mul_hi_u32 s0, s2, s1
	s_mul_i32 s3, s0, s9
	s_sub_i32 s2, s2, s3
	s_add_i32 s1, s0, 1
	s_sub_i32 s3, s2, s9
	s_cmp_ge_u32 s2, s9
	s_cselect_b32 s0, s1, s0
	s_cselect_b32 s2, s3, s2
	s_add_i32 s1, s0, 1
	s_cmp_ge_u32 s2, s9
	s_cselect_b32 s20, s1, s0
.LBB22_3:
	s_add_i32 s0, s6, 1
	s_mul_hi_i32 s3, s15, s0
	s_mov_b32 s2, 0
	s_cmp_lg_u64 s[2:3], 0
	s_mul_i32 s2, s15, s0
	s_cbranch_scc0 .LBB22_22
; %bb.4:
	v_cvt_f32_u32_e32 v1, s9
	v_cvt_f32_ubyte0_e32 v2, 0
	s_sub_u32 s10, 0, s9
	s_subb_u32 s11, 0, 0
	v_madmk_f32 v1, v2, 0x4f800000, v1
	v_rcp_f32_e32 v1, v1
	v_mul_f32_e32 v1, 0x5f7ffffc, v1
	v_mul_f32_e32 v2, 0x2f800000, v1
	v_trunc_f32_e32 v2, v2
	v_madmk_f32 v1, v2, 0xcf800000, v1
	v_cvt_u32_f32_e32 v2, v2
	v_cvt_u32_f32_e32 v1, v1
	s_waitcnt lgkmcnt(0)
	v_readfirstlane_b32 s19, v2
	v_readfirstlane_b32 s21, v1
	s_mul_i32 s22, s10, s19
	s_mul_hi_u32 s24, s10, s21
	s_mul_i32 s23, s11, s21
	s_add_i32 s22, s24, s22
	s_add_i32 s22, s22, s23
	s_mul_i32 s25, s10, s21
	s_mul_hi_u32 s23, s21, s22
	s_mul_i32 s24, s21, s22
	s_mul_hi_u32 s21, s21, s25
	s_add_u32 s21, s21, s24
	s_addc_u32 s23, 0, s23
	s_mul_hi_u32 s26, s19, s25
	s_mul_i32 s25, s19, s25
	s_add_u32 s21, s21, s25
	s_mul_hi_u32 s24, s19, s22
	s_addc_u32 s21, s23, s26
	s_addc_u32 s23, s24, 0
	s_mul_i32 s22, s19, s22
	s_add_u32 s21, s21, s22
	s_addc_u32 s22, 0, s23
	v_add_co_u32_e32 v1, vcc, s21, v1
	s_cmp_lg_u64 vcc, 0
	s_addc_u32 s19, s19, s22
	v_readfirstlane_b32 s22, v1
	s_mul_i32 s21, s10, s19
	s_mul_hi_u32 s23, s10, s22
	s_add_i32 s21, s23, s21
	s_mul_i32 s11, s11, s22
	s_add_i32 s21, s21, s11
	s_mul_i32 s10, s10, s22
	s_mul_hi_u32 s23, s19, s10
	s_mul_i32 s24, s19, s10
	s_mul_i32 s26, s22, s21
	s_mul_hi_u32 s10, s22, s10
	s_mul_hi_u32 s25, s22, s21
	s_add_u32 s10, s10, s26
	s_addc_u32 s22, 0, s25
	s_add_u32 s10, s10, s24
	s_mul_hi_u32 s11, s19, s21
	s_addc_u32 s10, s22, s23
	s_addc_u32 s11, s11, 0
	s_mul_i32 s21, s19, s21
	s_add_u32 s10, s10, s21
	s_addc_u32 s11, 0, s11
	v_add_co_u32_e32 v1, vcc, s10, v1
	s_cmp_lg_u64 vcc, 0
	s_addc_u32 s19, s19, s11
	s_ashr_i32 s10, s3, 31
	s_add_u32 s22, s2, s10
	s_mov_b32 s11, s10
	s_addc_u32 s23, s3, s10
	s_xor_b64 s[22:23], s[22:23], s[10:11]
	v_readfirstlane_b32 s21, v1
	s_mul_i32 s11, s22, s19
	s_mul_hi_u32 s24, s22, s21
	s_mul_hi_u32 s3, s22, s19
	s_add_u32 s11, s24, s11
	s_addc_u32 s3, 0, s3
	s_mul_hi_u32 s25, s23, s21
	s_mul_i32 s21, s23, s21
	s_add_u32 s11, s11, s21
	s_mul_hi_u32 s24, s23, s19
	s_addc_u32 s3, s3, s25
	s_addc_u32 s11, s24, 0
	s_mul_i32 s19, s23, s19
	s_add_u32 s3, s3, s19
	s_addc_u32 s11, 0, s11
	s_mul_i32 s11, s9, s11
	s_mul_hi_u32 s24, s9, s3
	s_add_i32 s24, s24, s11
	s_mul_i32 s11, s9, s3
	v_mov_b32_e32 v1, s11
	s_add_u32 s19, s3, 1
	s_add_u32 s21, s3, 2
	v_sub_co_u32_e32 v1, vcc, s22, v1
	s_cmp_lg_u64 vcc, 0
	s_subb_u32 s11, s23, s24
	v_subrev_co_u32_e32 v2, vcc, s9, v1
	s_cmp_lg_u64 vcc, 0
	s_subb_u32 s22, s11, 0
	v_cmp_le_u32_e32 vcc, s9, v2
	s_cmp_eq_u32 s22, 0
	v_cndmask_b32_e64 v2, 0, -1, vcc
	s_cselect_b64 vcc, -1, 0
	v_cndmask_b32_e32 v2, -1, v2, vcc
	v_mov_b32_e32 v3, s19
	v_mov_b32_e32 v4, s21
	v_cmp_ne_u32_e32 vcc, 0, v2
	v_cndmask_b32_e32 v2, v3, v4, vcc
	v_cmp_le_u32_e32 vcc, s9, v1
	s_cmp_eq_u32 s11, 0
	v_cndmask_b32_e64 v1, 0, -1, vcc
	s_cselect_b64 vcc, -1, 0
	v_cndmask_b32_e32 v1, -1, v1, vcc
	v_mov_b32_e32 v3, s3
	v_cmp_ne_u32_e32 vcc, 0, v1
	v_cndmask_b32_e32 v1, v3, v2, vcc
	v_xor_b32_e32 v1, s10, v1
	v_subrev_co_u32_e32 v2, vcc, s10, v1
	s_cbranch_execnz .LBB22_6
.LBB22_5:
	v_cvt_f32_u32_e32 v1, s9
	s_sub_i32 s0, 0, s9
	s_mov_b32 s1, 0
	v_rcp_iflag_f32_e32 v1, v1
	v_mul_f32_e32 v1, 0x4f7ffffe, v1
	v_cvt_u32_f32_e32 v1, v1
	v_readfirstlane_b32 s3, v1
	s_mul_i32 s0, s0, s3
	s_mul_hi_u32 s0, s3, s0
	s_add_i32 s3, s3, s0
	s_mul_hi_u32 s0, s2, s3
	s_mul_i32 s10, s0, s9
	s_sub_i32 s2, s2, s10
	s_add_i32 s3, s0, 1
	s_sub_i32 s10, s2, s9
	s_cmp_ge_u32 s2, s9
	s_cselect_b32 s0, s3, s0
	s_cselect_b32 s2, s10, s2
	s_add_i32 s3, s0, 1
	s_cmp_ge_u32 s2, s9
	s_cselect_b32 s0, s3, s0
	v_pk_mov_b32 v[2:3], s[0:1], s[0:1] op_sel:[0,1]
.LBB22_6:
	s_waitcnt lgkmcnt(0)
	s_mul_hi_u32 s0, s20, s16
	s_add_i32 s0, s0, s20
	v_mul_hi_u32 v1, v2, s16
	s_lshr_b32 s19, s0, s17
	v_add_u32_e32 v1, v1, v2
	s_mul_i32 s0, s19, s18
	v_lshrrev_b32_e32 v1, s17, v1
	s_cmp_eq_u32 s0, s20
	v_cmp_eq_u32_e64 s[0:1], s19, v1
	v_mul_lo_u32 v1, v1, s18
	v_cmp_eq_u32_e32 vcc, s20, v2
	s_cselect_b64 s[10:11], -1, 0
	v_cmp_ne_u32_e64 s[2:3], v1, v2
	s_and_b64 s[0:1], s[0:1], s[2:3]
	s_or_b64 s[2:3], vcc, s[10:11]
	s_or_b64 s[0:1], s[2:3], s[0:1]
	s_and_b64 vcc, exec, s[0:1]
	s_cbranch_vccnz .LBB22_24
; %bb.7:
	s_load_dwordx8 s[24:31], s[4:5], 0x20
	s_load_dword s0, s[4:5], 0x40
	s_mov_b32 s10, 0
	s_waitcnt lgkmcnt(0)
	s_mul_hi_u32 s1, s20, s24
	s_add_i32 s1, s1, s20
	s_lshr_b32 s11, s1, s25
	s_mul_i32 s1, s11, s26
	s_sub_i32 s1, s20, s1
	s_mul_hi_u32 s2, s1, s27
	s_add_i32 s2, s1, s2
	s_lshr_b32 s23, s2, s28
	s_mul_i32 s2, s23, s29
	s_sub_i32 s1, s1, s2
	;; [unrolled: 5-line block ×3, first 2 shown]
	s_mul_hi_u32 s1, s0, s16
	s_add_i32 s0, s0, s1
	s_lshr_b32 s24, s0, s17
	s_lshl_b32 s0, s24, 4
	s_lshl_b32 s25, s2, 1
	s_add_i32 s0, s0, s7
	s_cmp_lt_i32 s0, s12
	s_cselect_b64 s[0:1], -1, 0
	s_add_i32 s25, s25, s8
	s_cmp_lt_i32 s25, s14
	s_cselect_b64 s[2:3], -1, 0
	s_and_b64 s[0:1], s[0:1], s[2:3]
	s_andn2_b64 vcc, exec, s[0:1]
	s_cbranch_vccnz .LBB22_24
; %bb.8:
	s_load_dwordx4 s[0:3], s[4:5], 0x0
	s_lshl_b32 s4, s7, 1
	s_add_i32 s8, s4, s8
	s_lshl_b32 s4, s9, 7
	s_mov_b32 s5, s10
	s_lshl_b64 s[4:5], s[4:5], 2
	s_waitcnt lgkmcnt(0)
	s_add_u32 s21, s2, s4
	s_mul_i32 s4, s11, s12
	s_addc_u32 s22, s3, s5
	s_mul_i32 s23, s23, s14
	s_add_i32 s4, s4, s7
	s_mul_i32 s4, s4, s13
	s_add_i32 s7, s25, s23
	;; [unrolled: 2-line block ×3, first 2 shown]
	s_mulk_i32 s5, 0x700
	s_mulk_i32 s4, 0x70
	s_add_i32 s5, s5, s4
	v_add_u32_e32 v2, s5, v0
	v_ashrrev_i32_e32 v3, 31, v2
	v_lshlrev_b64 v[2:3], 2, v[2:3]
	v_mov_b32_e32 v1, s1
	v_add_co_u32_e32 v2, vcc, s0, v2
	v_addc_co_u32_e32 v3, vcc, v1, v3, vcc
	global_load_dword v5, v[2:3], off
	s_mul_i32 s4, s8, 0x70
	v_add_u32_e32 v4, s4, v0
	v_cvt_f32_u32_e32 v0, s9
	v_cvt_f32_ubyte0_e32 v1, 0
	s_lshl_b32 s0, s6, 5
	s_add_i32 s0, s8, s0
	v_mac_f32_e32 v0, 0x4f800000, v1
	v_rcp_f32_e32 v0, v0
	v_cvt_f32_u32_e32 v1, s9
	s_ashr_i32 s1, s0, 31
	s_lshl_b64 s[0:1], s[0:1], 3
	v_mul_f32_e32 v0, 0x5f7ffffc, v0
	v_rcp_iflag_f32_e32 v1, v1
	s_add_u32 s0, s2, s0
	v_mul_f32_e32 v9, 0x2f800000, v0
	s_addc_u32 s1, s3, s1
	v_trunc_f32_e32 v10, v9
	s_load_dwordx2 s[0:1], s[0:1], 0x0
	v_mac_f32_e32 v0, 0xcf800000, v10
	v_cvt_u32_f32_e32 v9, v0
	v_mul_f32_e32 v0, 0x4f7ffffe, v1
	v_cvt_u32_f32_e32 v10, v10
	v_cvt_u32_f32_e32 v11, v0
	s_add_i32 s12, s6, -1
	s_waitcnt lgkmcnt(0)
	v_mov_b32_e32 v6, s1
	v_mov_b32_e32 v7, s0
	;; [unrolled: 1-line block ×3, first 2 shown]
	s_mov_b32 s6, 0x3fb8aa3b
	s_mov_b32 s7, 0xc2ce8ed0
	;; [unrolled: 1-line block ×4, first 2 shown]
	v_mov_b32_e32 v12, 0x7f800000
	s_mul_hi_i32 s11, s12, s15
	s_cmp_lg_u64 s[10:11], 0
	s_mul_i32 s4, s12, s15
	s_cbranch_scc0 .LBB22_15
.LBB22_9:
	s_sub_u32 s0, 0, s9
	v_readfirstlane_b32 s5, v9
	v_readfirstlane_b32 s24, v10
	s_subb_u32 s1, 0, 0
	s_mul_hi_u32 s23, s0, s5
	s_mul_i32 s25, s0, s24
	s_mul_i32 s20, s1, s5
	s_add_i32 s23, s23, s25
	s_add_i32 s23, s23, s20
	s_mul_i32 s26, s0, s5
	s_mul_hi_u32 s20, s5, s23
	s_mul_i32 s25, s5, s23
	s_mul_hi_u32 s5, s5, s26
	s_add_u32 s5, s5, s25
	s_addc_u32 s20, 0, s20
	s_mul_hi_u32 s27, s24, s26
	s_mul_i32 s26, s24, s26
	s_add_u32 s5, s5, s26
	s_mul_hi_u32 s25, s24, s23
	s_addc_u32 s5, s20, s27
	s_addc_u32 s20, s25, 0
	s_mul_i32 s23, s24, s23
	s_add_u32 s5, s5, s23
	s_addc_u32 s20, 0, s20
	v_add_co_u32_e32 v0, vcc, s5, v9
	s_cmp_lg_u64 vcc, 0
	s_addc_u32 s5, s24, s20
	v_readfirstlane_b32 s23, v0
	s_mul_i32 s20, s0, s5
	s_mul_hi_u32 s24, s0, s23
	s_add_i32 s20, s24, s20
	s_mul_i32 s1, s1, s23
	s_add_i32 s20, s20, s1
	s_mul_i32 s0, s0, s23
	s_mul_hi_u32 s24, s5, s0
	s_mul_i32 s25, s5, s0
	s_mul_i32 s27, s23, s20
	s_mul_hi_u32 s0, s23, s0
	s_mul_hi_u32 s26, s23, s20
	s_add_u32 s0, s0, s27
	s_addc_u32 s23, 0, s26
	s_add_u32 s0, s0, s25
	s_mul_hi_u32 s1, s5, s20
	s_addc_u32 s0, s23, s24
	s_addc_u32 s1, s1, 0
	s_mul_i32 s20, s5, s20
	s_add_u32 s0, s0, s20
	s_addc_u32 s1, 0, s1
	v_add_co_u32_e32 v0, vcc, s0, v0
	s_cmp_lg_u64 vcc, 0
	s_addc_u32 s5, s5, s1
	s_ashr_i32 s0, s11, 31
	s_add_u32 s24, s4, s0
	s_mov_b32 s1, s0
	s_addc_u32 s25, s11, s0
	s_xor_b64 s[24:25], s[24:25], s[0:1]
	v_readfirstlane_b32 s20, v0
	s_mul_i32 s11, s24, s5
	s_mul_hi_u32 s23, s24, s20
	s_mul_hi_u32 s1, s24, s5
	s_add_u32 s11, s23, s11
	s_addc_u32 s1, 0, s1
	s_mul_hi_u32 s26, s25, s20
	s_mul_i32 s20, s25, s20
	s_add_u32 s11, s11, s20
	s_mul_hi_u32 s23, s25, s5
	s_addc_u32 s1, s1, s26
	s_addc_u32 s11, s23, 0
	s_mul_i32 s5, s25, s5
	s_add_u32 s1, s1, s5
	s_addc_u32 s5, 0, s11
	s_mul_i32 s5, s9, s5
	s_mul_hi_u32 s23, s9, s1
	s_add_i32 s23, s23, s5
	s_mul_i32 s5, s9, s1
	v_mov_b32_e32 v0, s5
	s_add_u32 s11, s1, 1
	s_add_u32 s20, s1, 2
	v_sub_co_u32_e32 v0, vcc, s24, v0
	s_cmp_lg_u64 vcc, 0
	s_subb_u32 s5, s25, s23
	v_subrev_co_u32_e32 v1, vcc, s9, v0
	s_cmp_lg_u64 vcc, 0
	s_subb_u32 s23, s5, 0
	v_cmp_le_u32_e32 vcc, s9, v1
	s_cmp_eq_u32 s23, 0
	v_cndmask_b32_e64 v1, 0, -1, vcc
	s_cselect_b64 vcc, -1, 0
	v_cndmask_b32_e32 v1, -1, v1, vcc
	v_mov_b32_e32 v13, s11
	v_mov_b32_e32 v14, s20
	v_cmp_ne_u32_e32 vcc, 0, v1
	v_cndmask_b32_e32 v1, v13, v14, vcc
	v_cmp_le_u32_e32 vcc, s9, v0
	s_cmp_eq_u32 s5, 0
	v_cndmask_b32_e64 v0, 0, -1, vcc
	s_cselect_b64 vcc, -1, 0
	v_cndmask_b32_e32 v0, -1, v0, vcc
	v_mov_b32_e32 v13, s1
	v_cmp_ne_u32_e32 vcc, 0, v0
	v_cndmask_b32_e32 v0, v13, v1, vcc
	v_xor_b32_e32 v0, s0, v0
	v_subrev_co_u32_e32 v0, vcc, s0, v0
	s_cbranch_execnz .LBB22_11
.LBB22_10:
	s_sub_i32 s0, 0, s9
	v_mul_lo_u32 v0, s0, v11
	v_mul_hi_u32 v0, v11, v0
	v_add_u32_e32 v0, v11, v0
	v_mul_hi_u32 v0, s4, v0
	v_mul_lo_u32 v13, v0, s9
	v_sub_u32_e32 v13, s4, v13
	v_add_u32_e32 v1, 1, v0
	v_subrev_u32_e32 v14, s9, v13
	v_cmp_le_u32_e32 vcc, s9, v13
	v_cndmask_b32_e32 v13, v13, v14, vcc
	v_cndmask_b32_e32 v0, v0, v1, vcc
	v_add_u32_e32 v1, 1, v0
	v_cmp_le_u32_e32 vcc, s9, v13
	v_cndmask_b32_e32 v0, v0, v1, vcc
.LBB22_11:
	v_cmp_ne_u32_e32 vcc, v8, v0
	s_cbranch_vccz .LBB22_14
; %bb.12:
	s_add_i32 s0, s12, s9
	s_lshl_b32 s0, s0, 5
	v_mul_hi_u32 v1, v0, s16
	s_add_i32 s0, s0, s8
	s_mov_b32 s1, s10
	v_add_u32_e32 v1, v1, v0
	s_lshl_b64 s[0:1], s[0:1], 3
	v_lshrrev_b32_e32 v1, s17, v1
	s_add_u32 s4, s2, s0
	v_mul_lo_u32 v13, v1, s18
	s_addc_u32 s5, s3, s1
	v_cmp_eq_u32_e32 vcc, v13, v0
	v_cmp_gt_u32_e64 s[0:1], s19, v1
	s_or_b64 s[0:1], s[0:1], vcc
	s_and_b64 vcc, exec, s[0:1]
	s_cbranch_vccnz .LBB22_16
; %bb.13:
	s_add_i32 s11, s12, -1
	s_mov_b64 s[0:1], 0
	s_branch .LBB22_17
.LBB22_14:
                                        ; implicit-def: $sgpr0_sgpr1
                                        ; implicit-def: $vgpr14
                                        ; implicit-def: $vgpr1
                                        ; implicit-def: $vgpr13
                                        ; implicit-def: $sgpr11
                                        ; implicit-def: $vgpr0
	s_branch .LBB22_18
.LBB22_15:
                                        ; implicit-def: $vgpr0_vgpr1
	s_branch .LBB22_10
.LBB22_16:
	s_mov_b64 s[0:1], -1
	s_mov_b32 s11, s12
	v_mov_b32_e32 v0, v8
.LBB22_17:
	s_mul_i32 s20, s12, 0xe00
	v_add_u32_e32 v14, s20, v4
	v_ashrrev_i32_e32 v15, 31, v14
	v_lshlrev_b64 v[14:15], 2, v[14:15]
	v_mov_b32_e32 v1, s22
	v_add_co_u32_e32 v14, vcc, s21, v14
	v_addc_co_u32_e32 v15, vcc, v1, v15, vcc
	global_load_dword v14, v[14:15], off
	s_load_dwordx2 s[4:5], s[4:5], 0x0
	v_max_f32_e32 v1, v7, v7
	s_waitcnt lgkmcnt(0)
	v_max_f32_e64 v13, s4, s4
	v_max_f32_e32 v1, v1, v13
	v_sub_f32_e32 v13, v7, v1
	v_sub_f32_e32 v15, s4, v1
	v_mul_f32_e32 v16, 0x3fb8aa3b, v13
	v_mul_f32_e32 v17, 0x3fb8aa3b, v15
	v_fma_f32 v18, v13, s6, -v16
	v_rndne_f32_e32 v19, v16
	v_fma_f32 v20, v15, s6, -v17
	v_rndne_f32_e32 v21, v17
	v_fmac_f32_e32 v18, 0x32a5705f, v13
	v_sub_f32_e32 v16, v16, v19
	v_fmac_f32_e32 v20, 0x32a5705f, v15
	v_sub_f32_e32 v17, v17, v21
	v_add_f32_e32 v16, v16, v18
	v_cvt_i32_f32_e32 v19, v19
	v_add_f32_e32 v17, v17, v20
	v_exp_f32_e32 v16, v16
	v_cvt_i32_f32_e32 v21, v21
	v_exp_f32_e32 v17, v17
	v_cmp_ngt_f32_e32 vcc, s7, v13
	v_ldexp_f32 v16, v16, v19
	v_cndmask_b32_e32 v16, 0, v16, vcc
	v_ldexp_f32 v17, v17, v21
	v_cmp_ngt_f32_e32 vcc, s7, v15
	v_cndmask_b32_e32 v17, 0, v17, vcc
	v_cmp_nlt_f32_e32 vcc, s13, v13
	v_cndmask_b32_e32 v16, v12, v16, vcc
	v_cmp_nlt_f32_e32 vcc, s13, v15
	v_cndmask_b32_e32 v17, v12, v17, vcc
	v_cmp_le_f32_e32 vcc, s14, v13
	v_cndmask_b32_e32 v16, 0, v16, vcc
	v_cmp_le_f32_e32 vcc, s14, v15
	v_cndmask_b32_e32 v15, 0, v17, vcc
	v_mul_f32_e32 v13, s5, v15
	v_fmac_f32_e32 v13, v6, v16
	s_waitcnt vmcnt(0)
	v_mul_f32_e32 v14, v14, v15
	v_fmac_f32_e32 v14, v5, v16
	s_cbranch_execnz .LBB22_19
.LBB22_18:
	s_add_i32 s11, s12, -1
	s_mov_b64 s[0:1], 0
	v_mov_b32_e32 v0, v8
	v_mov_b32_e32 v13, v6
	;; [unrolled: 1-line block ×3, first 2 shown]
	s_waitcnt vmcnt(0)
	v_mov_b32_e32 v14, v5
.LBB22_19:
	s_andn2_b64 vcc, exec, s[0:1]
	s_cbranch_vccz .LBB22_23
; %bb.20:
	v_mov_b32_e32 v8, v0
	s_mov_b32 s12, s11
	v_mov_b32_e32 v6, v13
	v_mov_b32_e32 v7, v1
	s_waitcnt vmcnt(0)
	v_mov_b32_e32 v5, v14
	s_mul_hi_i32 s11, s12, s15
	s_cmp_lg_u64 s[10:11], 0
	s_mul_i32 s4, s12, s15
	s_cbranch_scc1 .LBB22_9
	s_branch .LBB22_15
.LBB22_21:
                                        ; implicit-def: $sgpr20_sgpr21
	s_load_dwordx4 s[16:19], s[4:5], 0x44
	s_branch .LBB22_2
.LBB22_22:
                                        ; implicit-def: $vgpr2_vgpr3
	s_branch .LBB22_5
.LBB22_23:
	v_div_scale_f32 v0, s[0:1], v13, v13, v14
	v_rcp_f32_e32 v1, v0
	v_div_scale_f32 v4, vcc, v14, v13, v14
	s_waitcnt vmcnt(0)
	v_fma_f32 v5, -v0, v1, 1.0
	v_fmac_f32_e32 v1, v5, v1
	v_mul_f32_e32 v5, v4, v1
	v_fma_f32 v6, -v0, v5, v4
	v_fmac_f32_e32 v5, v6, v1
	v_fma_f32 v0, -v0, v5, v4
	v_div_fmas_f32 v0, v0, v1, v5
	v_div_fixup_f32 v0, v0, v13, v14
	global_store_dword v[2:3], v0, off
.LBB22_24:
	s_endpgm
	.section	.rodata,"a",@progbits
	.p2align	6, 0x0
	.amdhsa_kernel _ZL33flash_attn_stream_k_fixup_generalILi112ELi16ELi2EEvPfPK15HIP_vector_typeIfLj2EEiiiiS1_IjLj3EES5_S5_S5_
		.amdhsa_group_segment_fixed_size 0
		.amdhsa_private_segment_fixed_size 0
		.amdhsa_kernarg_size 336
		.amdhsa_user_sgpr_count 6
		.amdhsa_user_sgpr_private_segment_buffer 1
		.amdhsa_user_sgpr_dispatch_ptr 0
		.amdhsa_user_sgpr_queue_ptr 0
		.amdhsa_user_sgpr_kernarg_segment_ptr 1
		.amdhsa_user_sgpr_dispatch_id 0
		.amdhsa_user_sgpr_flat_scratch_init 0
		.amdhsa_user_sgpr_kernarg_preload_length 0
		.amdhsa_user_sgpr_kernarg_preload_offset 0
		.amdhsa_user_sgpr_private_segment_size 0
		.amdhsa_uses_dynamic_stack 0
		.amdhsa_system_sgpr_private_segment_wavefront_offset 0
		.amdhsa_system_sgpr_workgroup_id_x 1
		.amdhsa_system_sgpr_workgroup_id_y 1
		.amdhsa_system_sgpr_workgroup_id_z 1
		.amdhsa_system_sgpr_workgroup_info 0
		.amdhsa_system_vgpr_workitem_id 0
		.amdhsa_next_free_vgpr 22
		.amdhsa_next_free_sgpr 32
		.amdhsa_accum_offset 24
		.amdhsa_reserve_vcc 1
		.amdhsa_reserve_flat_scratch 0
		.amdhsa_float_round_mode_32 0
		.amdhsa_float_round_mode_16_64 0
		.amdhsa_float_denorm_mode_32 3
		.amdhsa_float_denorm_mode_16_64 3
		.amdhsa_dx10_clamp 1
		.amdhsa_ieee_mode 1
		.amdhsa_fp16_overflow 0
		.amdhsa_tg_split 0
		.amdhsa_exception_fp_ieee_invalid_op 0
		.amdhsa_exception_fp_denorm_src 0
		.amdhsa_exception_fp_ieee_div_zero 0
		.amdhsa_exception_fp_ieee_overflow 0
		.amdhsa_exception_fp_ieee_underflow 0
		.amdhsa_exception_fp_ieee_inexact 0
		.amdhsa_exception_int_div_zero 0
	.end_amdhsa_kernel
	.section	.text._ZL33flash_attn_stream_k_fixup_generalILi112ELi16ELi2EEvPfPK15HIP_vector_typeIfLj2EEiiiiS1_IjLj3EES5_S5_S5_,"axG",@progbits,_ZL33flash_attn_stream_k_fixup_generalILi112ELi16ELi2EEvPfPK15HIP_vector_typeIfLj2EEiiiiS1_IjLj3EES5_S5_S5_,comdat
.Lfunc_end22:
	.size	_ZL33flash_attn_stream_k_fixup_generalILi112ELi16ELi2EEvPfPK15HIP_vector_typeIfLj2EEiiiiS1_IjLj3EES5_S5_S5_, .Lfunc_end22-_ZL33flash_attn_stream_k_fixup_generalILi112ELi16ELi2EEvPfPK15HIP_vector_typeIfLj2EEiiiiS1_IjLj3EES5_S5_S5_
                                        ; -- End function
	.section	.AMDGPU.csdata,"",@progbits
; Kernel info:
; codeLenInByte = 2828
; NumSgprs: 36
; NumVgprs: 22
; NumAgprs: 0
; TotalNumVgprs: 22
; ScratchSize: 0
; MemoryBound: 0
; FloatMode: 240
; IeeeMode: 1
; LDSByteSize: 0 bytes/workgroup (compile time only)
; SGPRBlocks: 4
; VGPRBlocks: 2
; NumSGPRsForWavesPerEU: 36
; NumVGPRsForWavesPerEU: 22
; AccumOffset: 24
; Occupancy: 8
; WaveLimiterHint : 0
; COMPUTE_PGM_RSRC2:SCRATCH_EN: 0
; COMPUTE_PGM_RSRC2:USER_SGPR: 6
; COMPUTE_PGM_RSRC2:TRAP_HANDLER: 0
; COMPUTE_PGM_RSRC2:TGID_X_EN: 1
; COMPUTE_PGM_RSRC2:TGID_Y_EN: 1
; COMPUTE_PGM_RSRC2:TGID_Z_EN: 1
; COMPUTE_PGM_RSRC2:TIDIG_COMP_CNT: 0
; COMPUTE_PGM_RSRC3_GFX90A:ACCUM_OFFSET: 5
; COMPUTE_PGM_RSRC3_GFX90A:TG_SPLIT: 0
	.section	.text._ZL26flash_attn_combine_resultsILi112EEvPKfPK15HIP_vector_typeIfLj2EEPfi,"axG",@progbits,_ZL26flash_attn_combine_resultsILi112EEvPKfPK15HIP_vector_typeIfLj2EEPfi,comdat
	.globl	_ZL26flash_attn_combine_resultsILi112EEvPKfPK15HIP_vector_typeIfLj2EEPfi ; -- Begin function _ZL26flash_attn_combine_resultsILi112EEvPKfPK15HIP_vector_typeIfLj2EEPfi
	.p2align	8
	.type	_ZL26flash_attn_combine_resultsILi112EEvPKfPK15HIP_vector_typeIfLj2EEPfi,@function
_ZL26flash_attn_combine_resultsILi112EEvPKfPK15HIP_vector_typeIfLj2EEPfi: ; @_ZL26flash_attn_combine_resultsILi112EEvPKfPK15HIP_vector_typeIfLj2EEPfi
; %bb.0:
	s_load_dwordx2 s[0:1], s[4:5], 0x20
	s_load_dword s21, s[4:5], 0x18
	s_load_dwordx4 s[16:19], s[4:5], 0x0
	s_load_dwordx2 s[14:15], s[4:5], 0x10
	s_waitcnt lgkmcnt(0)
	s_mul_i32 s0, s0, s8
	s_add_i32 s0, s0, s6
	s_mul_i32 s20, s0, s1
	s_add_i32 s20, s20, s7
	s_lshl_b32 s10, s21, 1
	s_mul_i32 s0, s20, s21
	v_cmp_gt_i32_e32 vcc, s10, v0
	s_and_saveexec_b64 s[2:3], vcc
	s_cbranch_execz .LBB23_13
; %bb.1:
	v_xad_u32 v1, v0, -1, s10
	s_movk_i32 s4, 0x6f
	s_ashr_i32 s1, s0, 31
	v_cmp_lt_u32_e32 vcc, s4, v1
	s_mov_b64 s[6:7], -1
	v_mov_b32_e32 v2, v0
	s_and_saveexec_b64 s[4:5], vcc
	s_cbranch_execz .LBB23_10
; %bb.2:
	v_lshrrev_b32_e32 v1, 4, v1
	s_mov_b32 s6, 0x24924925
	v_mul_hi_u32 v6, v1, s6
	s_lshl_b64 s[6:7], s[0:1], 3
	v_add_u32_e32 v2, -1, v6
	s_add_u32 s11, s18, s6
	v_add_u32_e32 v1, 0x70, v0
	v_lshrrev_b32_e32 v3, 1, v2
	s_addc_u32 s12, s19, s7
	v_add_u32_e32 v7, 1, v3
	v_cmp_lt_u32_e32 vcc, 13, v2
	v_mov_b32_e32 v4, 0
	v_pk_mov_b32 v[2:3], v[0:1], v[0:1] op_sel:[0,1]
	s_and_saveexec_b64 s[6:7], vcc
	s_cbranch_execz .LBB23_6
; %bb.3:
	v_and_b32_e32 v8, -8, v7
	s_mov_b32 s13, 0
	v_lshl_add_u32 v9, v0, 2, 0
	s_mov_b64 s[8:9], 0
	v_mov_b32_e32 v10, s12
	v_mov_b32_e32 v5, 0
	v_pk_mov_b32 v[2:3], v[0:1], v[0:1] op_sel:[0,1]
.LBB23_4:                               ; =>This Inner Loop Header: Depth=1
	v_mov_b32_e32 v4, v2
	v_lshlrev_b64 v[26:27], 2, v[4:5]
	v_add_u32_e32 v12, 0xe0, v3
	v_mov_b32_e32 v13, v5
	v_add_co_u32_e32 v26, vcc, s11, v26
	v_lshlrev_b64 v[12:13], 2, v[12:13]
	v_addc_co_u32_e32 v27, vcc, v10, v27, vcc
	v_add_u32_e32 v14, 0x1c0, v3
	v_mov_b32_e32 v15, v5
	v_add_co_u32_e32 v12, vcc, s11, v12
	v_lshlrev_b64 v[14:15], 2, v[14:15]
	v_addc_co_u32_e32 v13, vcc, v10, v13, vcc
	;; [unrolled: 5-line block ×7, first 2 shown]
	v_mov_b32_e32 v4, v3
	v_add_co_u32_e32 v24, vcc, s11, v24
	v_lshlrev_b64 v[28:29], 2, v[4:5]
	v_addc_co_u32_e32 v25, vcc, v10, v25, vcc
	v_add_u32_e32 v4, 0xe0, v2
	v_add_co_u32_e32 v28, vcc, s11, v28
	v_addc_co_u32_e32 v29, vcc, v10, v29, vcc
	global_load_dword v1, v[26:27], off
	v_lshlrev_b64 v[26:27], 2, v[4:5]
	v_add_u32_e32 v4, 0x1c0, v2
	v_add_co_u32_e32 v26, vcc, s11, v26
	v_addc_co_u32_e32 v27, vcc, v10, v27, vcc
	v_lshlrev_b64 v[30:31], 2, v[4:5]
	v_add_u32_e32 v4, 0x2a0, v2
	global_load_dword v11, v[28:29], off
	global_load_dword v32, v[26:27], off
	global_load_dword v33, v[12:13], off
	v_add_co_u32_e32 v12, vcc, s11, v30
	v_addc_co_u32_e32 v13, vcc, v10, v31, vcc
	v_lshlrev_b64 v[26:27], 2, v[4:5]
	v_add_u32_e32 v4, 0x380, v2
	v_add_co_u32_e32 v26, vcc, s11, v26
	v_addc_co_u32_e32 v27, vcc, v10, v27, vcc
	v_lshlrev_b64 v[28:29], 2, v[4:5]
	v_add_u32_e32 v4, 0x460, v2
	global_load_dword v30, v[12:13], off
	global_load_dword v31, v[14:15], off
	;; [unrolled: 1-line block ×4, first 2 shown]
	v_add_co_u32_e32 v12, vcc, s11, v28
	v_addc_co_u32_e32 v13, vcc, v10, v29, vcc
	v_lshlrev_b64 v[14:15], 2, v[4:5]
	v_add_u32_e32 v4, 0x540, v2
	v_add_co_u32_e32 v14, vcc, s11, v14
	v_addc_co_u32_e32 v15, vcc, v10, v15, vcc
	v_lshlrev_b64 v[16:17], 2, v[4:5]
	v_add_u32_e32 v4, 0x620, v2
	global_load_dword v26, v[12:13], off
	global_load_dword v27, v[18:19], off
	;; [unrolled: 1-line block ×4, first 2 shown]
	v_add_co_u32_e32 v12, vcc, s11, v16
	v_addc_co_u32_e32 v13, vcc, v10, v17, vcc
	v_lshlrev_b64 v[14:15], 2, v[4:5]
	v_add_co_u32_e32 v14, vcc, s11, v14
	v_addc_co_u32_e32 v15, vcc, v10, v15, vcc
	global_load_dword v16, v[12:13], off
	global_load_dword v17, v[22:23], off
	;; [unrolled: 1-line block ×4, first 2 shown]
	v_add_u32_e32 v8, -8, v8
	s_add_i32 s13, s13, 16
	v_cmp_eq_u32_e32 vcc, 0, v8
	v_add_u32_e32 v12, 0x200, v9
	v_add_u32_e32 v13, 0x600, v9
	;; [unrolled: 1-line block ×8, first 2 shown]
	v_mov_b32_e32 v4, s13
	s_or_b64 s[8:9], vcc, s[8:9]
	v_add_u32_e32 v2, 0x700, v2
	s_waitcnt vmcnt(14)
	ds_write2_b32 v9, v1, v11 offset1:112
	v_add_u32_e32 v9, 0x1c00, v9
	s_waitcnt vmcnt(12)
	ds_write2_b32 v12, v32, v33 offset0:96 offset1:208
	s_waitcnt vmcnt(10)
	ds_write2_b32 v13, v30, v31 offset0:64 offset1:176
	;; [unrolled: 2-line block ×7, first 2 shown]
	s_andn2_b64 exec, exec, s[8:9]
	s_cbranch_execnz .LBB23_4
; %bb.5:
	s_or_b64 exec, exec, s[8:9]
.LBB23_6:
	s_or_b64 exec, exec, s[6:7]
	v_and_b32_e32 v1, 7, v7
	v_cmp_ne_u32_e32 vcc, 0, v1
	s_and_saveexec_b64 s[6:7], vcc
	s_cbranch_execz .LBB23_9
; %bb.7:
	s_movk_i32 s8, 0x1c0
	v_mul_lo_u32 v4, v4, s8
	v_lshlrev_b32_e32 v5, 2, v0
	v_add3_u32 v7, v4, v5, 0
	s_mov_b64 s[8:9], 0
	v_mov_b32_e32 v8, s12
	v_mov_b32_e32 v5, 0
.LBB23_8:                               ; =>This Inner Loop Header: Depth=1
	v_mov_b32_e32 v4, v2
	v_lshlrev_b64 v[10:11], 2, v[4:5]
	v_mov_b32_e32 v4, v3
	v_add_co_u32_e32 v10, vcc, s11, v10
	v_addc_co_u32_e32 v11, vcc, v8, v11, vcc
	v_lshlrev_b64 v[12:13], 2, v[4:5]
	v_add_co_u32_e32 v12, vcc, s11, v12
	v_addc_co_u32_e32 v13, vcc, v8, v13, vcc
	global_load_dword v4, v[10:11], off
	global_load_dword v9, v[12:13], off
	v_add_u32_e32 v1, -1, v1
	v_cmp_eq_u32_e32 vcc, 0, v1
	v_add_u32_e32 v2, 0xe0, v2
	v_add_u32_e32 v3, 0xe0, v3
	s_or_b64 s[8:9], vcc, s[8:9]
	s_waitcnt vmcnt(0)
	ds_write2_b32 v7, v4, v9 offset1:112
	v_add_u32_e32 v7, 0x380, v7
	s_andn2_b64 exec, exec, s[8:9]
	s_cbranch_execnz .LBB23_8
.LBB23_9:
	s_or_b64 exec, exec, s[6:7]
	v_add_u32_e32 v1, 1, v6
	v_and_b32_e32 v4, 0x7fffffe, v1
	s_movk_i32 s6, 0x70
	v_mad_u64_u32 v[2:3], s[6:7], v4, s6, v[0:1]
	v_cmp_ne_u32_e32 vcc, v1, v4
	s_orn2_b64 s[6:7], vcc, exec
.LBB23_10:
	s_or_b64 exec, exec, s[4:5]
	s_and_b64 exec, exec, s[6:7]
	s_cbranch_execz .LBB23_13
; %bb.11:
	s_lshl_b64 s[4:5], s[0:1], 3
	v_mov_b32_e32 v3, 0
	s_add_u32 s1, s18, s4
	v_lshlrev_b64 v[4:5], 2, v[2:3]
	s_addc_u32 s4, s19, s5
	v_mov_b32_e32 v1, s4
	v_add_co_u32_e32 v4, vcc, s1, v4
	v_addc_co_u32_e32 v5, vcc, v1, v5, vcc
	v_lshl_add_u32 v1, v2, 2, 0
	s_mov_b64 s[4:5], 0
.LBB23_12:                              ; =>This Inner Loop Header: Depth=1
	global_load_dword v3, v[4:5], off
	v_add_co_u32_e32 v4, vcc, 0x1c0, v4
	v_add_u32_e32 v2, 0x70, v2
	v_addc_co_u32_e32 v5, vcc, 0, v5, vcc
	v_cmp_le_i32_e32 vcc, s10, v2
	s_or_b64 s[4:5], vcc, s[4:5]
	s_waitcnt vmcnt(0)
	ds_write_b32 v1, v3
	v_add_u32_e32 v1, 0x1c0, v1
	s_andn2_b64 exec, exec, s[4:5]
	s_cbranch_execnz .LBB23_12
.LBB23_13:
	s_or_b64 exec, exec, s[2:3]
	v_mov_b32_e32 v1, 0
	s_waitcnt lgkmcnt(0)
	s_barrier
	ds_read_b32 v1, v1
	s_cmp_lt_i32 s21, 2
	s_cbranch_scc1 .LBB23_21
; %bb.14:
	s_add_i32 s1, s21, -1
	s_add_i32 s2, s21, -2
	s_cmp_lt_u32 s2, 7
	s_cbranch_scc1 .LBB23_18
; %bb.15:
	s_mov_b32 s4, 0
	s_add_i32 s2, 0, 8
	s_and_b32 s3, s1, -8
.LBB23_16:                              ; =>This Inner Loop Header: Depth=1
	v_mov_b32_e32 v8, s2
	ds_read2_b32 v[2:3], v8 offset1:2
	ds_read2_b32 v[4:5], v8 offset0:4 offset1:6
	ds_read2_b32 v[6:7], v8 offset0:8 offset1:10
	;; [unrolled: 1-line block ×3, first 2 shown]
	s_mov_b32 s5, s4
	s_waitcnt lgkmcnt(3)
	v_max3_f32 v1, v1, v2, v3
	s_waitcnt lgkmcnt(2)
	v_max3_f32 v1, v1, v4, v5
	s_add_i32 s2, s2, 64
	s_add_i32 s4, s4, 8
	s_waitcnt lgkmcnt(1)
	v_max3_f32 v1, v1, v6, v7
	s_cmp_eq_u32 s3, s4
	s_waitcnt lgkmcnt(0)
	v_max3_f32 v1, v1, v8, v9
	s_cbranch_scc0 .LBB23_16
; %bb.17:
	s_add_i32 s2, s5, 9
	s_and_b32 s1, s1, 7
	s_cmp_eq_u32 s1, 0
	s_cbranch_scc0 .LBB23_19
	s_branch .LBB23_21
.LBB23_18:
	s_mov_b32 s2, 1
	s_and_b32 s1, s1, 7
	s_cmp_eq_u32 s1, 0
	s_cbranch_scc1 .LBB23_21
.LBB23_19:
	s_lshl_b32 s2, s2, 3
	s_add_i32 s2, s2, 0
.LBB23_20:                              ; =>This Inner Loop Header: Depth=1
	v_mov_b32_e32 v2, s2
	ds_read_b32 v2, v2
	s_waitcnt lgkmcnt(1)
	v_max_f32_e32 v1, v1, v1
	s_add_i32 s2, s2, 8
	s_add_i32 s1, s1, -1
	s_cmp_lg_u32 s1, 0
	s_waitcnt lgkmcnt(0)
	v_max_f32_e32 v2, v2, v2
	v_max_f32_e32 v1, v1, v2
	s_cbranch_scc1 .LBB23_20
.LBB23_21:
	s_cmp_lt_i32 s21, 1
	s_cbranch_scc1 .LBB23_26
; %bb.22:
	s_mul_i32 s18, s0, 0x70
	s_ashr_i32 s19, s18, 31
	s_cmp_lt_u32 s21, 8
	v_mov_b32_e32 v8, 0
	s_cbranch_scc1 .LBB23_27
; %bb.23:
	s_lshl_b64 s[0:1], s[18:19], 2
	s_add_u32 s23, s16, s0
	s_addc_u32 s0, s17, s1
	v_lshlrev_b32_e32 v2, 2, v0
	v_mov_b32_e32 v10, s0
	v_add_co_u32_e32 v2, vcc, s23, v2
	v_addc_co_u32_e32 v3, vcc, 0, v10, vcc
	v_add_co_u32_e32 v2, vcc, 0x1c0, v2
	s_and_b32 s22, s21, 0x7ffffff8
	v_addc_co_u32_e32 v3, vcc, 0, v3, vcc
	v_add_u32_e32 v4, 0x1c0, v0
	s_mov_b32 s24, 0
	v_mov_b32_e32 v7, 0
	s_mov_b32 s25, 0x3fb8aa3b
	s_mov_b32 s26, 0xc2ce8ed0
	;; [unrolled: 1-line block ×3, first 2 shown]
	v_mov_b32_e32 v11, 0x7f800000
	s_mov_b32 s28, 0
	v_mov_b32_e32 v9, 0
	v_mov_b32_e32 v8, 0
.LBB23_24:                              ; =>This Inner Loop Header: Depth=1
	v_add_u32_e32 v6, 0xfffffe40, v4
	global_load_dword v36, v[2:3], off
	global_load_dword v37, v[2:3], off offset:448
	v_add_co_u32_e32 v2, vcc, 0xe00, v2
	v_lshlrev_b64 v[28:29], 2, v[6:7]
	v_addc_co_u32_e32 v3, vcc, 0, v3, vcc
	v_mov_b32_e32 v5, v7
	v_add_co_u32_e32 v28, vcc, s23, v28
	v_lshlrev_b64 v[30:31], 2, v[4:5]
	v_addc_co_u32_e32 v29, vcc, v10, v29, vcc
	v_add_u32_e32 v6, 0xffffff90, v4
	v_add_co_u32_e32 v30, vcc, s23, v30
	v_mov_b32_e32 v24, s24
	v_lshlrev_b64 v[32:33], 2, v[6:7]
	v_addc_co_u32_e32 v31, vcc, v10, v31, vcc
	ds_read2_b64 v[12:15], v24 offset1:1
	ds_read2_b64 v[16:19], v24 offset0:2 offset1:3
	ds_read2_b64 v[20:23], v24 offset0:4 offset1:5
	;; [unrolled: 1-line block ×3, first 2 shown]
	v_add_u32_e32 v6, 0x70, v4
	global_load_dword v5, v[28:29], off
	v_add_co_u32_e32 v28, vcc, s23, v32
	v_addc_co_u32_e32 v29, vcc, v10, v33, vcc
	v_lshlrev_b64 v[32:33], 2, v[6:7]
	v_add_u32_e32 v6, 0xe0, v4
	v_add_co_u32_e32 v32, vcc, s23, v32
	v_addc_co_u32_e32 v33, vcc, v10, v33, vcc
	v_lshlrev_b64 v[34:35], 2, v[6:7]
	v_add_u32_e32 v6, 0x150, v4
	global_load_dword v38, v[28:29], off
	global_load_dword v39, v[30:31], off
	;; [unrolled: 1-line block ×3, first 2 shown]
	v_add_co_u32_e32 v28, vcc, s23, v34
	v_addc_co_u32_e32 v29, vcc, v10, v35, vcc
	v_lshlrev_b64 v[30:31], 2, v[6:7]
	v_add_co_u32_e32 v30, vcc, s23, v30
	s_waitcnt lgkmcnt(3)
	v_sub_f32_e32 v6, v12, v1
	v_sub_f32_e32 v12, v14, v1
	s_waitcnt lgkmcnt(2)
	v_sub_f32_e32 v14, v16, v1
	v_sub_f32_e32 v16, v18, v1
	;; [unrolled: 3-line block ×4, first 2 shown]
	v_addc_co_u32_e32 v31, vcc, v10, v31, vcc
	global_load_dword v26, v[28:29], off
	v_mul_f32_e32 v32, 0x3fb8aa3b, v14
	global_load_dword v30, v[30:31], off
	v_mul_f32_e32 v28, 0x3fb8aa3b, v6
	v_fma_f32 v31, v6, s25, -v28
	v_rndne_f32_e32 v43, v28
	v_mul_f32_e32 v29, 0x3fb8aa3b, v12
	v_mul_f32_e32 v33, 0x3fb8aa3b, v16
	;; [unrolled: 1-line block ×3, first 2 shown]
	v_fmac_f32_e32 v31, 0x32a5705f, v6
	v_sub_f32_e32 v28, v28, v43
	v_fma_f32 v44, v12, s25, -v29
	v_rndne_f32_e32 v45, v29
	v_fma_f32 v46, v14, s25, -v32
	v_rndne_f32_e32 v47, v32
	;; [unrolled: 2-line block ×3, first 2 shown]
	v_fma_f32 v50, v18, s25, -v34
	v_add_f32_e32 v28, v28, v31
	v_rndne_f32_e32 v31, v34
	v_mul_f32_e32 v35, 0x3fb8aa3b, v20
	v_mul_f32_e32 v41, 0x3fb8aa3b, v22
	v_fmac_f32_e32 v44, 0x32a5705f, v12
	v_sub_f32_e32 v29, v29, v45
	v_fmac_f32_e32 v46, 0x32a5705f, v14
	v_sub_f32_e32 v32, v32, v47
	;; [unrolled: 2-line block ×4, first 2 shown]
	v_add_f32_e32 v29, v29, v44
	v_fma_f32 v44, v20, s25, -v35
	v_add_f32_e32 v32, v32, v46
	v_rndne_f32_e32 v46, v35
	v_add_f32_e32 v33, v33, v48
	v_fma_f32 v48, v22, s25, -v41
	v_add_f32_e32 v34, v34, v50
	v_rndne_f32_e32 v50, v41
	v_mul_f32_e32 v42, 0x3fb8aa3b, v24
	v_fmac_f32_e32 v44, 0x32a5705f, v20
	v_sub_f32_e32 v35, v35, v46
	v_fmac_f32_e32 v48, 0x32a5705f, v22
	v_sub_f32_e32 v41, v41, v50
	v_add_f32_e32 v35, v35, v44
	v_fma_f32 v44, v24, s25, -v42
	v_add_f32_e32 v41, v41, v48
	v_rndne_f32_e32 v48, v42
	v_cvt_i32_f32_e32 v43, v43
	v_fmac_f32_e32 v44, 0x32a5705f, v24
	v_sub_f32_e32 v42, v42, v48
	v_exp_f32_e32 v28, v28
	v_cvt_i32_f32_e32 v45, v45
	v_add_f32_e32 v42, v42, v44
	v_exp_f32_e32 v29, v29
	v_cvt_i32_f32_e32 v47, v47
	v_cvt_i32_f32_e32 v49, v49
	;; [unrolled: 1-line block ×6, first 2 shown]
	v_exp_f32_e32 v32, v32
	v_exp_f32_e32 v33, v33
	;; [unrolled: 1-line block ×6, first 2 shown]
	v_ldexp_f32 v28, v28, v43
	v_cmp_ngt_f32_e64 s[12:13], s26, v6
	v_ldexp_f32 v29, v29, v45
	v_cmp_ngt_f32_e32 vcc, s26, v12
	v_cndmask_b32_e64 v28, 0, v28, s[12:13]
	v_cmp_nlt_f32_e64 s[12:13], s27, v6
	v_ldexp_f32 v32, v32, v47
	v_cmp_ngt_f32_e64 s[0:1], s26, v14
	v_ldexp_f32 v33, v33, v49
	v_cmp_ngt_f32_e64 s[2:3], s26, v16
	;; [unrolled: 2-line block ×6, first 2 shown]
	v_cndmask_b32_e32 v29, 0, v29, vcc
	v_cmp_nlt_f32_e32 vcc, s27, v12
	v_cndmask_b32_e64 v6, v11, v28, s[12:13]
	v_cndmask_b32_e64 v12, 0, v32, s[0:1]
	v_cmp_nlt_f32_e64 s[0:1], s27, v14
	v_cndmask_b32_e64 v14, 0, v33, s[2:3]
	v_cmp_nlt_f32_e64 s[2:3], s27, v16
	;; [unrolled: 2-line block ×6, first 2 shown]
	v_cndmask_b32_e32 v24, v11, v29, vcc
	v_fmac_f32_e32 v9, v6, v13
	s_waitcnt vmcnt(5)
	v_fmac_f32_e32 v8, v5, v6
	v_cndmask_b32_e64 v12, v11, v12, s[0:1]
	v_fmac_f32_e32 v9, v24, v15
	v_fmac_f32_e32 v8, v36, v24
	v_cndmask_b32_e64 v14, v11, v14, s[2:3]
	v_fmac_f32_e32 v9, v12, v17
	;; [unrolled: 3-line block ×3, first 2 shown]
	s_waitcnt vmcnt(4)
	v_fmac_f32_e32 v8, v38, v14
	v_cndmask_b32_e64 v18, v11, v18, s[6:7]
	v_fmac_f32_e32 v9, v16, v21
	s_waitcnt vmcnt(3)
	v_fmac_f32_e32 v8, v39, v16
	v_cndmask_b32_e64 v20, v11, v20, s[8:9]
	v_fmac_f32_e32 v9, v18, v23
	s_waitcnt vmcnt(2)
	v_fmac_f32_e32 v8, v40, v18
	s_add_i32 s28, s28, 8
	s_add_i32 s24, s24, 64
	v_cndmask_b32_e64 v22, v11, v22, s[10:11]
	v_fmac_f32_e32 v9, v20, v25
	s_waitcnt vmcnt(1)
	v_fmac_f32_e32 v8, v26, v20
	s_cmp_eq_u32 s22, s28
	v_add_u32_e32 v4, 0x380, v4
	v_fmac_f32_e32 v9, v22, v27
	s_waitcnt vmcnt(0)
	v_fmac_f32_e32 v8, v30, v22
	s_cbranch_scc0 .LBB23_24
; %bb.25:
	s_and_b32 s0, s21, 7
	s_cmp_eq_u32 s0, 0
	s_cbranch_scc0 .LBB23_28
	s_branch .LBB23_30
.LBB23_26:
	s_waitcnt lgkmcnt(0)
	v_mov_b32_e32 v1, 0x7fc00000
	s_branch .LBB23_31
.LBB23_27:
	s_mov_b32 s22, 0
	v_mov_b32_e32 v9, 0
	s_and_b32 s0, s21, 7
	s_cmp_eq_u32 s0, 0
	s_cbranch_scc1 .LBB23_30
.LBB23_28:
	s_lshl_b64 s[2:3], s[18:19], 2
	s_mul_i32 s1, s22, 0x70
	v_add_u32_e32 v2, s1, v0
	v_mov_b32_e32 v3, 0
	s_add_u32 s1, s16, s2
	v_lshlrev_b64 v[2:3], 2, v[2:3]
	s_addc_u32 s2, s17, s3
	v_mov_b32_e32 v4, s2
	v_add_co_u32_e32 v2, vcc, s1, v2
	s_lshl_b32 s1, s22, 3
	v_addc_co_u32_e32 v3, vcc, v4, v3, vcc
	s_add_i32 s1, s1, 0
	s_mov_b32 s2, 0x3fb8aa3b
	s_mov_b32 s3, 0xc2ce8ed0
	;; [unrolled: 1-line block ×3, first 2 shown]
	v_mov_b32_e32 v4, 0x7f800000
.LBB23_29:                              ; =>This Inner Loop Header: Depth=1
	global_load_dword v5, v[2:3], off
	v_mov_b32_e32 v6, s1
	ds_read_b64 v[6:7], v6
	v_add_co_u32_e32 v2, vcc, 0x1c0, v2
	v_addc_co_u32_e32 v3, vcc, 0, v3, vcc
	s_waitcnt lgkmcnt(0)
	v_sub_f32_e32 v6, v6, v1
	v_mul_f32_e32 v10, 0x3fb8aa3b, v6
	v_fma_f32 v11, v6, s2, -v10
	v_rndne_f32_e32 v12, v10
	v_fmac_f32_e32 v11, 0x32a5705f, v6
	v_sub_f32_e32 v10, v10, v12
	v_add_f32_e32 v10, v10, v11
	v_cvt_i32_f32_e32 v12, v12
	v_exp_f32_e32 v10, v10
	v_cmp_ngt_f32_e32 vcc, s3, v6
	s_add_i32 s1, s1, 8
	s_add_i32 s0, s0, -1
	v_ldexp_f32 v10, v10, v12
	v_cndmask_b32_e32 v10, 0, v10, vcc
	v_cmp_nlt_f32_e32 vcc, s4, v6
	v_cndmask_b32_e32 v6, v4, v10, vcc
	s_cmp_lg_u32 s0, 0
	v_fmac_f32_e32 v9, v6, v7
	s_waitcnt vmcnt(0)
	v_fmac_f32_e32 v8, v5, v6
	s_cbranch_scc1 .LBB23_29
.LBB23_30:
	s_waitcnt lgkmcnt(0)
	v_div_scale_f32 v1, s[0:1], v9, v9, v8
	v_rcp_f32_e32 v2, v1
	v_div_scale_f32 v3, vcc, v8, v9, v8
	v_fma_f32 v4, -v1, v2, 1.0
	v_fmac_f32_e32 v2, v4, v2
	v_mul_f32_e32 v4, v3, v2
	v_fma_f32 v5, -v1, v4, v3
	v_fmac_f32_e32 v4, v5, v2
	v_fma_f32 v1, -v1, v4, v3
	v_div_fmas_f32 v1, v1, v2, v4
	v_div_fixup_f32 v1, v1, v9, v8
.LBB23_31:
	s_mul_i32 s0, s20, 0x70
	s_ashr_i32 s1, s0, 31
	s_lshl_b64 s[0:1], s[0:1], 2
	s_add_u32 s0, s14, s0
	s_addc_u32 s1, s15, s1
	v_lshlrev_b32_e32 v0, 2, v0
	global_store_dword v0, v1, s[0:1]
	s_endpgm
	.section	.rodata,"a",@progbits
	.p2align	6, 0x0
	.amdhsa_kernel _ZL26flash_attn_combine_resultsILi112EEvPKfPK15HIP_vector_typeIfLj2EEPfi
		.amdhsa_group_segment_fixed_size 0
		.amdhsa_private_segment_fixed_size 0
		.amdhsa_kernarg_size 288
		.amdhsa_user_sgpr_count 6
		.amdhsa_user_sgpr_private_segment_buffer 1
		.amdhsa_user_sgpr_dispatch_ptr 0
		.amdhsa_user_sgpr_queue_ptr 0
		.amdhsa_user_sgpr_kernarg_segment_ptr 1
		.amdhsa_user_sgpr_dispatch_id 0
		.amdhsa_user_sgpr_flat_scratch_init 0
		.amdhsa_user_sgpr_kernarg_preload_length 0
		.amdhsa_user_sgpr_kernarg_preload_offset 0
		.amdhsa_user_sgpr_private_segment_size 0
		.amdhsa_uses_dynamic_stack 0
		.amdhsa_system_sgpr_private_segment_wavefront_offset 0
		.amdhsa_system_sgpr_workgroup_id_x 1
		.amdhsa_system_sgpr_workgroup_id_y 1
		.amdhsa_system_sgpr_workgroup_id_z 1
		.amdhsa_system_sgpr_workgroup_info 0
		.amdhsa_system_vgpr_workitem_id 0
		.amdhsa_next_free_vgpr 51
		.amdhsa_next_free_sgpr 29
		.amdhsa_accum_offset 52
		.amdhsa_reserve_vcc 1
		.amdhsa_reserve_flat_scratch 0
		.amdhsa_float_round_mode_32 0
		.amdhsa_float_round_mode_16_64 0
		.amdhsa_float_denorm_mode_32 3
		.amdhsa_float_denorm_mode_16_64 3
		.amdhsa_dx10_clamp 1
		.amdhsa_ieee_mode 1
		.amdhsa_fp16_overflow 0
		.amdhsa_tg_split 0
		.amdhsa_exception_fp_ieee_invalid_op 0
		.amdhsa_exception_fp_denorm_src 0
		.amdhsa_exception_fp_ieee_div_zero 0
		.amdhsa_exception_fp_ieee_overflow 0
		.amdhsa_exception_fp_ieee_underflow 0
		.amdhsa_exception_fp_ieee_inexact 0
		.amdhsa_exception_int_div_zero 0
	.end_amdhsa_kernel
	.section	.text._ZL26flash_attn_combine_resultsILi112EEvPKfPK15HIP_vector_typeIfLj2EEPfi,"axG",@progbits,_ZL26flash_attn_combine_resultsILi112EEvPKfPK15HIP_vector_typeIfLj2EEPfi,comdat
.Lfunc_end23:
	.size	_ZL26flash_attn_combine_resultsILi112EEvPKfPK15HIP_vector_typeIfLj2EEPfi, .Lfunc_end23-_ZL26flash_attn_combine_resultsILi112EEvPKfPK15HIP_vector_typeIfLj2EEPfi
                                        ; -- End function
	.section	.AMDGPU.csdata,"",@progbits
; Kernel info:
; codeLenInByte = 3144
; NumSgprs: 33
; NumVgprs: 51
; NumAgprs: 0
; TotalNumVgprs: 51
; ScratchSize: 0
; MemoryBound: 0
; FloatMode: 240
; IeeeMode: 1
; LDSByteSize: 0 bytes/workgroup (compile time only)
; SGPRBlocks: 4
; VGPRBlocks: 6
; NumSGPRsForWavesPerEU: 33
; NumVGPRsForWavesPerEU: 51
; AccumOffset: 52
; Occupancy: 8
; WaveLimiterHint : 1
; COMPUTE_PGM_RSRC2:SCRATCH_EN: 0
; COMPUTE_PGM_RSRC2:USER_SGPR: 6
; COMPUTE_PGM_RSRC2:TRAP_HANDLER: 0
; COMPUTE_PGM_RSRC2:TGID_X_EN: 1
; COMPUTE_PGM_RSRC2:TGID_Y_EN: 1
; COMPUTE_PGM_RSRC2:TGID_Z_EN: 1
; COMPUTE_PGM_RSRC2:TIDIG_COMP_CNT: 0
; COMPUTE_PGM_RSRC3_GFX90A:ACCUM_OFFSET: 12
; COMPUTE_PGM_RSRC3_GFX90A:TG_SPLIT: 0
	.section	.text._ZL18flash_attn_ext_f16ILi128ELi128ELi16ELi2ELb0ELb0EEvPKcS1_S1_S1_S1_PKiPfP15HIP_vector_typeIfLj2EEffffjfiS5_IjLj3EEiiiiiiiiiiiliiliiiiil,"axG",@progbits,_ZL18flash_attn_ext_f16ILi128ELi128ELi16ELi2ELb0ELb0EEvPKcS1_S1_S1_S1_PKiPfP15HIP_vector_typeIfLj2EEffffjfiS5_IjLj3EEiiiiiiiiiiiliiliiiiil,comdat
	.globl	_ZL18flash_attn_ext_f16ILi128ELi128ELi16ELi2ELb0ELb0EEvPKcS1_S1_S1_S1_PKiPfP15HIP_vector_typeIfLj2EEffffjfiS5_IjLj3EEiiiiiiiiiiiliiliiiiil ; -- Begin function _ZL18flash_attn_ext_f16ILi128ELi128ELi16ELi2ELb0ELb0EEvPKcS1_S1_S1_S1_PKiPfP15HIP_vector_typeIfLj2EEffffjfiS5_IjLj3EEiiiiiiiiiiiliiliiiiil
	.p2align	8
	.type	_ZL18flash_attn_ext_f16ILi128ELi128ELi16ELi2ELb0ELb0EEvPKcS1_S1_S1_S1_PKiPfP15HIP_vector_typeIfLj2EEffffjfiS5_IjLj3EEiiiiiiiiiiiliiliiiiil,@function
_ZL18flash_attn_ext_f16ILi128ELi128ELi16ELi2ELb0ELb0EEvPKcS1_S1_S1_S1_PKiPfP15HIP_vector_typeIfLj2EEffffjfiS5_IjLj3EEiiiiiiiiiiiliiliiiiil: ; @_ZL18flash_attn_ext_f16ILi128ELi128ELi16ELi2ELb0ELb0EEvPKcS1_S1_S1_S1_PKiPfP15HIP_vector_typeIfLj2EEffffjfiS5_IjLj3EEiiiiiiiiiiiliiliiiiil
; %bb.0:
	s_load_dwordx2 s[2:3], s[4:5], 0x80
	s_load_dwordx4 s[28:31], s[4:5], 0x64
	s_mov_b32 s49, s6
                                        ; implicit-def: $vgpr255 : SGPR spill to VGPR lane
	s_load_dword s43, s[4:5], 0xd0
	s_mov_b32 s0, 0
	s_waitcnt lgkmcnt(0)
	s_abs_i32 s1, s3
	v_cvt_f32_u32_e32 v1, s1
	s_sub_i32 s8, 0, s1
	s_abs_i32 s7, s29
	s_xor_b32 s6, s29, s3
	v_rcp_iflag_f32_e32 v1, v1
	s_ashr_i32 s6, s6, 31
	v_cvt_f32_ubyte0_e32 v3, 0
	v_mul_f32_e32 v1, 0x4f7ffffe, v1
	v_cvt_u32_f32_e32 v1, v1
	v_readfirstlane_b32 s9, v1
	s_mul_i32 s8, s8, s9
	s_mul_hi_u32 s8, s9, s8
	s_add_i32 s9, s9, s8
	s_mul_hi_u32 s8, s7, s9
	s_mul_i32 s9, s8, s1
	s_sub_i32 s7, s7, s9
	s_add_i32 s10, s8, 1
	s_sub_i32 s9, s7, s1
	s_cmp_ge_u32 s7, s1
	s_cselect_b32 s8, s10, s8
	s_cselect_b32 s7, s9, s7
	s_add_i32 s9, s8, 1
	s_cmp_ge_u32 s7, s1
	s_cselect_b32 s1, s9, s8
	s_add_i32 s2, s2, 63
	s_xor_b32 s1, s1, s6
	s_ashr_i32 s7, s2, 31
	s_sub_i32 s78, s1, s6
	s_lshr_b32 s1, s7, 26
	s_add_i32 s2, s2, s1
	s_add_i32 s1, s28, 15
	s_lshr_b32 s6, s1, 4
	s_add_i32 s1, s78, 1
	s_ashr_i32 s83, s2, 6
	s_lshr_b32 s2, s1, 31
	s_add_i32 s1, s1, s2
	s_ashr_i32 s1, s1, 1
	v_writelane_b32 v255, s6, 0
	s_mul_i32 s2, s6, s83
	v_writelane_b32 v255, s2, 1
	s_mul_i32 s1, s2, s1
	;; [unrolled: 2-line block ×3, first 2 shown]
	s_mul_i32 s6, s1, s30
	s_ashr_i32 s7, s6, 31
	v_cvt_f32_u32_e32 v1, s43
	v_writelane_b32 v255, s1, 3
	s_mul_i32 s1, s7, s49
	s_mul_hi_u32 s2, s6, s49
	s_add_i32 s1, s2, s1
	s_mul_i32 s8, s6, s49
	s_cmp_lg_u64 s[0:1], 0
	s_cbranch_scc0 .LBB24_308
; %bb.1:
	v_madmk_f32 v2, v3, 0x4f800000, v1
	v_rcp_f32_e32 v2, v2
	s_sub_u32 s0, 0, s43
	s_subb_u32 s9, 0, 0
	v_mul_f32_e32 v2, 0x5f7ffffc, v2
	v_mul_f32_e32 v4, 0x2f800000, v2
	v_trunc_f32_e32 v4, v4
	v_madmk_f32 v2, v4, 0xcf800000, v2
	v_cvt_u32_f32_e32 v4, v4
	v_cvt_u32_f32_e32 v2, v2
	v_readfirstlane_b32 s10, v4
	v_readfirstlane_b32 s11, v2
	s_mul_hi_u32 s13, s0, s11
	s_mul_i32 s14, s0, s10
	s_mul_i32 s12, s9, s11
	s_add_i32 s13, s13, s14
	s_add_i32 s13, s13, s12
	s_mul_i32 s15, s0, s11
	s_mul_hi_u32 s12, s11, s13
	s_mul_i32 s14, s11, s13
	s_mul_hi_u32 s11, s11, s15
	s_add_u32 s11, s11, s14
	s_addc_u32 s12, 0, s12
	s_mul_hi_u32 s16, s10, s15
	s_mul_i32 s15, s10, s15
	s_add_u32 s11, s11, s15
	s_mul_hi_u32 s14, s10, s13
	s_addc_u32 s11, s12, s16
	s_addc_u32 s12, s14, 0
	s_mul_i32 s13, s10, s13
	s_add_u32 s11, s11, s13
	s_addc_u32 s12, 0, s12
	v_add_co_u32_e32 v2, vcc, s11, v2
	s_cmp_lg_u64 vcc, 0
	s_addc_u32 s10, s10, s12
	v_readfirstlane_b32 s12, v2
	s_mul_i32 s11, s0, s10
	s_mul_hi_u32 s13, s0, s12
	s_add_i32 s11, s13, s11
	s_mul_i32 s9, s9, s12
	s_add_i32 s11, s11, s9
	s_mul_i32 s0, s0, s12
	s_mul_hi_u32 s13, s10, s0
	s_mul_i32 s14, s10, s0
	s_mul_i32 s16, s12, s11
	s_mul_hi_u32 s0, s12, s0
	s_mul_hi_u32 s15, s12, s11
	s_add_u32 s0, s0, s16
	s_addc_u32 s12, 0, s15
	s_add_u32 s0, s0, s14
	s_mul_hi_u32 s9, s10, s11
	s_addc_u32 s0, s12, s13
	s_addc_u32 s9, s9, 0
	s_mul_i32 s11, s10, s11
	s_add_u32 s0, s0, s11
	s_addc_u32 s9, 0, s9
	v_add_co_u32_e32 v2, vcc, s0, v2
	s_cmp_lg_u64 vcc, 0
	s_addc_u32 s9, s10, s9
	s_ashr_i32 s10, s1, 31
	s_add_u32 s0, s8, s10
	s_mov_b32 s11, s10
	s_addc_u32 s1, s1, s10
	s_xor_b64 s[0:1], s[0:1], s[10:11]
	v_readfirstlane_b32 s14, v2
	s_mul_i32 s13, s0, s9
	s_mul_hi_u32 s15, s0, s14
	s_mul_hi_u32 s12, s0, s9
	s_add_u32 s13, s15, s13
	s_addc_u32 s12, 0, s12
	s_mul_hi_u32 s16, s1, s14
	s_mul_i32 s14, s1, s14
	s_add_u32 s13, s13, s14
	s_mul_hi_u32 s15, s1, s9
	s_addc_u32 s12, s12, s16
	s_addc_u32 s13, s15, 0
	s_mul_i32 s9, s1, s9
	s_add_u32 s9, s12, s9
	s_addc_u32 s12, 0, s13
	s_add_u32 s13, s9, 1
	s_addc_u32 s14, s12, 0
	s_add_u32 s15, s9, 2
	s_mul_i32 s17, s43, s12
	s_mul_hi_u32 s18, s43, s9
	s_addc_u32 s16, s12, 0
	s_add_i32 s18, s18, s17
	s_mul_i32 s17, s43, s9
	v_mov_b32_e32 v2, s17
	v_sub_co_u32_e32 v2, vcc, s0, v2
	s_cmp_lg_u64 vcc, 0
	s_subb_u32 s0, s1, s18
	v_subrev_co_u32_e32 v4, vcc, s43, v2
	s_cmp_lg_u64 vcc, 0
	s_subb_u32 s1, s0, 0
	v_readfirstlane_b32 s17, v4
	s_cmp_ge_u32 s17, s43
	s_cselect_b32 s17, -1, 0
	s_cmp_eq_u32 s1, 0
	s_cselect_b32 s1, s17, -1
	s_cmp_lg_u32 s1, 0
	s_cselect_b32 s1, s16, s14
	v_readfirstlane_b32 s14, v2
	s_cselect_b32 s13, s15, s13
	s_cmp_ge_u32 s14, s43
	s_cselect_b32 s14, -1, 0
	s_cmp_eq_u32 s0, 0
	s_cselect_b32 s0, s14, -1
	s_cmp_lg_u32 s0, 0
	s_cselect_b32 s1, s1, s12
	s_cselect_b32 s0, s13, s9
	s_xor_b64 s[0:1], s[0:1], s[10:11]
	s_sub_u32 s52, s0, s10
	s_load_dwordx2 s[50:51], s[4:5], 0x74
	v_cvt_f32_u32_e32 v2, s43
	s_cbranch_execnz .LBB24_3
.LBB24_2:
	v_rcp_iflag_f32_e32 v4, v2
	s_sub_i32 s0, 0, s43
	v_mul_f32_e32 v4, 0x4f7ffffe, v4
	v_cvt_u32_f32_e32 v4, v4
	v_readfirstlane_b32 s1, v4
	s_mul_i32 s0, s0, s1
	s_mul_hi_u32 s0, s1, s0
	s_add_i32 s1, s1, s0
	s_mul_hi_u32 s0, s8, s1
	s_mul_i32 s2, s0, s43
	s_sub_i32 s2, s8, s2
	s_add_i32 s1, s0, 1
	s_sub_i32 s3, s2, s43
	s_cmp_ge_u32 s2, s43
	s_cselect_b32 s0, s1, s0
	s_cselect_b32 s2, s3, s2
	s_add_i32 s1, s0, 1
	s_cmp_ge_u32 s2, s43
	s_cselect_b32 s52, s1, s0
.LBB24_3:
	s_add_i32 s0, s49, 1
	s_mul_i32 s1, s7, s0
	s_mul_hi_u32 s2, s6, s0
	s_add_i32 s3, s2, s1
	s_mov_b32 s2, 0
	s_cmp_lg_u64 s[2:3], 0
	s_mul_i32 s2, s6, s0
	s_cbranch_scc0 .LBB24_309
; %bb.4:
	v_madmk_f32 v1, v3, 0x4f800000, v1
	v_rcp_f32_e32 v1, v1
	s_sub_u32 s6, 0, s43
	s_subb_u32 s7, 0, 0
	v_mul_f32_e32 v1, 0x5f7ffffc, v1
	v_mul_f32_e32 v3, 0x2f800000, v1
	v_trunc_f32_e32 v3, v3
	v_madmk_f32 v1, v3, 0xcf800000, v1
	v_cvt_u32_f32_e32 v3, v3
	v_cvt_u32_f32_e32 v1, v1
	v_readfirstlane_b32 s8, v3
	v_readfirstlane_b32 s9, v1
	s_mul_hi_u32 s11, s6, s9
	s_mul_i32 s12, s6, s8
	s_mul_i32 s10, s7, s9
	s_add_i32 s11, s11, s12
	s_add_i32 s11, s11, s10
	s_mul_i32 s13, s6, s9
	s_mul_hi_u32 s10, s9, s11
	s_mul_i32 s12, s9, s11
	s_mul_hi_u32 s9, s9, s13
	s_add_u32 s9, s9, s12
	s_addc_u32 s10, 0, s10
	s_mul_hi_u32 s14, s8, s13
	s_mul_i32 s13, s8, s13
	s_add_u32 s9, s9, s13
	s_mul_hi_u32 s12, s8, s11
	s_addc_u32 s9, s10, s14
	s_addc_u32 s10, s12, 0
	s_mul_i32 s11, s8, s11
	s_add_u32 s9, s9, s11
	s_addc_u32 s10, 0, s10
	v_add_co_u32_e32 v1, vcc, s9, v1
	s_cmp_lg_u64 vcc, 0
	s_addc_u32 s8, s8, s10
	v_readfirstlane_b32 s10, v1
	s_mul_i32 s9, s6, s8
	s_mul_hi_u32 s11, s6, s10
	s_add_i32 s9, s11, s9
	s_mul_i32 s7, s7, s10
	s_add_i32 s9, s9, s7
	s_mul_i32 s6, s6, s10
	s_mul_hi_u32 s11, s8, s6
	s_mul_i32 s12, s8, s6
	s_mul_i32 s14, s10, s9
	s_mul_hi_u32 s6, s10, s6
	s_mul_hi_u32 s13, s10, s9
	s_add_u32 s6, s6, s14
	s_addc_u32 s10, 0, s13
	s_add_u32 s6, s6, s12
	s_mul_hi_u32 s7, s8, s9
	s_addc_u32 s6, s10, s11
	s_addc_u32 s7, s7, 0
	s_mul_i32 s9, s8, s9
	s_add_u32 s6, s6, s9
	s_addc_u32 s7, 0, s7
	v_add_co_u32_e32 v1, vcc, s6, v1
	s_cmp_lg_u64 vcc, 0
	s_addc_u32 s10, s8, s7
	s_ashr_i32 s6, s3, 31
	s_add_u32 s8, s2, s6
	s_mov_b32 s7, s6
	s_addc_u32 s9, s3, s6
	s_xor_b64 s[8:9], s[8:9], s[6:7]
	v_readfirstlane_b32 s12, v1
	s_mul_i32 s11, s8, s10
	s_mul_hi_u32 s13, s8, s12
	s_mul_hi_u32 s3, s8, s10
	s_add_u32 s11, s13, s11
	s_addc_u32 s3, 0, s3
	s_mul_hi_u32 s14, s9, s12
	s_mul_i32 s12, s9, s12
	s_add_u32 s11, s11, s12
	s_mul_hi_u32 s13, s9, s10
	s_addc_u32 s3, s3, s14
	s_addc_u32 s11, s13, 0
	s_mul_i32 s10, s9, s10
	s_add_u32 s3, s3, s10
	s_addc_u32 s10, 0, s11
	s_add_u32 s11, s3, 1
	s_addc_u32 s12, s10, 0
	s_add_u32 s13, s3, 2
	s_mul_i32 s15, s43, s10
	s_mul_hi_u32 s16, s43, s3
	s_addc_u32 s14, s10, 0
	s_add_i32 s16, s16, s15
	s_mul_i32 s15, s43, s3
	v_mov_b32_e32 v1, s15
	v_sub_co_u32_e32 v1, vcc, s8, v1
	s_cmp_lg_u64 vcc, 0
	s_subb_u32 s8, s9, s16
	v_subrev_co_u32_e32 v3, vcc, s43, v1
	s_cmp_lg_u64 vcc, 0
	s_subb_u32 s9, s8, 0
	v_readfirstlane_b32 s15, v3
	s_cmp_ge_u32 s15, s43
	s_cselect_b32 s15, -1, 0
	s_cmp_eq_u32 s9, 0
	s_cselect_b32 s9, s15, -1
	s_cmp_lg_u32 s9, 0
	s_cselect_b32 s9, s14, s12
	v_readfirstlane_b32 s12, v1
	s_cselect_b32 s11, s13, s11
	s_cmp_ge_u32 s12, s43
	s_cselect_b32 s12, -1, 0
	s_cmp_eq_u32 s8, 0
	s_cselect_b32 s8, s12, -1
	s_cmp_lg_u32 s8, 0
	s_cselect_b32 s9, s9, s10
	s_cselect_b32 s8, s11, s3
	s_xor_b64 s[8:9], s[8:9], s[6:7]
	s_sub_u32 s56, s8, s6
	s_load_dwordx2 s[40:41], s[4:5], 0x5c
	s_cbranch_execnz .LBB24_6
.LBB24_5:
	v_rcp_iflag_f32_e32 v1, v2
	s_sub_i32 s0, 0, s43
	v_mul_f32_e32 v1, 0x4f7ffffe, v1
	v_cvt_u32_f32_e32 v1, v1
	v_readfirstlane_b32 s1, v1
	s_mul_i32 s0, s0, s1
	s_mul_hi_u32 s0, s1, s0
	s_add_i32 s1, s1, s0
	s_mul_hi_u32 s0, s2, s1
	s_mul_i32 s3, s0, s43
	s_sub_i32 s2, s2, s3
	s_add_i32 s1, s0, 1
	s_sub_i32 s3, s2, s43
	s_cmp_ge_u32 s2, s43
	s_cselect_b32 s0, s1, s0
	s_cselect_b32 s2, s3, s2
	s_add_i32 s1, s0, 1
	s_cmp_ge_u32 s2, s43
	s_cselect_b32 s56, s1, s0
.LBB24_6:
	s_abs_i32 s57, s83
	v_cvt_f32_u32_e32 v1, s57
	s_sub_i32 s2, 0, s57
	s_load_dwordx16 s[12:27], s[4:5], 0x0
	s_load_dword s6, s[4:5], 0x40
	s_load_dwordx2 s[0:1], s[4:5], 0x8c
	s_load_dwordx4 s[36:39], s[4:5], 0x98
	s_load_dwordx2 s[44:45], s[4:5], 0xa8
	s_load_dwordx2 s[10:11], s[4:5], 0xb8
	;; [unrolled: 1-line block ×3, first 2 shown]
	s_waitcnt lgkmcnt(0)
	v_writelane_b32 v255, s0, 4
	v_rcp_iflag_f32_e32 v1, v1
	v_writelane_b32 v255, s1, 5
	s_abs_i32 s1, s52
	s_ashr_i32 s33, s31, 3
	v_mul_f32_e32 v1, 0x4f7ffffe, v1
	v_cvt_u32_f32_e32 v1, v1
	s_ashr_i32 s60, s50, 3
	s_ashr_i32 s34, s0, 2
	s_ashr_i32 s42, s11, 1
	v_readfirstlane_b32 s48, v1
	s_mul_i32 s2, s2, s48
	s_mul_hi_u32 s2, s48, s2
	s_add_i32 s48, s48, s2
	s_mul_hi_u32 s2, s1, s48
	s_mul_i32 s2, s2, s57
	s_sub_i32 s1, s1, s2
	s_ashr_i32 s30, s38, 2
	s_ashr_i32 s0, s52, 31
	s_ashr_i32 s38, s83, 31
	s_sub_i32 s2, s1, s57
	s_cmp_ge_u32 s1, s57
	s_cselect_b32 s1, s2, s1
	s_sub_i32 s2, s1, s57
	s_cmp_ge_u32 s1, s57
	s_cselect_b32 s1, s2, s1
	s_xor_b32 s1, s1, s0
	s_sub_i32 s74, s1, s0
	s_sub_i32 s0, s56, s52
	s_add_i32 s2, s0, s74
	s_min_i32 s80, s83, s2
	s_cmp_gt_i32 s56, s52
	s_cselect_b64 s[8:9], -1, 0
	s_cmp_le_i32 s56, s52
	v_cvt_f16_f32_e32 v1, s6
	s_cselect_b64 s[0:1], -1, 0
	s_cmp_gt_i32 s83, s2
	s_cselect_b64 s[2:3], -1, 0
	s_or_b64 s[0:1], s[2:3], s[0:1]
	v_bfe_u32 v63, v0, 10, 10
	s_mov_b32 s59, 0
	s_and_b64 vcc, exec, s[0:1]
	v_pack_b32_f16 v69, v1, v1
	v_lshlrev_b32_e32 v65, 3, v63
	v_and_b32_e32 v67, 1, v63
	v_lshrrev_b32_e32 v61, 1, v63
	v_add_u32_e32 v82, 4, v63
	v_add_u32_e32 v81, 8, v63
	;; [unrolled: 1-line block ×7, first 2 shown]
	s_cbranch_vccz .LBB24_9
; %bb.7:
	s_andn2_b64 vcc, exec, s[8:9]
	s_cbranch_vccz .LBB24_272
.LBB24_8:
	s_endpgm
.LBB24_9:
	v_and_b32_e32 v18, 0x3ff, v0
	v_lshrrev_b32_e32 v4, 3, v18
	v_and_b32_e32 v1, 15, v18
	v_and_b32_e32 v4, 30, v4
	v_mul_u32_u24_e32 v2, 0x110, v1
	v_lshlrev_b32_e32 v5, 2, v4
	v_add3_u32 v83, 0, v2, v5
	v_lshrrev_b32_e32 v2, 4, v18
	s_cmp_eq_u64 s[20:21], 0
	v_and_b32_e32 v3, 0x7f0, v65
	v_lshl_add_u32 v10, v63, 2, v2
	v_lshlrev_b32_e32 v2, 2, v18
	v_lshlrev_b32_e32 v19, 4, v63
	v_lshrrev_b32_e32 v6, 2, v18
	v_writelane_b32 v255, s43, 6
	s_cselect_b64 s[0:1], -1, 0
	v_and_b32_e32 v2, 60, v2
	v_and_b32_e32 v11, 16, v19
	;; [unrolled: 1-line block ×3, first 2 shown]
	v_and_or_b32 v9, v18, 14, v3
	v_writelane_b32 v255, s0, 7
	s_cmp_lg_u64 s[22:23], 0
	s_movk_i32 s3, 0x90
	v_mul_u32_u24_e32 v5, 0x110, v10
	v_lshrrev_b32_e32 v9, 1, v9
	v_add_u16_e32 v12, v7, v11
	v_mul_u32_u24_e32 v14, 0x88, v7
	v_lshlrev_b32_e32 v17, 2, v2
	v_writelane_b32 v255, s1, 8
	s_cselect_b64 s[0:1], -1, 0
	v_add_u32_e32 v8, v7, v11
	v_lshrrev_b16_e32 v12, 1, v12
	v_and_b32_e32 v13, 8, v65
	v_or_b32_e32 v14, v14, v1
	v_or_b32_e32 v6, 3, v6
	s_movk_i32 s4, 0x220
	v_add3_u32 v84, 0, v5, v17
	v_mad_u32_u24 v5, v9, s3, 0
	v_writelane_b32 v255, s0, 9
	v_mul_u32_u24_e32 v15, 0x110, v7
	v_mul_u32_u24_e32 v6, 0x110, v6
	;; [unrolled: 1-line block ×3, first 2 shown]
	v_lshl_add_u32 v85, v12, 2, v5
	v_lshl_add_u32 v22, v8, 1, v5
	v_mad_u32_u24 v5, v13, s4, 0
	v_lshlrev_b32_e32 v8, 1, v14
	v_lshlrev_b32_e32 v9, 1, v1
	v_writelane_b32 v255, s1, 10
	s_movk_i32 s0, 0x110
	v_add_u32_e32 v86, v5, v8
	v_add3_u32 v87, v5, v15, v9
	v_add3_u32 v88, v5, v6, v9
	;; [unrolled: 1-line block ×3, first 2 shown]
	s_movk_i32 s5, 0x2200
	v_add_u32_e32 v89, v5, v8
	v_mad_u32_u24 v12, v7, s0, v5
	v_add3_u32 v91, v5, v6, v9
	v_add3_u32 v5, 0, 64, v16
	s_add_i32 s3, 0, 0x60
	v_add3_u32 v90, v12, v9, s5
	v_add_u32_e32 v92, v5, v8
	v_mad_u32_u24 v12, v7, s0, v5
	v_add3_u32 v94, v5, v6, v9
	v_mov_b32_e32 v5, s3
	v_mad_u32_u24 v5, v13, s4, v5
	s_add_i32 s3, 0, 0x80
	v_add3_u32 v93, v12, v9, s5
	v_add_u32_e32 v95, v5, v8
	v_mad_u32_u24 v12, v7, s0, v5
	v_add3_u32 v97, v5, v6, v9
	v_mov_b32_e32 v5, s3
	v_mad_u32_u24 v5, v13, s4, v5
	s_add_i32 s3, 0, 0xa0
	v_add3_u32 v96, v12, v9, s5
	v_add_u32_e32 v98, v5, v8
	v_mad_u32_u24 v12, v7, s0, v5
	v_add3_u32 v100, v5, v6, v9
	v_mov_b32_e32 v5, s3
	v_mad_u32_u24 v5, v13, s4, v5
	s_add_i32 s3, 0, 0xc0
	v_add3_u32 v99, v12, v9, s5
	v_add_u32_e32 v101, v5, v8
	v_mad_u32_u24 v12, v7, s0, v5
	v_add3_u32 v103, v5, v6, v9
	v_mov_b32_e32 v5, s3
	v_mad_u32_u24 v5, v13, s4, v5
	s_add_i32 s3, 0, 0xe0
	v_add3_u32 v102, v12, v9, s5
	v_add_u32_e32 v104, v5, v8
	v_mad_u32_u24 v12, v7, s0, v5
	v_add3_u32 v106, v5, v6, v9
	v_mov_b32_e32 v5, s3
	v_mad_u32_u24 v5, v13, s4, v5
	v_mad_u32_u24 v7, v7, s0, v5
	s_lshl_b32 s58, s49, 5
	s_ashr_i32 s43, s42, 31
	s_ashr_i32 s35, s34, 31
	s_lshl_b32 s1, s34, 4
	s_ashr_i32 s31, s30, 31
	s_lshl_b32 s2, s30, 4
	v_add3_u32 v105, v12, v9, s5
	v_add_u32_e32 v107, v5, v8
	v_add3_u32 v108, v7, v9, s5
	v_add3_u32 v109, v5, v6, v9
	s_lshl_b64 s[4:5], s[58:59], 3
	v_or_b32_e32 v5, v65, v18
	s_add_u32 s3, s26, s4
	v_lshlrev_b32_e32 v5, 3, v5
	s_movk_i32 s6, 0x44
	v_add_co_u32_e32 v20, vcc, s3, v5
	v_or_b32_e32 v5, v19, v1
	v_add_u32_e32 v24, 2, v61
	v_mad_u32_u24 v23, v5, s6, v4
	v_lshlrev_b32_e32 v4, 1, v24
	v_and_b32_e32 v5, 15, v24
	s_movk_i32 s7, 0x1e0
	v_add_u32_e32 v26, 4, v61
	v_and_or_b32 v25, v4, s7, v5
	v_lshlrev_b32_e32 v4, 1, v26
	v_and_b32_e32 v5, 15, v26
	v_add_u32_e32 v28, 6, v61
	v_and_or_b32 v27, v4, s7, v5
	v_lshlrev_b32_e32 v4, 1, v28
	v_and_b32_e32 v5, 15, v28
	;; [unrolled: 4-line block ×5, first 2 shown]
	v_add_u32_e32 v36, 14, v61
	v_add_u32_e32 v115, 64, v22
	;; [unrolled: 1-line block ×3, first 2 shown]
	v_mad_u32_u24 v22, v63, s6, v18
	v_and_or_b32 v35, v4, s7, v5
	v_lshlrev_b32_e32 v4, 1, v36
	v_and_b32_e32 v5, 15, v36
	v_add_u32_e32 v38, 18, v61
	v_lshl_add_u32 v117, v22, 2, 0
	v_or_b32_e32 v22, v19, v18
	v_and_or_b32 v37, v4, s7, v5
	v_lshlrev_b32_e32 v4, 1, v38
	v_and_b32_e32 v5, 15, v38
	v_add_u32_e32 v40, 20, v61
	v_mul_u32_u24_e32 v118, 0x110, v22
	v_and_b32_e32 v22, 31, v18
	v_and_or_b32 v39, v4, s7, v5
	v_lshlrev_b32_e32 v4, 1, v40
	v_and_b32_e32 v5, 15, v40
	v_add_u32_e32 v42, 22, v61
	v_or_b32_e32 v19, v19, v22
	v_lshl_add_u32 v120, v23, 2, 0
	v_add_u32_e32 v23, 16, v61
	v_and_or_b32 v41, v4, s7, v5
	v_lshlrev_b32_e32 v4, 1, v42
	v_and_b32_e32 v5, 15, v42
	v_add_u32_e32 v44, 24, v61
	s_movk_i32 s11, 0xe0
	v_mul_u32_u24_e32 v119, 0x110, v19
	v_bfe_u32 v19, v63, 1, 4
	v_lshlrev_b32_e32 v52, 1, v23
	v_writelane_b32 v255, s49, 11
	v_and_or_b32 v43, v4, s7, v5
	v_lshlrev_b32_e32 v4, 1, v44
	v_and_b32_e32 v5, 15, v44
	v_add_u32_e32 v46, 26, v61
	v_and_or_b32 v52, v52, s7, v19
	v_and_or_b32 v19, v63, s11, v19
	;; [unrolled: 1-line block ×3, first 2 shown]
	v_lshlrev_b32_e32 v4, 1, v46
	v_and_b32_e32 v5, 15, v46
	v_add_u32_e32 v48, 28, v61
	v_readlane_b32 s54, v255, 3
	v_mul_u32_u24_e32 v121, 0x110, v19
	v_mad_u32_u24 v19, v19, s6, v18
	s_addc_u32 s4, s27, s5
	v_and_or_b32 v47, v4, s7, v5
	v_lshlrev_b32_e32 v4, 1, v48
	v_and_b32_e32 v5, 15, v48
	s_abs_i32 s55, s54
	v_lshl_add_u32 v122, v19, 2, 0
	v_mad_u32_u24 v19, v25, s6, v18
	v_and_or_b32 v49, v4, s7, v5
	v_cvt_f32_u32_e32 v4, s55
	v_lshl_add_u32 v125, v19, 2, 0
	v_mad_u32_u24 v19, v27, s6, v18
	v_lshl_add_u32 v128, v19, 2, 0
	v_mad_u32_u24 v19, v29, s6, v18
	;; [unrolled: 2-line block ×3, first 2 shown]
	v_readlane_b32 s53, v255, 2
	v_lshl_add_u32 v134, v19, 2, 0
	v_mad_u32_u24 v19, v33, s6, v18
	v_rcp_iflag_f32_e32 v4, v4
	s_abs_i32 s84, s53
	v_lshl_add_u32 v137, v19, 2, 0
	v_mad_u32_u24 v19, v35, s6, v18
	v_cvt_f32_u32_e32 v7, s84
	v_lshl_add_u32 v140, v19, 2, 0
	v_mad_u32_u24 v19, v37, s6, v18
	v_lshl_add_u32 v143, v19, 2, 0
	v_mad_u32_u24 v19, v52, s6, v18
	v_mov_b32_e32 v6, s4
	v_add_u32_e32 v50, 30, v61
	v_readlane_b32 s49, v255, 1
	v_lshl_add_u32 v146, v19, 2, 0
	v_mad_u32_u24 v19, v39, s6, v18
	v_addc_co_u32_e32 v21, vcc, 0, v6, vcc
	v_lshlrev_b32_e32 v5, 1, v50
	v_and_b32_e32 v6, 15, v50
	v_mul_f32_e32 v4, 0x4f7ffffe, v4
	s_abs_i32 s85, s49
	s_abs_i32 s86, s10
	v_lshl_add_u32 v149, v19, 2, 0
	v_mad_u32_u24 v19, v41, s6, v18
	v_and_or_b32 v51, v5, s7, v6
	v_cvt_u32_f32_e32 v4, v4
	v_rcp_iflag_f32_e32 v5, v7
	v_cvt_f32_u32_e32 v6, s85
	v_cvt_f32_u32_e32 v7, s86
	v_lshl_add_u32 v152, v19, 2, 0
	v_mad_u32_u24 v19, v43, s6, v18
	v_lshl_add_u32 v155, v19, 2, 0
	v_mad_u32_u24 v19, v45, s6, v18
	;; [unrolled: 2-line block ×4, first 2 shown]
	v_readfirstlane_b32 s8, v4
	v_rcp_iflag_f32_e32 v4, v6
	v_rcp_iflag_f32_e32 v6, v7
	v_lshlrev_b32_e32 v111, 2, v2
	v_lshrrev_b32_e32 v2, 5, v18
	v_lshl_add_u32 v164, v19, 2, 0
	v_mad_u32_u24 v19, v51, s6, v18
	s_mov_b32 s4, s10
	v_lshl_add_u32 v113, v63, 1, v2
	v_mul_lo_u32 v2, s34, v10
	v_mul_lo_u32 v10, s30, v10
	v_lshl_add_u32 v167, v19, 2, 0
	v_lshlrev_b32_e32 v19, 2, v22
	v_writelane_b32 v255, s4, 12
	v_mul_u32_u24_e32 v114, 0x110, v11
	v_ashrrev_i32_e32 v11, 31, v10
	v_mov_b32_e32 v22, s19
	v_add_co_u32_e32 v168, vcc, s18, v19
	v_writelane_b32 v255, s5, 13
	v_add_u32_e32 v12, s2, v10
	v_cmp_gt_u32_e64 s[62:63], 32, v18
	v_lshrrev_b32_e32 v144, 1, v23
	v_addc_co_u32_e32 v169, vcc, 0, v22, vcc
	v_lshlrev_b64 v[22:23], 2, v[10:11]
	v_mul_f32_e32 v4, 0x4f7ffffe, v4
	v_mul_f32_e32 v6, 0x4f7ffffe, v6
	v_ashrrev_i32_e32 v13, 31, v12
	v_writelane_b32 v255, s62, 14
	v_mov_b32_e32 v10, s17
	v_add_co_u32_e32 v170, vcc, s16, v22
	v_cvt_u32_f32_e32 v4, v4
	v_cvt_u32_f32_e32 v6, v6
	v_add_u32_e32 v14, s2, v12
	v_writelane_b32 v255, s63, 15
	v_lshrrev_b32_e32 v123, 1, v24
	v_mul_u32_u24_e32 v124, 0x110, v25
	s_ashr_i32 s6, s54, 31
	v_addc_co_u32_e32 v171, vcc, v10, v23, vcc
	v_lshlrev_b64 v[24:25], 2, v[12:13]
	v_mul_f32_e32 v5, 0x4f7ffffe, v5
	v_ashrrev_i32_e32 v15, 31, v14
	v_writelane_b32 v255, s6, 16
	s_sub_i32 s6, 0, s55
	v_add_co_u32_e32 v172, vcc, s16, v24
	v_cvt_u32_f32_e32 v5, v5
	v_add_u32_e32 v16, s2, v14
	v_lshrrev_b32_e32 v126, 1, v26
	v_mul_u32_u24_e32 v127, 0x110, v27
	s_mul_i32 s6, s6, s8
	v_addc_co_u32_e32 v173, vcc, v10, v25, vcc
	v_lshlrev_b64 v[26:27], 2, v[14:15]
	s_sub_i32 s3, 0, s86
	v_ashrrev_i32_e32 v17, 31, v16
	s_mul_hi_u32 s6, s8, s6
	v_add_co_u32_e32 v174, vcc, s16, v26
	v_readfirstlane_b32 s10, v4
	v_mul_lo_u32 v4, s3, v6
	v_lshrrev_b32_e32 v129, 1, v28
	v_mul_u32_u24_e32 v130, 0x110, v29
	s_add_i32 s6, s8, s6
	v_addc_co_u32_e32 v175, vcc, v10, v27, vcc
	v_lshlrev_b64 v[28:29], 2, v[16:17]
	v_mul_hi_u32 v4, v6, v4
	v_mad_u32_u24 v112, v3, s0, v83
	v_ashrrev_i32_e32 v3, 31, v2
	v_writelane_b32 v255, s6, 17
	s_ashr_i32 s6, s53, 31
	v_add_co_u32_e32 v176, vcc, s16, v28
	v_readfirstlane_b32 s9, v5
	v_add_u32_e32 v110, v6, v4
	v_add_u32_e32 v4, s1, v2
	v_lshrrev_b32_e32 v132, 1, v30
	v_mul_u32_u24_e32 v133, 0x110, v31
	v_writelane_b32 v255, s6, 18
	s_sub_i32 s6, 0, s84
	v_addc_co_u32_e32 v177, vcc, v10, v29, vcc
	v_lshlrev_b64 v[30:31], 2, v[2:3]
	v_ashrrev_i32_e32 v5, 31, v4
	s_mul_i32 s6, s6, s9
	v_mov_b32_e32 v2, s15
	v_add_co_u32_e32 v178, vcc, s14, v30
	v_add_u32_e32 v6, s1, v4
	v_lshrrev_b32_e32 v135, 1, v32
	v_mul_u32_u24_e32 v136, 0x110, v33
	s_mul_hi_u32 s6, s9, s6
	v_addc_co_u32_e32 v179, vcc, v2, v31, vcc
	v_lshlrev_b64 v[32:33], 2, v[4:5]
	v_ashrrev_i32_e32 v7, 31, v6
	s_add_i32 s6, s9, s6
	v_add_co_u32_e32 v180, vcc, s14, v32
	v_add_u32_e32 v8, s1, v6
	v_lshrrev_b32_e32 v138, 1, v34
	v_mul_u32_u24_e32 v139, 0x110, v35
	v_writelane_b32 v255, s6, 19
	s_sub_i32 s6, 0, s85
	v_addc_co_u32_e32 v181, vcc, v2, v33, vcc
	v_lshlrev_b64 v[34:35], 2, v[6:7]
	v_ashrrev_i32_e32 v9, 31, v8
	s_mul_i32 s6, s6, s10
	v_add_co_u32_e32 v182, vcc, s14, v34
	v_lshrrev_b32_e32 v141, 1, v36
	v_mul_u32_u24_e32 v142, 0x110, v37
	s_mul_hi_u32 s6, s10, s6
	v_addc_co_u32_e32 v183, vcc, v2, v35, vcc
	v_lshlrev_b64 v[36:37], 2, v[8:9]
	s_add_i32 s94, s10, s6
	s_lshl_b64 s[6:7], s[42:43], 1
	v_add_co_u32_e32 v184, vcc, s14, v36
	v_writelane_b32 v255, s6, 20
	v_addc_co_u32_e32 v185, vcc, v2, v37, vcc
	v_lshlrev_b32_e32 v2, 1, v18
	v_lshrrev_b32_e32 v147, 1, v38
	v_writelane_b32 v255, s7, 21
	v_and_b32_e32 v38, 62, v2
	v_mbcnt_lo_u32_b32 v216, -1, 0
	s_movk_i32 s88, 0x80
	v_cmp_eq_u32_e64 s[0:1], 0, v67
	v_cmp_eq_u32_e64 s[2:3], 1, v67
	v_cmp_gt_u32_e64 s[4:5], 16, v18
	v_mul_u32_u24_e32 v145, 0x110, v52
	v_mul_u32_u24_e32 v148, 0x110, v39
	v_lshrrev_b32_e32 v150, 1, v40
	v_mul_u32_u24_e32 v151, 0x110, v41
	v_lshrrev_b32_e32 v153, 1, v42
	v_mul_u32_u24_e32 v154, 0x110, v43
	v_lshrrev_b32_e32 v156, 1, v44
	v_mul_u32_u24_e32 v157, 0x110, v45
	v_lshrrev_b32_e32 v159, 1, v46
	v_mul_u32_u24_e32 v160, 0x110, v47
	v_lshrrev_b32_e32 v162, 1, v48
	v_mul_u32_u24_e32 v163, 0x110, v49
	v_lshrrev_b32_e32 v165, 1, v50
	v_mul_u32_u24_e32 v166, 0x110, v51
	s_ashr_i32 s93, s49, 31
	s_lshl_b64 s[66:67], s[30:31], 8
	s_lshl_b64 s[68:69], s[34:35], 8
	s_mov_b32 s43, 0x3fb8aa3b
	s_mov_b32 s65, 0xc2ce8ed0
	;; [unrolled: 1-line block ×5, first 2 shown]
	v_mov_b32_e32 v186, 0
	v_mul_u32_u24_e32 v187, 0x90, v113
	v_add_u32_e32 v188, 8, v113
	v_lshl_add_u32 v189, v38, 1, 0
	v_add_u32_e32 v190, 0x1100, v84
	v_add_u32_e32 v191, 0x2200, v84
	;; [unrolled: 1-line block ×18, first 2 shown]
	v_lshrrev_b32_e32 v208, 1, v82
	v_lshrrev_b32_e32 v209, 1, v81
	;; [unrolled: 1-line block ×8, first 2 shown]
	v_lshlrev_b32_e32 v40, 4, v1
	v_mbcnt_hi_u32_b32 v217, -1, v216
	v_mov_b32_e32 v218, 0x7f800000
	v_and_b32_e32 v42, 1, v18
	v_bfe_u32 v44, v63, 1, 1
	v_writelane_b32 v255, s60, 22
	v_mad_u64_u32 v[46:47], s[6:7], v67, s60, v[18:19]
	s_branch .LBB24_12
.LBB24_10:                              ;   in Loop: Header=BB24_12 Depth=1
	s_or_b64 exec, exec, s[70:71]
	s_barrier
.LBB24_11:                              ;   in Loop: Header=BB24_12 Depth=1
	s_add_i32 s6, s52, s83
	s_abs_i32 s8, s6
	s_mul_hi_u32 s9, s8, s48
	s_mul_i32 s9, s9, s57
	s_sub_i32 s8, s8, s9
	s_ashr_i32 s7, s6, 31
	s_sub_i32 s9, s8, s57
	s_cmp_ge_u32 s8, s57
	s_cselect_b32 s8, s9, s8
	s_sub_i32 s9, s8, s57
	s_cmp_ge_u32 s8, s57
	s_cselect_b32 s8, s9, s8
	s_xor_b32 s8, s8, s7
	s_sub_i32 s7, s7, s8
	s_add_i32 s52, s6, s7
	s_sub_i32 s6, s56, s52
	s_min_i32 s80, s83, s6
	s_cmp_gt_i32 s56, s52
	s_cselect_b64 s[8:9], -1, 0
	s_cmp_le_i32 s83, s6
	s_cselect_b64 s[6:7], -1, 0
	s_and_b64 s[6:7], s[6:7], s[8:9]
	s_mov_b32 s74, 0
	s_and_b64 vcc, exec, s[6:7]
	s_cbranch_vccz .LBB24_271
.LBB24_12:                              ; =>This Loop Header: Depth=1
                                        ;     Child Loop BB24_182 Depth 2
                                        ;     Child Loop BB24_53 Depth 2
	s_ashr_i32 s6, s52, 31
	v_readlane_b32 s7, v255, 16
	s_xor_b32 s6, s6, s7
	s_abs_i32 s7, s52
	v_readlane_b32 s8, v255, 17
	s_mul_hi_u32 s8, s7, s8
	s_mul_i32 s9, s8, s55
	s_sub_i32 s7, s7, s9
	s_add_i32 s9, s8, 1
	s_sub_i32 s10, s7, s55
	s_cmp_ge_u32 s7, s55
	s_cselect_b32 s8, s9, s8
	s_cselect_b32 s7, s10, s7
	s_add_i32 s9, s8, 1
	s_cmp_ge_u32 s7, s55
	s_cselect_b32 s7, s9, s8
	s_xor_b32 s7, s7, s6
	s_sub_i32 s7, s7, s6
	v_readlane_b32 s6, v255, 3
	s_mul_i32 s6, s7, s6
	s_sub_i32 s6, s52, s6
	s_ashr_i32 s8, s6, 31
	v_readlane_b32 s9, v255, 18
	s_xor_b32 s8, s8, s9
	s_abs_i32 s9, s6
	v_readlane_b32 s10, v255, 19
	s_mul_hi_u32 s10, s9, s10
	s_mul_i32 s11, s10, s84
	s_sub_i32 s9, s9, s11
	s_add_i32 s11, s10, 1
	s_sub_i32 s49, s9, s84
	s_cmp_ge_u32 s9, s84
	s_cselect_b32 s10, s11, s10
	s_cselect_b32 s9, s49, s9
	s_add_i32 s11, s10, 1
	s_cmp_ge_u32 s9, s84
	s_cselect_b32 s9, s11, s10
	s_xor_b32 s9, s9, s8
	s_sub_i32 s8, s9, s8
	v_readlane_b32 s9, v255, 2
	s_mul_i32 s9, s8, s9
	s_sub_i32 s9, s6, s9
	s_abs_i32 s10, s9
	s_mul_hi_u32 s11, s10, s94
	s_mul_i32 s49, s11, s85
	s_ashr_i32 s6, s9, 31
	s_sub_i32 s10, s10, s49
	s_xor_b32 s6, s6, s93
	s_add_i32 s49, s11, 1
	s_sub_i32 s58, s10, s85
	s_cmp_ge_u32 s10, s85
	s_cselect_b32 s11, s49, s11
	s_cselect_b32 s10, s58, s10
	s_add_i32 s49, s11, 1
	s_cmp_ge_u32 s10, s85
	s_cselect_b32 s10, s49, s11
	s_xor_b32 s10, s10, s6
	s_sub_i32 s6, s10, s6
	v_readlane_b32 s10, v255, 1
	s_mul_i32 s10, s6, s10
	s_sub_i32 s9, s9, s10
	s_ashr_i32 s10, s9, 31
	s_abs_i32 s9, s9
	s_mul_hi_u32 s11, s9, s48
	s_mul_i32 s49, s11, s57
	s_sub_i32 s9, s9, s49
	s_xor_b32 s10, s10, s38
	s_add_i32 s49, s11, 1
	s_sub_i32 s58, s9, s57
	s_cmp_ge_u32 s9, s57
	s_cselect_b32 s11, s49, s11
	s_cselect_b32 s9, s58, s9
	s_add_i32 s49, s11, 1
	s_cmp_ge_u32 s9, s57
	s_cselect_b32 s9, s49, s11
	v_readlane_b32 s60, v255, 9
	s_xor_b32 s9, s9, s10
	v_readlane_b32 s61, v255, 10
	s_andn2_b64 vcc, exec, s[60:61]
	s_sub_i32 s91, s9, s10
	s_cbranch_vccnz .LBB24_14
; %bb.13:                               ;   in Loop: Header=BB24_12 Depth=1
	v_readlane_b32 s9, v255, 0
	s_mul_i32 s9, s7, s9
	s_add_i32 s10, s91, s9
	s_ashr_i32 s11, s10, 31
	s_lshl_b64 s[10:11], s[10:11], 2
	s_add_u32 s10, s22, s10
	s_addc_u32 s11, s23, s11
	global_load_dword v1, v186, s[10:11]
	s_waitcnt vmcnt(0)
	v_readfirstlane_b32 s9, v1
	s_ashr_i32 s10, s9, 31
	s_lshr_b32 s10, s10, 26
	s_add_i32 s9, s9, s10
	s_ashr_i32 s9, s9, 6
	s_min_i32 s80, s80, s9
.LBB24_14:                              ;   in Loop: Header=BB24_12 Depth=1
	s_mul_i32 s9, s8, s78
	s_lshl_b32 s64, s6, 1
	s_mul_i32 s6, s7, s51
	s_add_i32 s70, s64, s9
	s_ashr_i32 s9, s6, 31
	s_add_u32 s6, s12, s6
	s_mul_i32 s10, s70, s50
	s_addc_u32 s9, s13, s9
	s_ashr_i32 s11, s10, 31
	s_add_u32 s89, s6, s10
	s_addc_u32 s90, s9, s11
	s_ashr_i32 s9, s7, 31
	s_mul_i32 s6, s7, s37
	s_mul_hi_u32 s10, s7, s36
	s_add_i32 s6, s10, s6
	s_mul_i32 s10, s9, s36
	v_readlane_b32 s60, v255, 4
	s_add_i32 s81, s6, s10
	s_mul_i32 s82, s7, s36
	v_readlane_b32 s61, v255, 5
	s_add_u32 s6, s14, s82
	s_mul_i32 s79, s8, s61
	s_addc_u32 s11, s15, s81
	s_ashr_i32 s60, s79, 31
	s_add_u32 s10, s6, s79
	s_addc_u32 s11, s11, s60
	s_abs_i32 s6, s7
	v_mul_hi_u32 v1, s6, v110
	v_mul_lo_u32 v1, v1, s86
	v_sub_u32_e32 v1, s6, v1
	s_mul_i32 s6, s28, s29
	v_subrev_u32_e32 v2, s86, v1
	v_cmp_le_u32_e32 vcc, s86, v1
	s_mul_i32 s6, s6, s7
	v_cndmask_b32_e32 v1, v1, v2, vcc
	s_add_i32 s6, s70, s6
	v_subrev_u32_e32 v2, s86, v1
	v_cmp_le_u32_e32 vcc, s86, v1
	s_lshl_b32 s58, s6, 6
	v_cndmask_b32_e32 v1, v1, v2, vcc
	s_lshl_b64 s[62:63], s[58:59], 3
	v_xor_b32_e32 v1, s9, v1
	s_add_u32 s6, s24, s62
	s_mul_i32 s49, s7, s45
	s_mul_hi_u32 s58, s7, s44
	v_subrev_u32_e32 v1, s9, v1
	s_addc_u32 s87, s25, s63
	s_add_i32 s49, s58, s49
	s_mul_i32 s9, s9, s44
	s_add_i32 s58, s49, s9
	s_mul_i32 s61, s7, s44
	s_add_u32 s7, s16, s61
	s_mul_i32 s62, s8, s39
	s_addc_u32 s9, s17, s58
	s_ashr_i32 s63, s62, 31
	s_add_u32 s49, s7, s62
	s_addc_u32 s7, s9, s63
	s_ashr_i32 s71, s70, 31
	s_lshl_b64 s[8:9], s[70:71], 2
	v_ashrrev_i32_e32 v2, 31, v1
	v_mul_lo_u32 v3, v1, s47
	v_mul_hi_u32 v4, v1, s46
	s_add_u32 s70, s20, s8
	v_add_u32_e32 v3, v4, v3
	v_mul_lo_u32 v2, v2, s46
	v_mul_lo_u32 v48, v1, s46
	s_addc_u32 s71, s21, s9
	v_readlane_b32 s8, v255, 7
	v_add_u32_e32 v49, v3, v2
	v_mov_b32_e32 v1, s19
	v_add_co_u32_e32 v219, vcc, s18, v48
	v_readlane_b32 s9, v255, 8
	v_addc_co_u32_e32 v220, vcc, v1, v49, vcc
	s_and_b64 s[8:9], s[8:9], exec
	v_or_b32_e32 v39, s64, v67
	s_cselect_b32 s71, 0, s71
	s_cselect_b32 s70, 0, s70
	s_cmp_lg_u32 s74, 0
	v_cmp_gt_i32_e32 vcc, s78, v39
	s_cbranch_scc0 .LBB24_49
; %bb.15:                               ;   in Loop: Header=BB24_12 Depth=1
	s_lshl_b32 s92, s91, 4
	v_add_u32_e32 v1, s92, v61
	v_cmp_le_i32_e64 s[8:9], s28, v1
	s_xor_b64 s[72:73], vcc, -1
	s_or_b64 s[8:9], s[8:9], s[72:73]
	s_and_saveexec_b64 s[76:77], s[8:9]
	s_xor_b64 s[8:9], exec, s[76:77]
	s_cbranch_execz .LBB24_17
; %bb.16:                               ;   in Loop: Header=BB24_12 Depth=1
	ds_write_b32 v117, v186
                                        ; implicit-def: $vgpr1
.LBB24_17:                              ;   in Loop: Header=BB24_12 Depth=1
	s_andn2_saveexec_b64 s[8:9], s[8:9]
	s_cbranch_execz .LBB24_19
; %bb.18:                               ;   in Loop: Header=BB24_12 Depth=1
	v_mad_u64_u32 v[2:3], s[76:77], v1, s33, v[46:47]
	v_ashrrev_i32_e32 v3, 31, v2
	v_lshlrev_b64 v[2:3], 3, v[2:3]
	v_mov_b32_e32 v1, s90
	v_add_co_u32_e32 v2, vcc, s89, v2
	v_addc_co_u32_e32 v3, vcc, v1, v3, vcc
	global_load_dwordx2 v[2:3], v[2:3], off
	s_waitcnt vmcnt(0)
	v_cvt_f16_f32_e32 v1, v2
	v_cvt_f16_f32_e32 v2, v3
	v_pack_b32_f16 v1, v1, v2
	v_pk_mul_f16 v1, v69, v1
	ds_write_b32 v117, v1
.LBB24_19:                              ;   in Loop: Header=BB24_12 Depth=1
	s_or_b64 exec, exec, s[8:9]
	v_add_u32_e32 v1, s92, v208
	v_cmp_le_i32_e32 vcc, s28, v1
	s_or_b64 s[8:9], vcc, s[72:73]
	s_and_saveexec_b64 s[76:77], s[8:9]
	s_xor_b64 s[8:9], exec, s[76:77]
	s_cbranch_execz .LBB24_21
; %bb.20:                               ;   in Loop: Header=BB24_12 Depth=1
	ds_write_b32 v117, v186 offset:1088
                                        ; implicit-def: $vgpr1
.LBB24_21:                              ;   in Loop: Header=BB24_12 Depth=1
	s_andn2_saveexec_b64 s[8:9], s[8:9]
	s_cbranch_execz .LBB24_23
; %bb.22:                               ;   in Loop: Header=BB24_12 Depth=1
	v_mad_u64_u32 v[2:3], s[76:77], v1, s33, v[46:47]
	v_ashrrev_i32_e32 v3, 31, v2
	v_lshlrev_b64 v[2:3], 3, v[2:3]
	v_mov_b32_e32 v1, s90
	v_add_co_u32_e32 v2, vcc, s89, v2
	v_addc_co_u32_e32 v3, vcc, v1, v3, vcc
	global_load_dwordx2 v[2:3], v[2:3], off
	s_waitcnt vmcnt(0)
	v_cvt_f16_f32_e32 v1, v2
	v_cvt_f16_f32_e32 v2, v3
	v_pack_b32_f16 v1, v1, v2
	v_pk_mul_f16 v1, v69, v1
	ds_write_b32 v117, v1 offset:1088
.LBB24_23:                              ;   in Loop: Header=BB24_12 Depth=1
	s_or_b64 exec, exec, s[8:9]
	v_add_u32_e32 v1, s92, v209
	v_cmp_le_i32_e32 vcc, s28, v1
	s_or_b64 s[8:9], vcc, s[72:73]
	s_and_saveexec_b64 s[76:77], s[8:9]
	s_xor_b64 s[8:9], exec, s[76:77]
	s_cbranch_execz .LBB24_25
; %bb.24:                               ;   in Loop: Header=BB24_12 Depth=1
	ds_write_b32 v117, v186 offset:2176
                                        ; implicit-def: $vgpr1
.LBB24_25:                              ;   in Loop: Header=BB24_12 Depth=1
	s_andn2_saveexec_b64 s[8:9], s[8:9]
	s_cbranch_execz .LBB24_27
; %bb.26:                               ;   in Loop: Header=BB24_12 Depth=1
	v_mad_u64_u32 v[2:3], s[76:77], v1, s33, v[46:47]
	v_ashrrev_i32_e32 v3, 31, v2
	v_lshlrev_b64 v[2:3], 3, v[2:3]
	v_mov_b32_e32 v1, s90
	v_add_co_u32_e32 v2, vcc, s89, v2
	v_addc_co_u32_e32 v3, vcc, v1, v3, vcc
	global_load_dwordx2 v[2:3], v[2:3], off
	s_waitcnt vmcnt(0)
	v_cvt_f16_f32_e32 v1, v2
	v_cvt_f16_f32_e32 v2, v3
	v_pack_b32_f16 v1, v1, v2
	v_pk_mul_f16 v1, v69, v1
	ds_write_b32 v117, v1 offset:2176
.LBB24_27:                              ;   in Loop: Header=BB24_12 Depth=1
	;; [unrolled: 28-line block ×7, first 2 shown]
	s_or_b64 exec, exec, s[8:9]
	s_waitcnt lgkmcnt(0)
	s_barrier
	ds_read2_b64 v[14:17], v112 offset1:4
	ds_read2_b64 v[10:13], v112 offset0:8 offset1:12
	ds_read2_b64 v[6:9], v112 offset0:16 offset1:20
	;; [unrolled: 1-line block ×3, first 2 shown]
	s_add_i32 s72, s80, -1
	v_add_u32_e32 v224, s92, v113
	v_add_u32_e32 v58, s92, v188
	s_cmp_gt_i32 s72, s74
	v_mul_hi_u32 v225, s40, v224
	v_mul_hi_u32 v59, s40, v58
	s_waitcnt lgkmcnt(0)
	s_barrier
	s_cbranch_scc1 .LBB24_50
; %bb.48:                               ;   in Loop: Header=BB24_12 Depth=1
	v_add_u32_e32 v1, v224, v225
	v_lshrrev_b32_e32 v1, s41, v1
	v_mul_lo_u32 v1, v1, s28
	v_sub_u32_e32 v1, v224, v1
	v_mad_i64_i32 v[52:53], s[8:9], v1, s42, 0
	v_add_u32_e32 v1, v58, v59
	v_lshrrev_b32_e32 v1, s41, v1
	v_mul_lo_u32 v1, v1, s28
	v_sub_u32_e32 v1, v58, v1
	v_mad_i64_i32 v[54:55], s[8:9], v1, s42, 0
	v_and_b32_e32 v1, 64, v217
	s_mov_b32 s73, 0
	v_add_u32_e32 v1, 64, v1
	v_xor_b32_e32 v41, 32, v217
	v_xor_b32_e32 v19, 16, v217
	s_mov_b64 s[8:9], 0
	s_mov_b32 s75, 0xfeffffff
	s_branch .LBB24_51
.LBB24_49:                              ;   in Loop: Header=BB24_12 Depth=1
	s_cbranch_execz .LBB24_11
	s_branch .LBB24_145
.LBB24_50:                              ;   in Loop: Header=BB24_12 Depth=1
	s_mov_b64 s[8:9], -1
                                        ; implicit-def: $sgpr73
                                        ; implicit-def: $sgpr75
                                        ; implicit-def: $vgpr52_vgpr53
                                        ; implicit-def: $vgpr54_vgpr55
                                        ; implicit-def: $vgpr1
                                        ; implicit-def: $vgpr41
                                        ; implicit-def: $vgpr19
.LBB24_51:                              ;   in Loop: Header=BB24_12 Depth=1
	s_andn2_b64 vcc, exec, s[8:9]
	v_mov_b32_e32 v47, s73
	v_mov_b32_e32 v45, s73
	;; [unrolled: 1-line block ×19, first 2 shown]
	s_cbranch_vccnz .LBB24_54
; %bb.52:                               ;   in Loop: Header=BB24_12 Depth=1
	v_lshlrev_b32_e32 v1, 1, v38
	v_add_co_u32_e32 v77, vcc, v219, v1
	v_add_u32_e32 v1, v224, v225
	v_lshrrev_b32_e32 v1, s41, v1
	v_mul_lo_u32 v1, v1, s28
	v_sub_u32_e32 v1, v224, v1
	v_mad_i64_i32 v[52:53], s[8:9], v1, s42, 0
	v_add_u32_e32 v1, v58, v59
	v_lshrrev_b32_e32 v1, s41, v1
	v_mul_lo_u32 v1, v1, s28
	v_sub_u32_e32 v1, v58, v1
	v_mbcnt_hi_u32_b32 v43, -1, v216
	v_mad_i64_i32 v[54:55], s[8:9], v1, s42, 0
	v_and_b32_e32 v1, 64, v43
	v_addc_co_u32_e32 v221, vcc, 0, v220, vcc
	v_add_u32_e32 v1, 64, v1
	v_xor_b32_e32 v41, 32, v43
	v_cmp_lt_i32_e32 vcc, v41, v1
	v_cndmask_b32_e32 v19, v43, v41, vcc
	v_lshlrev_b32_e32 v224, 2, v19
	v_xor_b32_e32 v19, 16, v43
	v_cmp_lt_i32_e32 vcc, v19, v1
	v_cndmask_b32_e32 v45, v43, v19, vcc
	v_mov_b32_e32 v56, 0
	v_lshlrev_b32_e32 v225, 2, v45
	s_lshl_b32 s8, s74, 6
	v_mov_b32_e32 v45, 0
	v_mov_b32_e32 v50, 0xfeffffff
	;; [unrolled: 1-line block ×17, first 2 shown]
.LBB24_53:                              ;   Parent Loop BB24_12 Depth=1
                                        ; =>  This Inner Loop Header: Depth=2
	s_ashr_i32 s9, s8, 31
	s_lshl_b64 s[76:77], s[8:9], 1
	s_nop 1
	v_mov_b32_e32 v59, v50
	v_mov_b32_e32 v58, v45
	v_add_co_u32_e32 v45, vcc, s76, v77
	v_mov_b32_e32 v50, s77
	v_addc_co_u32_e32 v50, vcc, v221, v50, vcc
	v_lshlrev_b64 v[226:227], 1, v[52:53]
	v_add_co_u32_e32 v226, vcc, v45, v226
	v_addc_co_u32_e32 v227, vcc, v50, v227, vcc
	global_load_dword v226, v[226:227], off
	v_add_u32_e32 v228, v189, v187
	s_mul_hi_i32 s77, s8, s34
	s_mul_i32 s76, s8, s34
	s_lshl_b64 s[76:77], s[76:77], 2
	s_add_u32 s9, s10, s76
	s_addc_u32 s73, s11, s77
	s_mul_hi_i32 s77, s8, s30
	s_mul_i32 s76, s8, s30
	s_lshl_b64 s[76:77], s[76:77], 2
	s_waitcnt vmcnt(0)
	ds_write_b32 v228, v226 offset:17408
	v_lshlrev_b64 v[226:227], 1, v[54:55]
	v_add_co_u32_e32 v226, vcc, v45, v226
	v_addc_co_u32_e32 v227, vcc, v50, v227, vcc
	global_load_dword v45, v[226:227], off
	v_mov_b32_e32 v50, s73
	s_waitcnt vmcnt(0)
	ds_write_b32 v228, v45 offset:18560
	v_add_co_u32_e32 v45, vcc, s9, v30
	v_addc_co_u32_e32 v50, vcc, v50, v31, vcc
	v_add_co_u32_e32 v226, vcc, v45, v111
	v_addc_co_u32_e32 v227, vcc, 0, v50, vcc
	global_load_dwordx4 v[226:229], v[226:227], off
	v_add_co_u32_e32 v45, vcc, s9, v32
	v_mov_b32_e32 v50, s73
	v_addc_co_u32_e32 v50, vcc, v50, v33, vcc
	s_waitcnt vmcnt(0)
	ds_write_b128 v84, v[226:229]
	v_add_co_u32_e32 v226, vcc, v45, v111
	v_addc_co_u32_e32 v227, vcc, 0, v50, vcc
	global_load_dwordx4 v[226:229], v[226:227], off
	v_add_co_u32_e32 v45, vcc, s9, v34
	v_mov_b32_e32 v50, s73
	v_addc_co_u32_e32 v50, vcc, v50, v35, vcc
	s_waitcnt vmcnt(0)
	ds_write_b128 v190, v[226:229]
	v_add_co_u32_e32 v226, vcc, v45, v111
	v_addc_co_u32_e32 v227, vcc, 0, v50, vcc
	global_load_dwordx4 v[226:229], v[226:227], off
	v_add_co_u32_e32 v45, vcc, s9, v36
	v_mov_b32_e32 v50, s73
	v_addc_co_u32_e32 v50, vcc, v50, v37, vcc
	s_add_u32 s9, s49, s76
	s_addc_u32 s73, s7, s77
	s_add_i32 s74, s74, 1
	s_add_i32 s8, s8, 64
	s_cmp_lt_i32 s74, s72
	s_waitcnt vmcnt(0)
	ds_write_b128 v191, v[226:229]
	v_add_co_u32_e32 v226, vcc, v45, v111
	v_addc_co_u32_e32 v227, vcc, 0, v50, vcc
	global_load_dwordx4 v[226:229], v[226:227], off
	v_add_u32_e32 v45, v83, v114
	s_waitcnt vmcnt(0)
	ds_write_b128 v192, v[226:229]
	s_waitcnt lgkmcnt(0)
	s_barrier
	ds_read2_b64 v[226:229], v45 offset1:4
	s_waitcnt lgkmcnt(0)
	v_mfma_f32_16x16x16f16 v[230:233], v[226:227], v[14:15], 0
	v_mfma_f32_16x16x16f16 v[226:229], v[228:229], v[16:17], v[230:233]
	s_nop 7
	s_nop 1
	ds_read2_b64 v[230:233], v45 offset0:8 offset1:12
	s_waitcnt lgkmcnt(0)
	v_mfma_f32_16x16x16f16 v[226:229], v[230:231], v[10:11], v[226:229]
	v_mfma_f32_16x16x16f16 v[226:229], v[232:233], v[12:13], v[226:229]
	ds_read2_b64 v[230:233], v45 offset0:16 offset1:20
	s_waitcnt lgkmcnt(0)
	v_mfma_f32_16x16x16f16 v[226:229], v[230:231], v[6:7], v[226:229]
	v_mfma_f32_16x16x16f16 v[226:229], v[232:233], v[8:9], v[226:229]
	ds_read2_b64 v[230:233], v45 offset0:24 offset1:28
	v_add_u32_e32 v45, 0x2000, v45
	s_waitcnt lgkmcnt(0)
	v_mfma_f32_16x16x16f16 v[226:229], v[230:231], v[2:3], v[226:229]
	v_mfma_f32_16x16x16f16 v[226:229], v[232:233], v[4:5], v[226:229]
	ds_read2_b64 v[230:233], v45 offset0:64 offset1:68
	s_waitcnt lgkmcnt(0)
	v_mfma_f32_16x16x16f16 v[234:237], v[230:231], v[14:15], 0
	v_mfma_f32_16x16x16f16 v[230:233], v[232:233], v[16:17], v[234:237]
	s_nop 7
	s_nop 1
	ds_read2_b64 v[234:237], v45 offset0:72 offset1:76
	s_waitcnt lgkmcnt(0)
	v_mfma_f32_16x16x16f16 v[230:233], v[234:235], v[10:11], v[230:233]
	v_mfma_f32_16x16x16f16 v[230:233], v[236:237], v[12:13], v[230:233]
	ds_read2_b64 v[234:237], v45 offset0:80 offset1:84
	s_waitcnt lgkmcnt(0)
	v_mfma_f32_16x16x16f16 v[230:233], v[234:235], v[6:7], v[230:233]
	v_mfma_f32_16x16x16f16 v[230:233], v[236:237], v[8:9], v[230:233]
	ds_read2_b64 v[234:237], v45 offset0:88 offset1:92
	v_add_u32_e32 v45, 0x4400, v85
	s_waitcnt lgkmcnt(0)
	s_barrier
	v_mfma_f32_16x16x16f16 v[230:233], v[234:235], v[2:3], v[230:233]
	ds_read2_b32 v[234:235], v45 offset1:1
	ds_read_b32 v45, v115 offset:17408
	ds_read_b32 v50, v116 offset:17408
	v_mfma_f32_16x16x16f16 v[230:233], v[236:237], v[4:5], v[230:233]
	s_waitcnt lgkmcnt(2)
	v_cvt_f32_f16_e32 v236, v234
	v_cvt_f32_f16_sdwa v237, v234 dst_sel:DWORD dst_unused:UNUSED_PAD src0_sel:WORD_1
	v_pk_add_f32 v[226:227], v[226:227], v[236:237]
	v_add_f32_e32 v234, 0x40051340, v226
	v_add_f32_e32 v236, 0x40051340, v227
	v_max3_f32 v238, v59, v234, v236
	s_waitcnt lgkmcnt(0)
	v_cvt_f32_f16_sdwa v237, v50 dst_sel:DWORD dst_unused:UNUSED_PAD src0_sel:WORD_1
	v_cvt_f32_f16_e32 v236, v50
	v_cvt_f32_f16_e32 v234, v235
	v_cvt_f32_f16_sdwa v235, v235 dst_sel:DWORD dst_unused:UNUSED_PAD src0_sel:WORD_1
	v_pk_add_f32 v[232:233], v[232:233], v[236:237]
	v_cvt_f32_f16_sdwa v237, v45 dst_sel:DWORD dst_unused:UNUSED_PAD src0_sel:WORD_1
	v_cvt_f32_f16_e32 v236, v45
	v_pk_add_f32 v[228:229], v[228:229], v[234:235]
	v_add_f32_e32 v234, 0x40051340, v228
	v_add_f32_e32 v235, 0x40051340, v229
	v_pk_add_f32 v[230:231], v[230:231], v[236:237]
	v_add_f32_e32 v45, 0x40051340, v230
	v_add_f32_e32 v236, 0x40051340, v231
	v_max3_f32 v234, v238, v234, v235
	v_add_f32_e32 v50, 0x40051340, v232
	v_add_f32_e32 v239, 0x40051340, v233
	v_max3_f32 v45, v234, v45, v236
	v_max3_f32 v45, v45, v50, v239
	ds_bpermute_b32 v50, v224, v45
	s_waitcnt lgkmcnt(0)
	v_max_f32_e32 v50, v50, v50
	v_max_f32_e32 v45, v45, v50
	ds_bpermute_b32 v50, v225, v45
	s_waitcnt lgkmcnt(0)
	v_max_f32_e32 v50, v50, v50
	v_max_f32_e32 v50, v45, v50
	v_pk_add_f32 v[226:227], v[226:227], v[50:51] op_sel_hi:[1,0] neg_lo:[0,1] neg_hi:[0,1]
	v_mul_f32_e32 v45, 0x3fb8aa3b, v227
	v_fma_f32 v234, v227, s43, -v45
	v_rndne_f32_e32 v235, v45
	v_fmac_f32_e32 v234, 0x32a5705f, v227
	v_sub_f32_e32 v45, v45, v235
	v_add_f32_e32 v45, v45, v234
	v_exp_f32_e32 v45, v45
	v_cvt_i32_f32_e32 v234, v235
	v_cmp_ngt_f32_e32 vcc, s65, v227
	v_sub_f32_e32 v59, v59, v50
	v_ldexp_f32 v45, v45, v234
	v_cndmask_b32_e32 v45, 0, v45, vcc
	v_cmp_nlt_f32_e32 vcc, s95, v227
	v_cndmask_b32_e32 v234, v218, v45, vcc
	v_mul_f32_e32 v45, 0x3fb8aa3b, v226
	v_fma_f32 v227, v226, s43, -v45
	v_rndne_f32_e32 v235, v45
	v_fmac_f32_e32 v227, 0x32a5705f, v226
	v_sub_f32_e32 v45, v45, v235
	v_add_f32_e32 v45, v45, v227
	v_exp_f32_e32 v45, v45
	v_cvt_i32_f32_e32 v227, v235
	v_cmp_ngt_f32_e32 vcc, s65, v226
	v_ldexp_f32 v45, v45, v227
	v_cndmask_b32_e32 v45, 0, v45, vcc
	v_cmp_nlt_f32_e32 vcc, s95, v226
	v_pk_add_f32 v[226:227], v[228:229], v[50:51] op_sel_hi:[1,0] neg_lo:[0,1] neg_hi:[0,1]
	v_cndmask_b32_e32 v235, v218, v45, vcc
	v_mul_f32_e32 v45, 0x3fb8aa3b, v227
	v_fma_f32 v228, v227, s43, -v45
	v_rndne_f32_e32 v229, v45
	v_fmac_f32_e32 v228, 0x32a5705f, v227
	v_sub_f32_e32 v45, v45, v229
	v_add_f32_e32 v45, v45, v228
	v_exp_f32_e32 v45, v45
	v_cvt_i32_f32_e32 v228, v229
	v_cmp_ngt_f32_e32 vcc, s65, v227
	v_ldexp_f32 v45, v45, v228
	v_cndmask_b32_e32 v45, 0, v45, vcc
	v_cmp_nlt_f32_e32 vcc, s95, v227
	v_cndmask_b32_e32 v228, v218, v45, vcc
	v_mul_f32_e32 v45, 0x3fb8aa3b, v226
	v_fma_f32 v227, v226, s43, -v45
	v_rndne_f32_e32 v229, v45
	v_fmac_f32_e32 v227, 0x32a5705f, v226
	v_sub_f32_e32 v45, v45, v229
	v_add_f32_e32 v45, v45, v227
	v_exp_f32_e32 v45, v45
	v_cvt_i32_f32_e32 v227, v229
	v_cmp_ngt_f32_e32 vcc, s65, v226
	v_ldexp_f32 v45, v45, v227
	v_cndmask_b32_e32 v45, 0, v45, vcc
	v_cmp_nlt_f32_e32 vcc, s95, v226
	v_pk_add_f32 v[226:227], v[230:231], v[50:51] op_sel_hi:[1,0] neg_lo:[0,1] neg_hi:[0,1]
	v_cndmask_b32_e32 v229, v218, v45, vcc
	v_mul_f32_e32 v45, 0x3fb8aa3b, v227
	v_fma_f32 v230, v227, s43, -v45
	v_rndne_f32_e32 v231, v45
	v_fmac_f32_e32 v230, 0x32a5705f, v227
	v_sub_f32_e32 v45, v45, v231
	v_add_f32_e32 v45, v45, v230
	v_exp_f32_e32 v45, v45
	v_cvt_i32_f32_e32 v230, v231
	v_cmp_ngt_f32_e32 vcc, s65, v227
	;; [unrolled: 27-line block ×3, first 2 shown]
	v_ldexp_f32 v45, v45, v232
	v_cndmask_b32_e32 v45, 0, v45, vcc
	v_cmp_nlt_f32_e32 vcc, s95, v227
	v_cndmask_b32_e32 v232, v218, v45, vcc
	v_mul_f32_e32 v45, 0x3fb8aa3b, v226
	v_fma_f32 v227, v226, s43, -v45
	v_rndne_f32_e32 v233, v45
	v_fmac_f32_e32 v227, 0x32a5705f, v226
	v_sub_f32_e32 v45, v45, v233
	v_add_f32_e32 v45, v45, v227
	v_exp_f32_e32 v45, v45
	v_cvt_i32_f32_e32 v227, v233
	v_cmp_ngt_f32_e32 vcc, s65, v226
	v_ldexp_f32 v45, v45, v227
	v_cndmask_b32_e32 v45, 0, v45, vcc
	v_cmp_nlt_f32_e32 vcc, s95, v226
	v_mul_f32_e32 v226, 0x3fb8aa3b, v59
	v_fma_f32 v227, v59, s43, -v226
	v_rndne_f32_e32 v236, v226
	v_fmac_f32_e32 v227, 0x32a5705f, v59
	v_sub_f32_e32 v226, v226, v236
	v_add_f32_e32 v226, v226, v227
	v_exp_f32_e32 v226, v226
	v_cvt_i32_f32_e32 v227, v236
	v_cndmask_b32_e32 v233, v218, v45, vcc
	v_add_f32_e32 v45, v235, v234
	v_add_f32_e32 v45, v229, v45
	;; [unrolled: 1-line block ×4, first 2 shown]
	v_ldexp_f32 v226, v226, v227
	v_cmp_ngt_f32_e32 vcc, s65, v59
	v_add_f32_e32 v45, v230, v45
	v_cndmask_b32_e32 v226, 0, v226, vcc
	v_cmp_nlt_f32_e32 vcc, s95, v59
	v_add_f32_e32 v45, v233, v45
	v_cndmask_b32_e32 v226, v218, v226, vcc
	v_cmp_le_f32_e32 vcc, s54, v59
	v_add_f32_e32 v45, v232, v45
	v_cndmask_b32_e32 v59, 0, v226, vcc
	v_fmac_f32_e32 v45, v58, v59
	v_cvt_f16_f32_e32 v58, v59
	v_pk_mul_f16 v227, v58, v56 op_sel_hi:[0,1]
	v_pk_mul_f16 v226, v58, v57 op_sel_hi:[0,1]
	v_cvt_f16_f32_e32 v56, v235
	v_cvt_f16_f32_e32 v57, v234
	v_pk_mul_f16 v51, v58, v51 op_sel_hi:[0,1]
	v_pk_mul_f16 v47, v58, v47 op_sel_hi:[0,1]
	;; [unrolled: 1-line block ×14, first 2 shown]
	v_pack_b32_f16 v58, v56, v57
	v_cvt_f16_f32_e32 v56, v228
	v_cvt_f16_f32_e32 v57, v229
	;; [unrolled: 1-line block ×3, first 2 shown]
	v_mov_b32_e32 v229, s73
	v_pack_b32_f16 v59, v57, v56
	v_cvt_f16_f32_e32 v56, v230
	v_cvt_f16_f32_e32 v57, v231
	v_mov_b32_e32 v231, s73
	v_pack_b32_f16 v56, v57, v56
	v_cvt_f16_f32_e32 v57, v232
	v_pack_b32_f16 v57, v228, v57
	v_add_co_u32_e32 v228, vcc, s9, v22
	v_addc_co_u32_e32 v229, vcc, v229, v23, vcc
	v_add_co_u32_e32 v228, vcc, v228, v111
	v_addc_co_u32_e32 v229, vcc, 0, v229, vcc
	;; [unrolled: 2-line block ×4, first 2 shown]
	v_add_co_u32_e32 v230, vcc, s9, v26
	v_mov_b32_e32 v231, s73
	v_addc_co_u32_e32 v231, vcc, v231, v27, vcc
	v_add_co_u32_e32 v234, vcc, v230, v111
	v_addc_co_u32_e32 v235, vcc, 0, v231, vcc
	v_add_co_u32_e32 v230, vcc, s9, v28
	v_mov_b32_e32 v231, s73
	v_addc_co_u32_e32 v231, vcc, v231, v29, vcc
	v_add_co_u32_e32 v236, vcc, v230, v111
	v_addc_co_u32_e32 v237, vcc, 0, v231, vcc
	global_load_dwordx4 v[228:231], v[228:229], off
	s_waitcnt vmcnt(0)
	ds_write_b128 v84, v[228:231]
	global_load_dwordx4 v[228:231], v[232:233], off
	s_waitcnt vmcnt(0)
	ds_write_b128 v190, v[228:231]
	global_load_dwordx4 v[228:231], v[234:235], off
	s_waitcnt vmcnt(0)
	ds_write_b128 v191, v[228:231]
	global_load_dwordx4 v[228:231], v[236:237], off
	s_waitcnt vmcnt(0)
	ds_write_b128 v192, v[228:231]
	s_waitcnt lgkmcnt(0)
	s_barrier
	ds_read_u16 v232, v87 offset:272
	ds_read_u16 v233, v87 offset:544
	v_cvt_f32_f16_e32 v230, v47
	v_cvt_f32_f16_sdwa v231, v47 dst_sel:DWORD dst_unused:UNUSED_PAD src0_sel:WORD_1
	ds_read_u16 v47, v88
	ds_read_u16 v234, v88 offset:32
	v_cvt_f32_f16_e32 v228, v51
	v_cvt_f32_f16_sdwa v229, v51 dst_sel:DWORD dst_unused:UNUSED_PAD src0_sel:WORD_1
	s_waitcnt lgkmcnt(1)
	v_perm_b32 v233, v47, v233, s53
	ds_read_u16 v47, v86
	ds_read_u16 v235, v86 offset:32
	s_waitcnt lgkmcnt(1)
	v_perm_b32 v232, v232, v47, s53
	s_nop 1
	v_mfma_f32_16x16x16f16 v[228:231], v[232:233], v[58:59], v[228:231]
	ds_read_u16 v232, v86 offset:8704
	ds_read_u16 v236, v193 offset:272
	;; [unrolled: 1-line block ×4, first 2 shown]
	s_waitcnt lgkmcnt(2)
	v_perm_b32 v232, v236, v232, s53
	s_waitcnt lgkmcnt(0)
	v_perm_b32 v233, v237, v233, s53
	s_nop 2
	v_cvt_f16_f32_e32 v47, v228
	v_cvt_f16_f32_e32 v51, v229
	;; [unrolled: 1-line block ×4, first 2 shown]
	v_cvt_f32_f16_e32 v228, v47
	v_cvt_f32_f16_e32 v229, v51
	;; [unrolled: 1-line block ×4, first 2 shown]
	s_nop 1
	v_mfma_f32_16x16x16f16 v[228:231], v[232:233], v[56:57], v[228:231]
	ds_read_u16 v232, v194 offset:272
	ds_read_u16 v233, v194 offset:544
	s_waitcnt lgkmcnt(1)
	v_perm_b32 v232, v232, v235, s53
	s_waitcnt lgkmcnt(0)
	v_perm_b32 v233, v234, v233, s53
	s_nop 4
	v_cvt_f16_f32_e32 v47, v228
	v_cvt_f16_f32_e32 v51, v229
	v_cvt_f16_f32_e32 v228, v230
	v_cvt_f16_f32_e32 v229, v231
	v_cvt_f32_f16_e32 v230, v60
	v_pack_b32_f16 v51, v47, v51
	v_cvt_f32_f16_sdwa v231, v60 dst_sel:DWORD dst_unused:UNUSED_PAD src0_sel:WORD_1
	v_pack_b32_f16 v47, v228, v229
	v_cvt_f32_f16_e32 v228, v62
	v_cvt_f32_f16_sdwa v229, v62 dst_sel:DWORD dst_unused:UNUSED_PAD src0_sel:WORD_1
	s_nop 1
	v_mfma_f32_16x16x16f16 v[228:231], v[232:233], v[58:59], v[228:231]
	ds_read_u16 v232, v89 offset:8704
	ds_read_u16 v234, v90 offset:272
	ds_read_u16 v233, v195 offset:544
	ds_read_u16 v235, v91 offset:8704
	s_waitcnt lgkmcnt(2)
	v_perm_b32 v232, v234, v232, s53
	s_waitcnt lgkmcnt(0)
	v_perm_b32 v233, v235, v233, s53
	s_nop 2
	v_cvt_f16_f32_e32 v60, v228
	v_cvt_f16_f32_e32 v62, v229
	v_cvt_f16_f32_e32 v230, v230
	v_cvt_f16_f32_e32 v231, v231
	v_cvt_f32_f16_e32 v228, v60
	v_cvt_f32_f16_e32 v229, v62
	v_cvt_f32_f16_e32 v230, v230
	v_cvt_f32_f16_e32 v231, v231
	s_nop 1
	v_mfma_f32_16x16x16f16 v[228:231], v[232:233], v[56:57], v[228:231]
	ds_read_u16 v232, v86 offset:64
	ds_read_u16 v234, v196 offset:272
	ds_read_u16 v233, v196 offset:544
	ds_read_u16 v235, v88 offset:64
	s_waitcnt lgkmcnt(2)
	v_perm_b32 v232, v234, v232, s53
	s_waitcnt lgkmcnt(0)
	v_perm_b32 v233, v235, v233, s53
	s_nop 2
	v_cvt_f16_f32_e32 v60, v228
	v_cvt_f16_f32_e32 v62, v229
	v_cvt_f16_f32_e32 v228, v230
	v_cvt_f16_f32_e32 v229, v231
	v_cvt_f32_f16_e32 v230, v64
	v_pack_b32_f16 v62, v60, v62
	v_cvt_f32_f16_sdwa v231, v64 dst_sel:DWORD dst_unused:UNUSED_PAD src0_sel:WORD_1
	v_pack_b32_f16 v60, v228, v229
	v_cvt_f32_f16_e32 v228, v66
	v_cvt_f32_f16_sdwa v229, v66 dst_sel:DWORD dst_unused:UNUSED_PAD src0_sel:WORD_1
	s_nop 1
	v_mfma_f32_16x16x16f16 v[228:231], v[232:233], v[58:59], v[228:231]
	ds_read_u16 v232, v92 offset:8704
	ds_read_u16 v234, v93 offset:272
	ds_read_u16 v233, v197 offset:544
	ds_read_u16 v235, v94 offset:8704
	s_waitcnt lgkmcnt(2)
	v_perm_b32 v232, v234, v232, s53
	s_waitcnt lgkmcnt(0)
	v_perm_b32 v233, v235, v233, s53
	s_nop 2
	v_cvt_f16_f32_e32 v64, v228
	v_cvt_f16_f32_e32 v66, v229
	v_cvt_f16_f32_e32 v230, v230
	v_cvt_f16_f32_e32 v231, v231
	v_cvt_f32_f16_e32 v228, v64
	v_cvt_f32_f16_e32 v229, v66
	v_cvt_f32_f16_e32 v230, v230
	v_cvt_f32_f16_e32 v231, v231
	s_nop 1
	v_mfma_f32_16x16x16f16 v[228:231], v[232:233], v[56:57], v[228:231]
	ds_read_u16 v232, v86 offset:96
	ds_read_u16 v234, v198 offset:272
	;; [unrolled: 40-line block ×5, first 2 shown]
	ds_read_u16 v234, v204 offset:544
	ds_read_u16 v235, v88 offset:192
	s_nop 6
	v_cvt_f16_f32_e32 v75, v228
	v_cvt_f16_f32_e32 v76, v229
	;; [unrolled: 1-line block ×4, first 2 shown]
	v_cvt_f32_f16_e32 v230, v222
	v_pack_b32_f16 v76, v75, v76
	v_cvt_f32_f16_sdwa v231, v222 dst_sel:DWORD dst_unused:UNUSED_PAD src0_sel:WORD_1
	v_pack_b32_f16 v75, v228, v229
	v_cvt_f32_f16_e32 v228, v223
	v_cvt_f32_f16_sdwa v229, v223 dst_sel:DWORD dst_unused:UNUSED_PAD src0_sel:WORD_1
	s_waitcnt lgkmcnt(0)
	v_perm_b32 v223, v235, v234, s53
	v_perm_b32 v222, v233, v232, s53
	ds_read_u16 v232, v104 offset:8704
	ds_read_u16 v233, v105 offset:272
	ds_read_u16 v234, v205 offset:544
	ds_read_u16 v235, v106 offset:8704
	v_mfma_f32_16x16x16f16 v[228:231], v[222:223], v[58:59], v[228:231]
	s_nop 7
	s_nop 2
	v_cvt_f16_f32_e32 v222, v228
	v_cvt_f16_f32_e32 v223, v229
	;; [unrolled: 1-line block ×4, first 2 shown]
	v_cvt_f32_f16_e32 v228, v222
	v_cvt_f32_f16_e32 v229, v223
	s_waitcnt lgkmcnt(0)
	v_perm_b32 v223, v235, v234, s53
	v_perm_b32 v222, v233, v232, s53
	v_cvt_f32_f16_e32 v230, v230
	v_cvt_f32_f16_e32 v231, v231
	ds_read_u16 v232, v86 offset:224
	ds_read_u16 v233, v206 offset:272
	;; [unrolled: 1-line block ×4, first 2 shown]
	v_mfma_f32_16x16x16f16 v[228:231], v[222:223], v[56:57], v[228:231]
	s_nop 7
	s_nop 2
	v_cvt_f16_f32_e32 v222, v228
	v_cvt_f16_f32_e32 v223, v229
	v_cvt_f16_f32_e32 v228, v230
	v_cvt_f16_f32_e32 v229, v231
	v_cvt_f32_f16_e32 v230, v226
	v_pack_b32_f16 v223, v222, v223
	v_cvt_f32_f16_sdwa v231, v226 dst_sel:DWORD dst_unused:UNUSED_PAD src0_sel:WORD_1
	v_pack_b32_f16 v222, v228, v229
	v_cvt_f32_f16_e32 v228, v227
	v_cvt_f32_f16_sdwa v229, v227 dst_sel:DWORD dst_unused:UNUSED_PAD src0_sel:WORD_1
	s_waitcnt lgkmcnt(0)
	v_perm_b32 v227, v235, v234, s53
	v_perm_b32 v226, v233, v232, s53
	s_nop 1
	v_mfma_f32_16x16x16f16 v[226:229], v[226:227], v[58:59], v[228:231]
	s_nop 6
	ds_read_u16 v230, v107 offset:8704
	ds_read_u16 v231, v108 offset:272
	;; [unrolled: 1-line block ×4, first 2 shown]
	s_waitcnt lgkmcnt(0)
	s_barrier
	v_cvt_f16_f32_e32 v58, v226
	v_cvt_f16_f32_e32 v59, v227
	;; [unrolled: 1-line block ×4, first 2 shown]
	v_cvt_f32_f16_e32 v226, v58
	v_cvt_f32_f16_e32 v227, v59
	v_perm_b32 v59, v233, v232, s53
	v_perm_b32 v58, v231, v230, s53
	v_cvt_f32_f16_e32 v228, v228
	v_cvt_f32_f16_e32 v229, v229
	s_nop 1
	v_mfma_f32_16x16x16f16 v[56:59], v[58:59], v[56:57], v[226:229]
	s_nop 7
	s_nop 2
	v_cvt_f16_f32_e32 v56, v56
	v_cvt_f16_f32_e32 v57, v57
	;; [unrolled: 1-line block ×4, first 2 shown]
	v_pack_b32_f16 v56, v56, v57
	v_pack_b32_f16 v57, v58, v59
	s_cbranch_scc1 .LBB24_53
.LBB24_54:                              ;   in Loop: Header=BB24_12 Depth=1
	s_lshl_b32 s8, s74, 6
	s_ashr_i32 s9, s8, 31
	s_lshl_b64 s[72:73], s[8:9], 1
	v_add_co_u32_e32 v58, vcc, s72, v219
	v_mov_b32_e32 v59, s73
	v_addc_co_u32_e32 v59, vcc, v220, v59, vcc
	v_lshlrev_b32_e32 v77, 1, v38
	v_add_co_u32_e32 v58, vcc, v58, v77
	v_addc_co_u32_e32 v59, vcc, 0, v59, vcc
	v_lshlrev_b64 v[52:53], 1, v[52:53]
	v_add_co_u32_e32 v52, vcc, v58, v52
	v_addc_co_u32_e32 v53, vcc, v59, v53, vcc
	global_load_dword v52, v[52:53], off
	v_add_u32_e32 v77, v189, v187
	s_mul_hi_i32 s73, s34, s8
	s_mul_i32 s72, s34, s8
	s_lshl_b64 s[72:73], s[72:73], 2
	s_add_u32 s9, s10, s72
	s_addc_u32 s72, s11, s73
	s_waitcnt vmcnt(0)
	ds_write_b32 v77, v52 offset:17408
	v_lshlrev_b64 v[52:53], 1, v[54:55]
	v_add_co_u32_e32 v52, vcc, v58, v52
	v_addc_co_u32_e32 v53, vcc, v59, v53, vcc
	global_load_dword v52, v[52:53], off
	v_mov_b32_e32 v53, s72
	v_add_u32_e32 v58, v83, v114
	s_waitcnt vmcnt(0)
	ds_write_b32 v77, v52 offset:18560
	v_add_co_u32_e32 v52, vcc, s9, v30
	v_addc_co_u32_e32 v53, vcc, v53, v31, vcc
	v_add_co_u32_e32 v52, vcc, v52, v111
	v_addc_co_u32_e32 v53, vcc, 0, v53, vcc
	global_load_dwordx4 v[52:55], v[52:53], off
	s_waitcnt vmcnt(0)
	ds_write_b128 v84, v[52:55]
	v_add_co_u32_e32 v52, vcc, s9, v32
	v_mov_b32_e32 v53, s72
	v_addc_co_u32_e32 v53, vcc, v53, v33, vcc
	v_add_co_u32_e32 v52, vcc, v52, v111
	v_addc_co_u32_e32 v53, vcc, 0, v53, vcc
	global_load_dwordx4 v[52:55], v[52:53], off
	s_waitcnt vmcnt(0)
	ds_write_b128 v190, v[52:55]
	v_add_co_u32_e32 v52, vcc, s9, v34
	v_mov_b32_e32 v53, s72
	;; [unrolled: 8-line block ×3, first 2 shown]
	v_addc_co_u32_e32 v53, vcc, v53, v37, vcc
	v_add_co_u32_e32 v52, vcc, v52, v111
	v_addc_co_u32_e32 v53, vcc, 0, v53, vcc
	global_load_dwordx4 v[52:55], v[52:53], off
	v_cmp_lt_i32_e32 vcc, v41, v1
	s_mul_hi_i32 s9, s30, s8
	s_mul_i32 s8, s30, s8
	s_lshl_b64 s[8:9], s[8:9], 2
	s_add_u32 s8, s49, s8
	s_addc_u32 s9, s7, s9
	s_cmp_eq_u64 s[70:71], 0
	s_waitcnt vmcnt(0)
	ds_write_b128 v192, v[52:55]
	s_waitcnt lgkmcnt(0)
	s_barrier
	ds_read2_b64 v[52:55], v58 offset1:4
	s_waitcnt lgkmcnt(0)
	v_mfma_f32_16x16x16f16 v[224:227], v[52:53], v[14:15], 0
	v_mfma_f32_16x16x16f16 v[52:55], v[54:55], v[16:17], v[224:227]
	s_nop 7
	s_nop 1
	ds_read2_b64 v[224:227], v58 offset0:8 offset1:12
	s_waitcnt lgkmcnt(0)
	v_mfma_f32_16x16x16f16 v[52:55], v[224:225], v[10:11], v[52:55]
	v_mfma_f32_16x16x16f16 v[52:55], v[226:227], v[12:13], v[52:55]
	ds_read2_b64 v[224:227], v58 offset0:16 offset1:20
	s_waitcnt lgkmcnt(0)
	v_mfma_f32_16x16x16f16 v[52:55], v[224:225], v[6:7], v[52:55]
	v_mfma_f32_16x16x16f16 v[52:55], v[226:227], v[8:9], v[52:55]
	ds_read2_b64 v[224:227], v58 offset0:24 offset1:28
	v_add_u32_e32 v58, 0x2000, v58
	s_waitcnt lgkmcnt(0)
	v_mfma_f32_16x16x16f16 v[52:55], v[224:225], v[2:3], v[52:55]
	v_mfma_f32_16x16x16f16 v[52:55], v[226:227], v[4:5], v[52:55]
	ds_read2_b64 v[224:227], v58 offset0:64 offset1:68
	s_waitcnt lgkmcnt(0)
	v_mfma_f32_16x16x16f16 v[228:231], v[224:225], v[14:15], 0
	v_mfma_f32_16x16x16f16 v[14:17], v[226:227], v[16:17], v[228:231]
	ds_read2_b64 v[224:227], v58 offset0:72 offset1:76
	s_waitcnt lgkmcnt(0)
	v_mfma_f32_16x16x16f16 v[14:17], v[224:225], v[10:11], v[14:17]
	v_mfma_f32_16x16x16f16 v[10:13], v[226:227], v[12:13], v[14:17]
	s_nop 7
	s_nop 1
	ds_read2_b64 v[14:17], v58 offset0:80 offset1:84
	s_waitcnt lgkmcnt(0)
	v_mfma_f32_16x16x16f16 v[10:13], v[14:15], v[6:7], v[10:13]
	v_mfma_f32_16x16x16f16 v[6:9], v[16:17], v[8:9], v[10:13]
	s_nop 7
	s_nop 1
	ds_read2_b64 v[10:13], v58 offset0:88 offset1:92
	s_waitcnt lgkmcnt(0)
	v_mfma_f32_16x16x16f16 v[6:9], v[10:11], v[2:3], v[6:9]
	v_add_u32_e32 v2, 0x4400, v85
	s_barrier
	ds_read2_b32 v[10:11], v2 offset1:1
	ds_read_b32 v2, v115 offset:17408
	ds_read_b32 v14, v116 offset:17408
	v_cndmask_b32_e32 v3, v43, v41, vcc
	v_cmp_lt_i32_e32 vcc, v19, v1
	v_mfma_f32_16x16x16f16 v[6:9], v[12:13], v[4:5], v[6:9]
	s_waitcnt lgkmcnt(2)
	v_cvt_f32_f16_e32 v4, v10
	v_cvt_f32_f16_sdwa v5, v10 dst_sel:DWORD dst_unused:UNUSED_PAD src0_sel:WORD_1
	v_cndmask_b32_e32 v1, v43, v19, vcc
	v_lshlrev_b32_e32 v41, 2, v1
	v_lshlrev_b32_e32 v3, 2, v3
	v_pk_add_f32 v[12:13], v[52:53], v[4:5]
	v_add_f32_e32 v1, 0x40051340, v12
	v_add_f32_e32 v4, 0x40051340, v13
	v_max3_f32 v1, v50, v1, v4
	s_waitcnt lgkmcnt(0)
	v_cvt_f32_f16_sdwa v5, v14 dst_sel:DWORD dst_unused:UNUSED_PAD src0_sel:WORD_1
	v_cvt_f32_f16_e32 v4, v14
	v_pk_add_f32 v[4:5], v[8:9], v[4:5]
	v_cvt_f32_f16_sdwa v9, v2 dst_sel:DWORD dst_unused:UNUSED_PAD src0_sel:WORD_1
	v_cvt_f32_f16_e32 v8, v2
	v_add_f32_e32 v10, 0x40051340, v4
	v_add_f32_e32 v14, 0x40051340, v5
	v_pk_add_f32 v[6:7], v[6:7], v[8:9]
	v_cvt_f32_f16_e32 v8, v11
	v_cvt_f32_f16_sdwa v9, v11 dst_sel:DWORD dst_unused:UNUSED_PAD src0_sel:WORD_1
	v_add_f32_e32 v2, 0x40051340, v6
	v_add_f32_e32 v15, 0x40051340, v7
	v_pk_add_f32 v[8:9], v[54:55], v[8:9]
	v_add_f32_e32 v11, 0x40051340, v8
	v_add_f32_e32 v16, 0x40051340, v9
	v_max3_f32 v1, v1, v11, v16
	v_max3_f32 v1, v1, v2, v15
	;; [unrolled: 1-line block ×3, first 2 shown]
	ds_bpermute_b32 v2, v3, v1
	s_waitcnt lgkmcnt(0)
	v_max_f32_e32 v2, v2, v2
	v_max_f32_e32 v1, v1, v2
	ds_bpermute_b32 v2, v41, v1
	s_waitcnt lgkmcnt(0)
	v_max_f32_e32 v2, v2, v2
	v_max_f32_e32 v2, v1, v2
	v_pk_add_f32 v[10:11], v[12:13], v[2:3] op_sel_hi:[1,0] neg_lo:[0,1] neg_hi:[0,1]
	v_mul_f32_e32 v1, 0x3fb8aa3b, v11
	v_fma_f32 v12, v11, s43, -v1
	v_rndne_f32_e32 v13, v1
	v_fmac_f32_e32 v12, 0x32a5705f, v11
	v_sub_f32_e32 v1, v1, v13
	v_add_f32_e32 v1, v1, v12
	v_exp_f32_e32 v1, v1
	v_cvt_i32_f32_e32 v12, v13
	v_cmp_ngt_f32_e32 vcc, s65, v11
	v_pk_add_f32 v[8:9], v[8:9], v[2:3] op_sel_hi:[1,0] neg_lo:[0,1] neg_hi:[0,1]
	v_pk_add_f32 v[6:7], v[6:7], v[2:3] op_sel_hi:[1,0] neg_lo:[0,1] neg_hi:[0,1]
	v_ldexp_f32 v1, v1, v12
	v_cndmask_b32_e32 v1, 0, v1, vcc
	v_cmp_nlt_f32_e32 vcc, s95, v11
	v_cndmask_b32_e32 v14, v218, v1, vcc
	v_mul_f32_e32 v1, 0x3fb8aa3b, v10
	v_fma_f32 v11, v10, s43, -v1
	v_rndne_f32_e32 v12, v1
	v_fmac_f32_e32 v11, 0x32a5705f, v10
	v_sub_f32_e32 v1, v1, v12
	v_add_f32_e32 v1, v1, v11
	v_exp_f32_e32 v1, v1
	v_cvt_i32_f32_e32 v11, v12
	v_cmp_ngt_f32_e32 vcc, s65, v10
	v_pk_add_f32 v[4:5], v[4:5], v[2:3] op_sel_hi:[1,0] neg_lo:[0,1] neg_hi:[0,1]
	v_ldexp_f32 v1, v1, v11
	v_cndmask_b32_e32 v1, 0, v1, vcc
	v_cmp_nlt_f32_e32 vcc, s95, v10
	v_cndmask_b32_e32 v15, v218, v1, vcc
	v_mul_f32_e32 v1, 0x3fb8aa3b, v9
	v_fma_f32 v10, v9, s43, -v1
	v_rndne_f32_e32 v11, v1
	v_fmac_f32_e32 v10, 0x32a5705f, v9
	v_sub_f32_e32 v1, v1, v11
	v_add_f32_e32 v1, v1, v10
	v_exp_f32_e32 v1, v1
	v_cvt_i32_f32_e32 v10, v11
	v_cmp_ngt_f32_e32 vcc, s65, v9
	v_ldexp_f32 v1, v1, v10
	v_cndmask_b32_e32 v1, 0, v1, vcc
	v_cmp_nlt_f32_e32 vcc, s95, v9
	v_cndmask_b32_e32 v52, v218, v1, vcc
	v_mul_f32_e32 v1, 0x3fb8aa3b, v8
	v_fma_f32 v9, v8, s43, -v1
	v_rndne_f32_e32 v10, v1
	v_fmac_f32_e32 v9, 0x32a5705f, v8
	v_sub_f32_e32 v1, v1, v10
	v_add_f32_e32 v1, v1, v9
	v_exp_f32_e32 v1, v1
	v_cvt_i32_f32_e32 v9, v10
	v_cmp_ngt_f32_e32 vcc, s65, v8
	;; [unrolled: 13-line block ×6, first 2 shown]
	v_ldexp_f32 v1, v1, v5
	v_cndmask_b32_e32 v1, 0, v1, vcc
	v_cmp_nlt_f32_e32 vcc, s95, v4
	v_cndmask_b32_e32 v55, v218, v1, vcc
	v_add_f32_e32 v1, v15, v14
	v_add_f32_e32 v1, v53, v1
	v_add_f32_e32 v1, v52, v1
	v_add_f32_e32 v1, v6, v1
	v_add_f32_e32 v1, v7, v1
	v_add_f32_e32 v1, v55, v1
	v_add_f32_e32 v43, v54, v1
	v_sub_f32_e32 v1, v50, v2
	v_cvt_f16_f32_e32 v15, v15
	v_cvt_f16_f32_e32 v14, v14
	v_mul_f32_e32 v4, 0x3fb8aa3b, v1
	v_fma_f32 v5, v1, s43, -v4
	v_rndne_f32_e32 v8, v4
	v_fmac_f32_e32 v5, 0x32a5705f, v1
	v_sub_f32_e32 v4, v4, v8
	v_add_f32_e32 v4, v4, v5
	v_pack_b32_f16 v14, v15, v14
	v_cvt_f16_f32_e32 v15, v52
	v_cvt_f16_f32_e32 v52, v53
	;; [unrolled: 1-line block ×4, first 2 shown]
	v_exp_f32_e32 v4, v4
	v_cvt_i32_f32_e32 v5, v8
	v_pack_b32_f16 v15, v52, v15
	v_pack_b32_f16 v6, v6, v7
	v_cvt_f16_f32_e32 v7, v54
	v_cvt_f16_f32_e32 v52, v55
	v_ldexp_f32 v4, v4, v5
	v_cmp_ngt_f32_e32 vcc, s65, v1
	v_cndmask_b32_e32 v4, 0, v4, vcc
	v_cmp_nlt_f32_e32 vcc, s95, v1
	v_cndmask_b32_e32 v4, v218, v4, vcc
	v_cmp_le_f32_e32 vcc, s54, v1
	v_cndmask_b32_e32 v1, 0, v4, vcc
	v_pack_b32_f16 v7, v52, v7
	v_add_co_u32_e32 v52, vcc, s8, v22
	v_mov_b32_e32 v53, s9
	v_addc_co_u32_e32 v53, vcc, v53, v23, vcc
	v_fmac_f32_e32 v43, v45, v1
	v_cvt_f16_f32_e32 v45, v1
	v_add_co_u32_e32 v52, vcc, v52, v111
	v_addc_co_u32_e32 v53, vcc, 0, v53, vcc
	v_add_co_u32_e32 v54, vcc, s8, v24
	v_mov_b32_e32 v55, s9
	v_addc_co_u32_e32 v55, vcc, v55, v25, vcc
	v_pk_mul_f16 v1, v45, v47 op_sel_hi:[0,1]
	v_pk_mul_f16 v47, v45, v56 op_sel_hi:[0,1]
	v_add_co_u32_e32 v56, vcc, v54, v111
	v_pk_mul_f16 v4, v45, v51 op_sel_hi:[0,1]
	v_pk_mul_f16 v8, v45, v62 op_sel_hi:[0,1]
	;; [unrolled: 1-line block ×14, first 2 shown]
	v_addc_co_u32_e32 v57, vcc, 0, v55, vcc
	v_add_co_u32_e32 v54, vcc, s8, v26
	v_mov_b32_e32 v55, s9
	v_addc_co_u32_e32 v55, vcc, v55, v27, vcc
	v_add_co_u32_e32 v58, vcc, v54, v111
	v_addc_co_u32_e32 v59, vcc, 0, v55, vcc
	v_add_co_u32_e32 v54, vcc, s8, v28
	v_mov_b32_e32 v55, s9
	v_addc_co_u32_e32 v55, vcc, v55, v29, vcc
	v_add_co_u32_e32 v74, vcc, v54, v111
	v_addc_co_u32_e32 v75, vcc, 0, v55, vcc
	global_load_dwordx4 v[52:55], v[52:53], off
	ds_bpermute_b32 v3, v3, v43
	s_cselect_b64 s[8:9], -1, 0
	s_xor_b64 s[72:73], s[0:1], -1
	s_or_b64 s[8:9], s[72:73], s[8:9]
	s_waitcnt lgkmcnt(0)
	v_add_f32_e32 v3, v43, v3
	s_waitcnt vmcnt(0)
	ds_write_b128 v84, v[52:55]
	global_load_dwordx4 v[52:55], v[56:57], off
	s_waitcnt vmcnt(0)
	ds_write_b128 v190, v[52:55]
	global_load_dwordx4 v[52:55], v[58:59], off
	;; [unrolled: 3-line block ×3, first 2 shown]
	s_waitcnt vmcnt(0)
	ds_write_b128 v192, v[52:55]
	s_waitcnt lgkmcnt(0)
	s_barrier
	ds_read_u16 v56, v87 offset:272
	ds_read_u16 v57, v87 offset:544
	v_cvt_f32_f16_e32 v54, v1
	v_cvt_f32_f16_sdwa v55, v1 dst_sel:DWORD dst_unused:UNUSED_PAD src0_sel:WORD_1
	ds_read_u16 v1, v88
	ds_read_u16 v58, v88 offset:32
	v_cvt_f32_f16_e32 v52, v4
	v_cvt_f32_f16_sdwa v53, v4 dst_sel:DWORD dst_unused:UNUSED_PAD src0_sel:WORD_1
	s_waitcnt lgkmcnt(1)
	v_perm_b32 v57, v1, v57, s53
	ds_read_u16 v1, v86
	ds_read_u16 v59, v86 offset:32
	s_waitcnt lgkmcnt(1)
	v_perm_b32 v56, v56, v1, s53
	s_nop 1
	v_mfma_f32_16x16x16f16 v[52:55], v[56:57], v[14:15], v[52:55]
	ds_read_u16 v56, v86 offset:8704
	ds_read_u16 v60, v193 offset:272
	;; [unrolled: 1-line block ×4, first 2 shown]
	s_waitcnt lgkmcnt(2)
	v_perm_b32 v56, v60, v56, s53
	s_waitcnt lgkmcnt(0)
	v_perm_b32 v57, v62, v57, s53
	s_nop 2
	v_cvt_f16_f32_e32 v1, v52
	v_cvt_f16_f32_e32 v4, v53
	;; [unrolled: 1-line block ×4, first 2 shown]
	v_cvt_f32_f16_e32 v52, v1
	v_cvt_f32_f16_e32 v53, v4
	v_cvt_f32_f16_e32 v54, v54
	v_cvt_f32_f16_e32 v55, v55
	s_nop 1
	v_mfma_f32_16x16x16f16 v[52:55], v[56:57], v[6:7], v[52:55]
	ds_read_u16 v56, v194 offset:272
	ds_read_u16 v57, v194 offset:544
	s_waitcnt lgkmcnt(1)
	v_perm_b32 v56, v56, v59, s53
	s_waitcnt lgkmcnt(0)
	v_perm_b32 v57, v58, v57, s53
	s_nop 4
	v_cvt_f16_f32_e32 v1, v52
	v_cvt_f16_f32_e32 v4, v53
	v_cvt_f16_f32_e32 v52, v54
	v_cvt_f16_f32_e32 v53, v55
	v_cvt_f32_f16_e32 v54, v5
	v_pack_b32_f16 v4, v1, v4
	v_cvt_f32_f16_sdwa v55, v5 dst_sel:DWORD dst_unused:UNUSED_PAD src0_sel:WORD_1
	v_pack_b32_f16 v1, v52, v53
	v_cvt_f32_f16_e32 v52, v8
	v_cvt_f32_f16_sdwa v53, v8 dst_sel:DWORD dst_unused:UNUSED_PAD src0_sel:WORD_1
	s_nop 1
	v_mfma_f32_16x16x16f16 v[52:55], v[56:57], v[14:15], v[52:55]
	ds_read_u16 v56, v89 offset:8704
	ds_read_u16 v58, v90 offset:272
	ds_read_u16 v57, v195 offset:544
	ds_read_u16 v59, v91 offset:8704
	s_waitcnt lgkmcnt(2)
	v_perm_b32 v56, v58, v56, s53
	s_waitcnt lgkmcnt(0)
	v_perm_b32 v57, v59, v57, s53
	s_nop 2
	v_cvt_f16_f32_e32 v5, v52
	v_cvt_f16_f32_e32 v8, v53
	v_cvt_f16_f32_e32 v54, v54
	v_cvt_f16_f32_e32 v55, v55
	v_cvt_f32_f16_e32 v52, v5
	v_cvt_f32_f16_e32 v53, v8
	v_cvt_f32_f16_e32 v54, v54
	v_cvt_f32_f16_e32 v55, v55
	s_nop 1
	v_mfma_f32_16x16x16f16 v[52:55], v[56:57], v[6:7], v[52:55]
	ds_read_u16 v56, v86 offset:64
	ds_read_u16 v58, v196 offset:272
	ds_read_u16 v57, v196 offset:544
	ds_read_u16 v59, v88 offset:64
	s_waitcnt lgkmcnt(2)
	v_perm_b32 v56, v58, v56, s53
	s_waitcnt lgkmcnt(0)
	v_perm_b32 v57, v59, v57, s53
	s_nop 2
	v_cvt_f16_f32_e32 v5, v52
	v_cvt_f16_f32_e32 v8, v53
	v_cvt_f16_f32_e32 v52, v54
	v_cvt_f16_f32_e32 v53, v55
	v_cvt_f32_f16_e32 v54, v9
	v_pack_b32_f16 v8, v5, v8
	v_cvt_f32_f16_sdwa v55, v9 dst_sel:DWORD dst_unused:UNUSED_PAD src0_sel:WORD_1
	v_pack_b32_f16 v5, v52, v53
	v_cvt_f32_f16_e32 v52, v10
	v_cvt_f32_f16_sdwa v53, v10 dst_sel:DWORD dst_unused:UNUSED_PAD src0_sel:WORD_1
	s_nop 1
	v_mfma_f32_16x16x16f16 v[52:55], v[56:57], v[14:15], v[52:55]
	ds_read_u16 v56, v92 offset:8704
	ds_read_u16 v58, v93 offset:272
	ds_read_u16 v57, v197 offset:544
	ds_read_u16 v59, v94 offset:8704
	s_waitcnt lgkmcnt(2)
	v_perm_b32 v56, v58, v56, s53
	s_waitcnt lgkmcnt(0)
	v_perm_b32 v57, v59, v57, s53
	s_nop 2
	v_cvt_f16_f32_e32 v9, v52
	v_cvt_f16_f32_e32 v10, v53
	v_cvt_f16_f32_e32 v54, v54
	v_cvt_f16_f32_e32 v55, v55
	v_cvt_f32_f16_e32 v52, v9
	v_cvt_f32_f16_e32 v53, v10
	v_cvt_f32_f16_e32 v54, v54
	v_cvt_f32_f16_e32 v55, v55
	s_nop 1
	v_mfma_f32_16x16x16f16 v[52:55], v[56:57], v[6:7], v[52:55]
	ds_read_u16 v56, v86 offset:96
	ds_read_u16 v58, v198 offset:272
	;; [unrolled: 40-line block ×5, first 2 shown]
	ds_read_u16 v57, v204 offset:544
	ds_read_u16 v59, v88 offset:192
	s_waitcnt lgkmcnt(2)
	v_perm_b32 v56, v58, v56, s53
	s_waitcnt lgkmcnt(0)
	v_perm_b32 v57, v59, v57, s53
	s_nop 2
	v_cvt_f16_f32_e32 v17, v52
	v_cvt_f16_f32_e32 v50, v53
	;; [unrolled: 1-line block ×4, first 2 shown]
	v_cvt_f32_f16_e32 v54, v19
	v_pack_b32_f16 v50, v17, v50
	v_cvt_f32_f16_sdwa v55, v19 dst_sel:DWORD dst_unused:UNUSED_PAD src0_sel:WORD_1
	v_pack_b32_f16 v17, v52, v53
	v_cvt_f32_f16_e32 v52, v51
	v_cvt_f32_f16_sdwa v53, v51 dst_sel:DWORD dst_unused:UNUSED_PAD src0_sel:WORD_1
	s_nop 1
	v_mfma_f32_16x16x16f16 v[52:55], v[56:57], v[14:15], v[52:55]
	ds_read_u16 v56, v104 offset:8704
	ds_read_u16 v58, v105 offset:272
	;; [unrolled: 1-line block ×4, first 2 shown]
	s_waitcnt lgkmcnt(2)
	v_perm_b32 v56, v58, v56, s53
	s_waitcnt lgkmcnt(0)
	v_perm_b32 v57, v59, v57, s53
	s_nop 2
	v_cvt_f16_f32_e32 v19, v52
	v_cvt_f16_f32_e32 v51, v53
	;; [unrolled: 1-line block ×4, first 2 shown]
	v_cvt_f32_f16_e32 v52, v19
	v_cvt_f32_f16_e32 v53, v51
	;; [unrolled: 1-line block ×4, first 2 shown]
	s_nop 1
	v_mfma_f32_16x16x16f16 v[52:55], v[56:57], v[6:7], v[52:55]
	v_cvt_f32_f16_e32 v56, v45
	v_cvt_f32_f16_sdwa v57, v45 dst_sel:DWORD dst_unused:UNUSED_PAD src0_sel:WORD_1
	s_nop 7
	s_nop 0
	v_cvt_f16_f32_e32 v19, v52
	v_cvt_f16_f32_e32 v51, v53
	;; [unrolled: 1-line block ×4, first 2 shown]
	v_cvt_f32_f16_sdwa v55, v47 dst_sel:DWORD dst_unused:UNUSED_PAD src0_sel:WORD_1
	v_pack_b32_f16 v52, v19, v51
	v_pack_b32_f16 v19, v53, v54
	ds_read_u16 v51, v86 offset:224
	ds_read_u16 v53, v206 offset:272
	;; [unrolled: 1-line block ×4, first 2 shown]
	v_cvt_f32_f16_e32 v54, v47
	s_waitcnt lgkmcnt(0)
	v_perm_b32 v59, v59, v58, s53
	v_perm_b32 v58, v53, v51, s53
	s_nop 1
	v_mfma_f32_16x16x16f16 v[54:57], v[58:59], v[14:15], v[54:57]
	ds_read_u16 v51, v107 offset:8704
	ds_read_u16 v53, v108 offset:272
	;; [unrolled: 1-line block ×4, first 2 shown]
	s_waitcnt lgkmcnt(0)
	s_barrier
	s_nop 4
	v_cvt_f16_f32_e32 v14, v54
	v_cvt_f16_f32_e32 v15, v55
	;; [unrolled: 1-line block ×4, first 2 shown]
	v_cvt_f32_f16_e32 v54, v14
	v_cvt_f32_f16_e32 v55, v15
	v_perm_b32 v15, v59, v58, s53
	v_perm_b32 v14, v53, v51, s53
	v_cvt_f32_f16_e32 v56, v45
	v_cvt_f32_f16_e32 v57, v47
	s_nop 1
	v_mfma_f32_16x16x16f16 v[54:57], v[14:15], v[6:7], v[54:57]
	s_nop 7
	s_nop 2
	v_cvt_f16_f32_e32 v6, v54
	v_cvt_f16_f32_e32 v7, v55
	;; [unrolled: 1-line block ×4, first 2 shown]
	v_pack_b32_f16 v6, v6, v7
	v_pack_b32_f16 v7, v14, v15
	ds_bpermute_b32 v14, v41, v3
	s_waitcnt lgkmcnt(0)
	v_add_f32_e32 v3, v3, v14
	s_and_saveexec_b64 s[72:73], s[8:9]
	s_xor_b64 s[8:9], exec, s[72:73]
	s_andn2_saveexec_b64 s[8:9], s[8:9]
	s_cbranch_execz .LBB24_56
; %bb.55:                               ;   in Loop: Header=BB24_12 Depth=1
	v_lshlrev_b32_e32 v14, 2, v42
	global_load_dword v15, v14, s[70:71]
	v_max_f32_e32 v43, v2, v2
	s_waitcnt vmcnt(0)
	v_max_f32_e32 v14, v15, v15
	v_max_f32_e32 v14, v43, v14
	v_sub_f32_e32 v2, v2, v14
	v_mul_f32_e32 v43, 0x3fb8aa3b, v2
	v_fma_f32 v45, v2, s43, -v43
	v_rndne_f32_e32 v47, v43
	v_fmac_f32_e32 v45, 0x32a5705f, v2
	v_sub_f32_e32 v43, v43, v47
	v_add_f32_e32 v43, v43, v45
	v_exp_f32_e32 v43, v43
	v_cvt_i32_f32_e32 v45, v47
	v_cmp_ngt_f32_e32 vcc, s65, v2
	v_sub_f32_e32 v15, v15, v14
	v_ldexp_f32 v43, v43, v45
	v_cndmask_b32_e32 v43, 0, v43, vcc
	v_cmp_nlt_f32_e32 vcc, s95, v2
	v_cndmask_b32_e32 v43, v218, v43, vcc
	v_cmp_le_f32_e32 vcc, s54, v2
	v_cndmask_b32_e32 v2, 0, v43, vcc
	v_cvt_f16_f32_e32 v43, v2
	v_cmp_ngt_f32_e32 vcc, s65, v15
	v_pk_mul_f16 v4, v43, v4 op_sel_hi:[0,1]
	v_pk_mul_f16 v1, v43, v1 op_sel_hi:[0,1]
	;; [unrolled: 1-line block ×16, first 2 shown]
	v_mul_f32_e32 v43, 0x3fb8aa3b, v15
	v_fma_f32 v45, v15, s43, -v43
	v_rndne_f32_e32 v47, v43
	v_fmac_f32_e32 v45, 0x32a5705f, v15
	v_sub_f32_e32 v43, v43, v47
	v_add_f32_e32 v43, v43, v45
	v_exp_f32_e32 v43, v43
	v_cvt_i32_f32_e32 v45, v47
	v_ldexp_f32 v43, v43, v45
	v_cndmask_b32_e32 v43, 0, v43, vcc
	v_cmp_nlt_f32_e32 vcc, s95, v15
	v_cndmask_b32_e32 v15, v218, v43, vcc
	v_fmac_f32_e32 v15, v3, v2
	v_pk_mov_b32 v[2:3], v[14:15], v[14:15] op_sel:[0,1]
.LBB24_56:                              ;   in Loop: Header=BB24_12 Depth=1
	s_or_b64 exec, exec, s[8:9]
	s_and_saveexec_b64 s[8:9], s[4:5]
	s_cbranch_execz .LBB24_58
; %bb.57:                               ;   in Loop: Header=BB24_12 Depth=1
	v_add_u32_e32 v14, 0, v118
	ds_write2_b32 v14, v2, v3 offset0:64 offset1:65
.LBB24_58:                              ;   in Loop: Header=BB24_12 Depth=1
	s_or_b64 exec, exec, s[8:9]
	s_waitcnt lgkmcnt(0)
	s_barrier
	s_and_saveexec_b64 s[8:9], s[2:3]
	s_xor_b64 s[8:9], exec, s[8:9]
	s_cbranch_execz .LBB24_60
; %bb.59:                               ;   in Loop: Header=BB24_12 Depth=1
	s_barrier
	s_waitcnt lgkmcnt(0)
                                        ; implicit-def: $vgpr41
.LBB24_60:                              ;   in Loop: Header=BB24_12 Depth=1
	s_andn2_saveexec_b64 s[8:9], s[8:9]
	s_cbranch_execz .LBB24_66
; %bb.61:                               ;   in Loop: Header=BB24_12 Depth=1
	v_add_u32_e32 v3, 0, v119
	ds_read_b64 v[54:55], v3 offset:256
	s_waitcnt lgkmcnt(0)
	s_barrier
	ds_bpermute_b32 v2, v41, v54
	v_max_f32_e32 v14, v54, v54
	s_waitcnt lgkmcnt(0)
	v_max_f32_e32 v2, v2, v2
	v_max_f32_e32 v2, v14, v2
	v_sub_f32_e32 v14, v54, v2
	v_mul_f32_e32 v15, 0x3fb8aa3b, v14
	v_fma_f32 v43, v14, s43, -v15
	v_rndne_f32_e32 v45, v15
	v_fmac_f32_e32 v43, 0x32a5705f, v14
	v_sub_f32_e32 v15, v15, v45
	v_add_f32_e32 v15, v15, v43
	v_cvt_i32_f32_e32 v45, v45
	v_exp_f32_e32 v15, v15
	v_cmp_ngt_f32_e32 vcc, s65, v14
	v_ldexp_f32 v15, v15, v45
	v_cndmask_b32_e32 v15, 0, v15, vcc
	v_cmp_nlt_f32_e32 vcc, s95, v14
	v_cndmask_b32_e32 v14, v218, v15, vcc
	v_mul_f32_e32 v15, v55, v14
	ds_bpermute_b32 v15, v41, v15
	s_waitcnt lgkmcnt(0)
	v_fmac_f32_e32 v15, v55, v14
	s_mov_b64 s[72:73], exec
	v_readlane_b32 s74, v255, 14
	v_readlane_b32 s75, v255, 15
	s_and_b64 s[74:75], s[72:73], s[74:75]
	s_mov_b64 exec, s[74:75]
	s_cbranch_execz .LBB24_63
; %bb.62:                               ;   in Loop: Header=BB24_12 Depth=1
	ds_write_b64 v3, v[14:15] offset:256
.LBB24_63:                              ;   in Loop: Header=BB24_12 Depth=1
	s_or_b64 exec, exec, s[72:73]
	s_and_saveexec_b64 s[72:73], s[4:5]
	s_cbranch_execz .LBB24_65
; %bb.64:                               ;   in Loop: Header=BB24_12 Depth=1
	v_mov_b32_e32 v3, v15
	global_store_dwordx2 v[20:21], v[2:3], off
.LBB24_65:                              ;   in Loop: Header=BB24_12 Depth=1
	s_or_b64 exec, exec, s[72:73]
.LBB24_66:                              ;   in Loop: Header=BB24_12 Depth=1
	s_or_b64 exec, exec, s[8:9]
	ds_write2_b32 v120, v4, v1 offset1:1
	ds_write2_b32 v120, v8, v5 offset0:8 offset1:9
	ds_write2_b32 v120, v10, v9 offset0:16 offset1:17
	;; [unrolled: 1-line block ×7, first 2 shown]
	s_waitcnt lgkmcnt(0)
	s_barrier
	s_and_saveexec_b64 s[72:73], s[0:1]
	s_cbranch_execz .LBB24_144
; %bb.67:                               ;   in Loop: Header=BB24_12 Depth=1
	v_add_u32_e32 v2, s92, v215
	v_or_b32_e32 v1, s64, v44
	v_cmp_gt_i32_e64 s[8:9], s28, v2
	v_cmp_gt_i32_e32 vcc, s78, v1
	s_and_b64 s[8:9], s[8:9], vcc
	v_mov_b32_e32 v1, 0x47
	s_and_saveexec_b64 s[74:75], s[8:9]
	s_cbranch_execz .LBB24_69
; %bb.68:                               ;   in Loop: Header=BB24_12 Depth=1
	v_add_u32_e32 v1, 0, v121
	ds_read2st64_b32 v[4:5], v1 offset0:1 offset1:18
	ds_read2st64_b32 v[6:7], v122 offset1:17
	v_mad_u64_u32 v[2:3], s[8:9], v2, s29, v[44:45]
	v_lshl_add_u32 v2, v2, 6, v18
	v_ashrrev_i32_e32 v3, 31, v2
	s_waitcnt lgkmcnt(0)
	v_cvt_f32_f16_sdwa v9, v6 dst_sel:DWORD dst_unused:UNUSED_PAD src0_sel:WORD_1
	v_cvt_f32_f16_e32 v8, v6
	v_cvt_f32_f16_sdwa v11, v7 dst_sel:DWORD dst_unused:UNUSED_PAD src0_sel:WORD_1
	v_cvt_f32_f16_e32 v10, v7
	v_lshlrev_b64 v[2:3], 3, v[2:3]
	v_add_co_u32_e64 v2, s[8:9], s6, v2
	v_mov_b32_e32 v1, s87
	v_pk_fma_f32 v[8:9], v[4:5], v[8:9], 0 op_sel_hi:[0,1,0]
	v_mov_b32_e32 v4, v5
	v_addc_co_u32_e64 v3, s[8:9], v1, v3, s[8:9]
	v_pk_fma_f32 v[4:5], v[4:5], v[10:11], v[8:9] op_sel_hi:[0,1,1]
	v_mov_b32_e32 v1, 0
	global_store_dwordx2 v[2:3], v[4:5], off
.LBB24_69:                              ;   in Loop: Header=BB24_12 Depth=1
	s_or_b64 exec, exec, s[74:75]
	s_movk_i32 s8, 0x47
	v_cmp_gt_i32_e64 s[8:9], s8, v1
	s_mov_b64 s[74:75], -1
	s_and_saveexec_b64 s[76:77], s[8:9]
; %bb.70:                               ;   in Loop: Header=BB24_12 Depth=1
	v_cmp_eq_u32_e64 s[8:9], 0, v1
	s_orn2_b64 s[74:75], s[8:9], exec
; %bb.71:                               ;   in Loop: Header=BB24_12 Depth=1
	s_or_b64 exec, exec, s[76:77]
	s_and_b64 exec, exec, s[74:75]
	s_cbranch_execz .LBB24_144
; %bb.72:                               ;   in Loop: Header=BB24_12 Depth=1
	v_add_u32_e32 v2, s92, v123
	v_cmp_gt_i32_e64 s[8:9], s28, v2
	s_and_b64 s[8:9], s[8:9], vcc
	v_mov_b32_e32 v1, 0x47
	s_and_saveexec_b64 s[74:75], s[8:9]
	s_cbranch_execz .LBB24_74
; %bb.73:                               ;   in Loop: Header=BB24_12 Depth=1
	v_add_u32_e32 v1, 0, v124
	ds_read2st64_b32 v[4:5], v1 offset0:1 offset1:18
	ds_read2st64_b32 v[6:7], v125 offset1:17
	v_mad_u64_u32 v[2:3], s[8:9], v2, s29, v[44:45]
	v_lshl_add_u32 v2, v2, 6, v18
	v_ashrrev_i32_e32 v3, 31, v2
	s_waitcnt lgkmcnt(0)
	v_cvt_f32_f16_sdwa v9, v6 dst_sel:DWORD dst_unused:UNUSED_PAD src0_sel:WORD_1
	v_cvt_f32_f16_e32 v8, v6
	v_cvt_f32_f16_sdwa v11, v7 dst_sel:DWORD dst_unused:UNUSED_PAD src0_sel:WORD_1
	v_cvt_f32_f16_e32 v10, v7
	v_lshlrev_b64 v[2:3], 3, v[2:3]
	v_add_co_u32_e64 v2, s[8:9], s6, v2
	v_mov_b32_e32 v1, s87
	v_pk_fma_f32 v[8:9], v[4:5], v[8:9], 0 op_sel_hi:[0,1,0]
	v_mov_b32_e32 v4, v5
	v_addc_co_u32_e64 v3, s[8:9], v1, v3, s[8:9]
	v_pk_fma_f32 v[4:5], v[4:5], v[10:11], v[8:9] op_sel_hi:[0,1,1]
	v_mov_b32_e32 v1, 0
	global_store_dwordx2 v[2:3], v[4:5], off
.LBB24_74:                              ;   in Loop: Header=BB24_12 Depth=1
	s_or_b64 exec, exec, s[74:75]
	s_movk_i32 s8, 0x47
	v_cmp_gt_i32_e64 s[8:9], s8, v1
	s_mov_b64 s[74:75], -1
	s_and_saveexec_b64 s[76:77], s[8:9]
; %bb.75:                               ;   in Loop: Header=BB24_12 Depth=1
	v_cmp_eq_u32_e64 s[8:9], 0, v1
	s_orn2_b64 s[74:75], s[8:9], exec
; %bb.76:                               ;   in Loop: Header=BB24_12 Depth=1
	s_or_b64 exec, exec, s[76:77]
	s_and_b64 exec, exec, s[74:75]
	s_cbranch_execz .LBB24_144
; %bb.77:                               ;   in Loop: Header=BB24_12 Depth=1
	v_add_u32_e32 v2, s92, v126
	v_cmp_gt_i32_e64 s[8:9], s28, v2
	;; [unrolled: 41-line block ×6, first 2 shown]
	s_and_b64 s[8:9], s[8:9], vcc
	v_mov_b32_e32 v1, 0x47
	s_and_saveexec_b64 s[74:75], s[8:9]
	s_cbranch_execz .LBB24_99
; %bb.98:                               ;   in Loop: Header=BB24_12 Depth=1
	v_add_u32_e32 v1, 0, v139
	ds_read2st64_b32 v[4:5], v1 offset0:1 offset1:18
	ds_read2st64_b32 v[6:7], v140 offset1:17
	v_mad_u64_u32 v[2:3], s[8:9], v2, s29, v[44:45]
	v_lshl_add_u32 v2, v2, 6, v18
	v_ashrrev_i32_e32 v3, 31, v2
	s_waitcnt lgkmcnt(0)
	v_cvt_f32_f16_sdwa v9, v6 dst_sel:DWORD dst_unused:UNUSED_PAD src0_sel:WORD_1
	v_cvt_f32_f16_e32 v8, v6
	v_cvt_f32_f16_sdwa v11, v7 dst_sel:DWORD dst_unused:UNUSED_PAD src0_sel:WORD_1
	v_cvt_f32_f16_e32 v10, v7
	v_lshlrev_b64 v[2:3], 3, v[2:3]
	v_add_co_u32_e64 v2, s[8:9], s6, v2
	v_mov_b32_e32 v1, s87
	v_pk_fma_f32 v[8:9], v[4:5], v[8:9], 0 op_sel_hi:[0,1,0]
	v_mov_b32_e32 v4, v5
	v_addc_co_u32_e64 v3, s[8:9], v1, v3, s[8:9]
	v_pk_fma_f32 v[4:5], v[4:5], v[10:11], v[8:9] op_sel_hi:[0,1,1]
	v_mov_b32_e32 v1, 0
	global_store_dwordx2 v[2:3], v[4:5], off
.LBB24_99:                              ;   in Loop: Header=BB24_12 Depth=1
	s_or_b64 exec, exec, s[74:75]
	s_movk_i32 s8, 0x47
	v_cmp_gt_i32_e64 s[8:9], s8, v1
	s_mov_b64 s[74:75], -1
	s_and_saveexec_b64 s[76:77], s[8:9]
; %bb.100:                              ;   in Loop: Header=BB24_12 Depth=1
	v_cmp_eq_u32_e64 s[8:9], 0, v1
	s_orn2_b64 s[74:75], s[8:9], exec
; %bb.101:                              ;   in Loop: Header=BB24_12 Depth=1
	s_or_b64 exec, exec, s[76:77]
	s_and_b64 exec, exec, s[74:75]
	s_cbranch_execz .LBB24_144
; %bb.102:                              ;   in Loop: Header=BB24_12 Depth=1
	v_add_u32_e32 v2, s92, v141
	v_cmp_gt_i32_e64 s[8:9], s28, v2
	s_and_b64 s[8:9], s[8:9], vcc
	v_mov_b32_e32 v1, 0x47
	s_and_saveexec_b64 s[74:75], s[8:9]
	s_cbranch_execz .LBB24_104
; %bb.103:                              ;   in Loop: Header=BB24_12 Depth=1
	v_add_u32_e32 v1, 0, v142
	ds_read2st64_b32 v[4:5], v1 offset0:1 offset1:18
	ds_read2st64_b32 v[6:7], v143 offset1:17
	v_mad_u64_u32 v[2:3], s[8:9], v2, s29, v[44:45]
	v_lshl_add_u32 v2, v2, 6, v18
	v_ashrrev_i32_e32 v3, 31, v2
	s_waitcnt lgkmcnt(0)
	v_cvt_f32_f16_sdwa v9, v6 dst_sel:DWORD dst_unused:UNUSED_PAD src0_sel:WORD_1
	v_cvt_f32_f16_e32 v8, v6
	v_cvt_f32_f16_sdwa v11, v7 dst_sel:DWORD dst_unused:UNUSED_PAD src0_sel:WORD_1
	v_cvt_f32_f16_e32 v10, v7
	v_lshlrev_b64 v[2:3], 3, v[2:3]
	v_add_co_u32_e64 v2, s[8:9], s6, v2
	v_mov_b32_e32 v1, s87
	v_pk_fma_f32 v[8:9], v[4:5], v[8:9], 0 op_sel_hi:[0,1,0]
	v_mov_b32_e32 v4, v5
	v_addc_co_u32_e64 v3, s[8:9], v1, v3, s[8:9]
	v_pk_fma_f32 v[4:5], v[4:5], v[10:11], v[8:9] op_sel_hi:[0,1,1]
	v_mov_b32_e32 v1, 0
	global_store_dwordx2 v[2:3], v[4:5], off
.LBB24_104:                             ;   in Loop: Header=BB24_12 Depth=1
	s_or_b64 exec, exec, s[74:75]
	s_movk_i32 s8, 0x47
	v_cmp_gt_i32_e64 s[8:9], s8, v1
	s_mov_b64 s[74:75], -1
	s_and_saveexec_b64 s[76:77], s[8:9]
; %bb.105:                              ;   in Loop: Header=BB24_12 Depth=1
	v_cmp_eq_u32_e64 s[8:9], 0, v1
	s_orn2_b64 s[74:75], s[8:9], exec
; %bb.106:                              ;   in Loop: Header=BB24_12 Depth=1
	s_or_b64 exec, exec, s[76:77]
	s_and_b64 exec, exec, s[74:75]
	s_cbranch_execz .LBB24_144
; %bb.107:                              ;   in Loop: Header=BB24_12 Depth=1
	v_add_u32_e32 v2, s92, v144
	v_cmp_gt_i32_e64 s[8:9], s28, v2
	s_and_b64 s[8:9], s[8:9], vcc
	v_mov_b32_e32 v1, 0x47
	s_and_saveexec_b64 s[74:75], s[8:9]
	s_cbranch_execz .LBB24_109
; %bb.108:                              ;   in Loop: Header=BB24_12 Depth=1
	v_add_u32_e32 v1, 0, v145
	ds_read2st64_b32 v[4:5], v1 offset0:1 offset1:18
	ds_read2st64_b32 v[6:7], v146 offset1:17
	v_mad_u64_u32 v[2:3], s[8:9], v2, s29, v[44:45]
	v_lshl_add_u32 v2, v2, 6, v18
	v_ashrrev_i32_e32 v3, 31, v2
	s_waitcnt lgkmcnt(0)
	v_cvt_f32_f16_sdwa v9, v6 dst_sel:DWORD dst_unused:UNUSED_PAD src0_sel:WORD_1
	v_cvt_f32_f16_e32 v8, v6
	v_cvt_f32_f16_sdwa v11, v7 dst_sel:DWORD dst_unused:UNUSED_PAD src0_sel:WORD_1
	v_cvt_f32_f16_e32 v10, v7
	v_lshlrev_b64 v[2:3], 3, v[2:3]
	v_add_co_u32_e64 v2, s[8:9], s6, v2
	v_mov_b32_e32 v1, s87
	v_pk_fma_f32 v[8:9], v[4:5], v[8:9], 0 op_sel_hi:[0,1,0]
	v_mov_b32_e32 v4, v5
	v_addc_co_u32_e64 v3, s[8:9], v1, v3, s[8:9]
	v_pk_fma_f32 v[4:5], v[4:5], v[10:11], v[8:9] op_sel_hi:[0,1,1]
	v_mov_b32_e32 v1, 0
	global_store_dwordx2 v[2:3], v[4:5], off
.LBB24_109:                             ;   in Loop: Header=BB24_12 Depth=1
	;; [unrolled: 41-line block ×8, first 2 shown]
	s_or_b64 exec, exec, s[74:75]
	s_movk_i32 s8, 0x47
	v_cmp_gt_i32_e64 s[8:9], s8, v1
	s_mov_b64 s[74:75], -1
	s_and_saveexec_b64 s[76:77], s[8:9]
; %bb.140:                              ;   in Loop: Header=BB24_12 Depth=1
	v_cmp_eq_u32_e64 s[8:9], 0, v1
	s_orn2_b64 s[74:75], s[8:9], exec
; %bb.141:                              ;   in Loop: Header=BB24_12 Depth=1
	s_or_b64 exec, exec, s[76:77]
	s_and_b64 exec, exec, s[74:75]
	s_cbranch_execz .LBB24_144
; %bb.142:                              ;   in Loop: Header=BB24_12 Depth=1
	v_add_u32_e32 v1, s92, v165
	v_cmp_gt_i32_e64 s[8:9], s28, v1
	s_and_b64 s[8:9], s[8:9], vcc
	s_and_b64 exec, exec, s[8:9]
	s_cbranch_execz .LBB24_144
; %bb.143:                              ;   in Loop: Header=BB24_12 Depth=1
	v_mad_u64_u32 v[2:3], s[8:9], v1, s29, v[44:45]
	v_add_u32_e32 v1, 0, v166
	ds_read2st64_b32 v[4:5], v1 offset0:1 offset1:18
	ds_read2st64_b32 v[6:7], v167 offset1:17
	v_lshl_add_u32 v2, v2, 6, v18
	v_ashrrev_i32_e32 v3, 31, v2
	v_lshlrev_b64 v[2:3], 3, v[2:3]
	v_add_co_u32_e32 v2, vcc, s6, v2
	s_waitcnt lgkmcnt(0)
	v_cvt_f32_f16_sdwa v9, v6 dst_sel:DWORD dst_unused:UNUSED_PAD src0_sel:WORD_1
	v_cvt_f32_f16_e32 v8, v6
	v_cvt_f32_f16_sdwa v11, v7 dst_sel:DWORD dst_unused:UNUSED_PAD src0_sel:WORD_1
	v_cvt_f32_f16_e32 v10, v7
	v_mov_b32_e32 v1, s87
	v_pk_fma_f32 v[8:9], v[4:5], v[8:9], 0 op_sel_hi:[0,1,0]
	v_mov_b32_e32 v4, v5
	v_addc_co_u32_e32 v3, vcc, v1, v3, vcc
	v_pk_fma_f32 v[4:5], v[4:5], v[10:11], v[8:9] op_sel_hi:[0,1,1]
	global_store_dwordx2 v[2:3], v[4:5], off
.LBB24_144:                             ;   in Loop: Header=BB24_12 Depth=1
	s_or_b64 exec, exec, s[72:73]
	s_barrier
	s_branch .LBB24_11
.LBB24_145:                             ;   in Loop: Header=BB24_12 Depth=1
	s_lshl_b32 s76, s91, 4
	v_add_u32_e32 v1, s76, v61
	v_cmp_gt_i32_e64 s[8:9], s78, v39
	v_cmp_le_i32_e32 vcc, s28, v1
	s_xor_b64 s[8:9], s[8:9], -1
	s_or_b64 s[72:73], vcc, s[8:9]
	s_and_saveexec_b64 s[74:75], s[72:73]
	s_xor_b64 s[72:73], exec, s[74:75]
	s_cbranch_execz .LBB24_147
; %bb.146:                              ;   in Loop: Header=BB24_12 Depth=1
	ds_write_b32 v117, v186
                                        ; implicit-def: $vgpr1
.LBB24_147:                             ;   in Loop: Header=BB24_12 Depth=1
	s_andn2_saveexec_b64 s[72:73], s[72:73]
	s_cbranch_execz .LBB24_149
; %bb.148:                              ;   in Loop: Header=BB24_12 Depth=1
	v_mad_u64_u32 v[2:3], s[74:75], v1, s33, v[46:47]
	v_ashrrev_i32_e32 v3, 31, v2
	v_lshlrev_b64 v[2:3], 3, v[2:3]
	v_mov_b32_e32 v1, s90
	v_add_co_u32_e32 v2, vcc, s89, v2
	v_addc_co_u32_e32 v3, vcc, v1, v3, vcc
	global_load_dwordx2 v[2:3], v[2:3], off
	s_waitcnt vmcnt(0)
	v_cvt_f16_f32_e32 v1, v2
	v_cvt_f16_f32_e32 v2, v3
	v_pack_b32_f16 v1, v1, v2
	v_pk_mul_f16 v1, v69, v1
	ds_write_b32 v117, v1
.LBB24_149:                             ;   in Loop: Header=BB24_12 Depth=1
	s_or_b64 exec, exec, s[72:73]
	v_add_u32_e32 v1, s76, v208
	v_cmp_le_i32_e32 vcc, s28, v1
	s_or_b64 s[72:73], vcc, s[8:9]
	s_and_saveexec_b64 s[74:75], s[72:73]
	s_xor_b64 s[72:73], exec, s[74:75]
	s_cbranch_execz .LBB24_151
; %bb.150:                              ;   in Loop: Header=BB24_12 Depth=1
	ds_write_b32 v117, v186 offset:1088
                                        ; implicit-def: $vgpr1
.LBB24_151:                             ;   in Loop: Header=BB24_12 Depth=1
	s_andn2_saveexec_b64 s[72:73], s[72:73]
	s_cbranch_execz .LBB24_153
; %bb.152:                              ;   in Loop: Header=BB24_12 Depth=1
	v_mad_u64_u32 v[2:3], s[74:75], v1, s33, v[46:47]
	v_ashrrev_i32_e32 v3, 31, v2
	v_lshlrev_b64 v[2:3], 3, v[2:3]
	v_mov_b32_e32 v1, s90
	v_add_co_u32_e32 v2, vcc, s89, v2
	v_addc_co_u32_e32 v3, vcc, v1, v3, vcc
	global_load_dwordx2 v[2:3], v[2:3], off
	s_waitcnt vmcnt(0)
	v_cvt_f16_f32_e32 v1, v2
	v_cvt_f16_f32_e32 v2, v3
	v_pack_b32_f16 v1, v1, v2
	v_pk_mul_f16 v1, v69, v1
	ds_write_b32 v117, v1 offset:1088
.LBB24_153:                             ;   in Loop: Header=BB24_12 Depth=1
	s_or_b64 exec, exec, s[72:73]
	v_add_u32_e32 v1, s76, v209
	v_cmp_le_i32_e32 vcc, s28, v1
	s_or_b64 s[72:73], vcc, s[8:9]
	s_and_saveexec_b64 s[74:75], s[72:73]
	s_xor_b64 s[72:73], exec, s[74:75]
	s_cbranch_execz .LBB24_155
; %bb.154:                              ;   in Loop: Header=BB24_12 Depth=1
	ds_write_b32 v117, v186 offset:2176
                                        ; implicit-def: $vgpr1
.LBB24_155:                             ;   in Loop: Header=BB24_12 Depth=1
	s_andn2_saveexec_b64 s[72:73], s[72:73]
	s_cbranch_execz .LBB24_157
; %bb.156:                              ;   in Loop: Header=BB24_12 Depth=1
	v_mad_u64_u32 v[2:3], s[74:75], v1, s33, v[46:47]
	v_ashrrev_i32_e32 v3, 31, v2
	v_lshlrev_b64 v[2:3], 3, v[2:3]
	v_mov_b32_e32 v1, s90
	v_add_co_u32_e32 v2, vcc, s89, v2
	v_addc_co_u32_e32 v3, vcc, v1, v3, vcc
	global_load_dwordx2 v[2:3], v[2:3], off
	s_waitcnt vmcnt(0)
	v_cvt_f16_f32_e32 v1, v2
	v_cvt_f16_f32_e32 v2, v3
	v_pack_b32_f16 v1, v1, v2
	v_pk_mul_f16 v1, v69, v1
	ds_write_b32 v117, v1 offset:2176
.LBB24_157:                             ;   in Loop: Header=BB24_12 Depth=1
	;; [unrolled: 28-line block ×7, first 2 shown]
	s_or_b64 exec, exec, s[8:9]
	s_waitcnt lgkmcnt(0)
	s_barrier
	ds_read2_b64 v[14:17], v112 offset1:4
	ds_read2_b64 v[10:13], v112 offset0:8 offset1:12
	ds_read2_b64 v[6:9], v112 offset0:16 offset1:20
	;; [unrolled: 1-line block ×3, first 2 shown]
	s_cmp_gt_i32 s80, 1
	s_waitcnt lgkmcnt(0)
	s_barrier
	s_cbranch_scc1 .LBB24_179
; %bb.178:                              ;   in Loop: Header=BB24_12 Depth=1
	v_add_u32_e32 v1, s76, v113
	v_mul_hi_u32 v19, s40, v1
	v_add_u32_e32 v19, v1, v19
	v_lshrrev_b32_e32 v19, s41, v19
	v_mul_lo_u32 v19, v19, s28
	v_sub_u32_e32 v1, v1, v19
	v_mad_i64_i32 v[52:53], s[8:9], v1, s42, 0
	v_add_u32_e32 v1, s76, v188
	v_mul_hi_u32 v19, s40, v1
	v_add_u32_e32 v19, v1, v19
	v_lshrrev_b32_e32 v19, s41, v19
	v_mul_lo_u32 v19, v19, s28
	v_sub_u32_e32 v1, v1, v19
	v_mbcnt_hi_u32_b32 v59, -1, v216
	v_mad_i64_i32 v[54:55], s[8:9], v1, s42, 0
	v_and_b32_e32 v1, 64, v59
	s_mov_b32 s72, 0
	v_add_u32_e32 v221, 64, v1
	v_xor_b32_e32 v223, 32, v59
	v_xor_b32_e32 v222, 16, v59
	s_mov_b64 s[8:9], 0
	s_mov_b32 s73, 0xfeffffff
	s_branch .LBB24_180
.LBB24_179:                             ;   in Loop: Header=BB24_12 Depth=1
	s_mov_b64 s[8:9], -1
                                        ; implicit-def: $sgpr72
                                        ; implicit-def: $sgpr73
                                        ; implicit-def: $vgpr52_vgpr53
                                        ; implicit-def: $vgpr54_vgpr55
                                        ; implicit-def: $vgpr59
                                        ; implicit-def: $vgpr221
                                        ; implicit-def: $vgpr223
                                        ; implicit-def: $vgpr222
.LBB24_180:                             ;   in Loop: Header=BB24_12 Depth=1
	s_andn2_b64 vcc, exec, s[8:9]
	v_mov_b32_e32 v227, s72
	v_mov_b32_e32 v224, s72
	;; [unrolled: 1-line block ×18, first 2 shown]
	s_cbranch_vccnz .LBB24_183
; %bb.181:                              ;   in Loop: Header=BB24_12 Depth=1
	v_add_u32_e32 v1, s76, v113
	v_mul_hi_u32 v19, s40, v1
	v_add_u32_e32 v19, v1, v19
	v_lshrrev_b32_e32 v19, s41, v19
	v_mul_lo_u32 v19, v19, s28
	v_sub_u32_e32 v1, v1, v19
	v_add_u32_e32 v19, s76, v188
	v_mul_hi_u32 v39, s40, v19
	v_add_u32_e32 v39, v19, v39
	v_lshrrev_b32_e32 v39, s41, v39
	v_mul_lo_u32 v39, v39, s28
	v_sub_u32_e32 v19, v19, v39
	v_mbcnt_hi_u32_b32 v59, -1, v216
	v_mad_i64_i32 v[52:53], s[8:9], v1, s42, 0
	v_mad_i64_i32 v[54:55], s[8:9], v19, s42, 0
	v_and_b32_e32 v39, 64, v59
	v_add_u32_e32 v221, 64, v39
	v_xor_b32_e32 v223, 32, v59
	v_readlane_b32 s8, v255, 20
	v_cmp_lt_i32_e32 vcc, v223, v221
	v_xor_b32_e32 v222, 16, v59
	v_readlane_b32 s9, v255, 21
	s_mov_b32 s74, s8
	v_cndmask_b32_e32 v39, v59, v223, vcc
	v_cmp_lt_i32_e32 vcc, v222, v221
	v_mad_i64_i32 v[50:51], s[8:9], s74, v1, v[48:49]
	v_lshlrev_b32_e32 v225, 2, v39
	v_cndmask_b32_e32 v39, v59, v222, vcc
	v_add_co_u32_e32 v56, vcc, v168, v50
	s_add_i32 s72, s80, -1
	v_addc_co_u32_e32 v57, vcc, v169, v51, vcc
	v_mad_i64_i32 v[48:49], s[8:9], s74, v19, v[48:49]
	v_add_co_u32_e32 v48, vcc, v168, v48
	s_add_u32 s8, s61, s62
	v_addc_co_u32_e32 v49, vcc, v169, v49, vcc
	s_addc_u32 s9, s58, s63
	v_mov_b32_e32 v1, s9
	v_add_co_u32_e32 v58, vcc, s8, v170
	v_addc_co_u32_e32 v1, vcc, v171, v1, vcc
	v_mov_b32_e32 v19, s9
	v_add_co_u32_e32 v60, vcc, s8, v172
	v_addc_co_u32_e32 v19, vcc, v173, v19, vcc
	v_lshlrev_b32_e32 v226, 2, v39
	v_mov_b32_e32 v39, s9
	v_add_co_u32_e32 v62, vcc, s8, v174
	v_addc_co_u32_e32 v39, vcc, v175, v39, vcc
	v_mov_b32_e32 v41, s9
	v_add_co_u32_e32 v64, vcc, s8, v176
	s_add_u32 s8, s82, s79
	v_addc_co_u32_e32 v41, vcc, v177, v41, vcc
	s_addc_u32 s9, s81, s60
	v_mov_b32_e32 v43, s9
	v_add_co_u32_e32 v66, vcc, s8, v178
	v_addc_co_u32_e32 v43, vcc, v179, v43, vcc
	v_mov_b32_e32 v45, s9
	v_add_co_u32_e32 v68, vcc, s8, v180
	v_addc_co_u32_e32 v45, vcc, v181, v45, vcc
	;; [unrolled: 3-line block ×3, first 2 shown]
	v_mov_b32_e32 v50, s9
	v_add_co_u32_e32 v72, vcc, s8, v184
	v_mov_b32_e32 v74, 0
	v_addc_co_u32_e32 v51, vcc, v185, v50, vcc
	v_mov_b32_e32 v224, 0
	v_mov_b32_e32 v50, 0xfeffffff
	s_mov_b32 s8, s72
	v_mov_b32_e32 v75, 0
	v_mov_b32_e32 v240, 0
	;; [unrolled: 1-line block ×15, first 2 shown]
.LBB24_182:                             ;   Parent Loop BB24_12 Depth=1
                                        ; =>  This Inner Loop Header: Depth=2
	v_mov_b32_e32 v241, v50
	global_load_dword v50, v[56:57], off
	v_add_u32_e32 v76, v189, v187
	v_mov_b32_e32 v254, v224
	s_add_i32 s8, s8, -1
	s_cmp_lg_u32 s8, 0
	s_waitcnt vmcnt(0)
	ds_write_b32 v76, v50 offset:17408
	global_load_dword v50, v[48:49], off
	s_waitcnt vmcnt(0)
	ds_write_b32 v76, v50 offset:18560
	v_add_co_u32_e32 v76, vcc, v66, v40
	v_addc_co_u32_e32 v77, vcc, 0, v43, vcc
	global_load_dwordx4 v[242:245], v[76:77], off
	v_add_co_u32_e32 v76, vcc, v68, v40
	v_addc_co_u32_e32 v77, vcc, 0, v45, vcc
	v_add_u32_e32 v50, v83, v114
	s_waitcnt vmcnt(0)
	ds_write_b128 v84, v[242:245]
	global_load_dwordx4 v[242:245], v[76:77], off
	v_add_co_u32_e32 v76, vcc, v70, v40
	v_addc_co_u32_e32 v77, vcc, 0, v47, vcc
	s_waitcnt vmcnt(0)
	ds_write_b128 v190, v[242:245]
	global_load_dwordx4 v[242:245], v[76:77], off
	v_add_co_u32_e32 v76, vcc, v72, v40
	v_addc_co_u32_e32 v77, vcc, 0, v51, vcc
	s_waitcnt vmcnt(0)
	ds_write_b128 v191, v[242:245]
	global_load_dwordx4 v[242:245], v[76:77], off
	s_waitcnt vmcnt(0)
	ds_write_b128 v192, v[242:245]
	s_waitcnt lgkmcnt(0)
	s_barrier
	ds_read2_b64 v[242:245], v50 offset1:4
	s_waitcnt lgkmcnt(0)
	v_mfma_f32_16x16x16f16 v[246:249], v[242:243], v[14:15], 0
	v_mfma_f32_16x16x16f16 v[242:245], v[244:245], v[16:17], v[246:249]
	s_nop 7
	s_nop 1
	ds_read2_b64 v[246:249], v50 offset0:8 offset1:12
	s_waitcnt lgkmcnt(0)
	v_mfma_f32_16x16x16f16 v[242:245], v[246:247], v[10:11], v[242:245]
	v_mfma_f32_16x16x16f16 v[242:245], v[248:249], v[12:13], v[242:245]
	ds_read2_b64 v[246:249], v50 offset0:16 offset1:20
	s_waitcnt lgkmcnt(0)
	v_mfma_f32_16x16x16f16 v[242:245], v[246:247], v[6:7], v[242:245]
	v_mfma_f32_16x16x16f16 v[242:245], v[248:249], v[8:9], v[242:245]
	ds_read2_b64 v[246:249], v50 offset0:24 offset1:28
	v_add_u32_e32 v50, 0x2000, v50
	s_waitcnt lgkmcnt(0)
	v_mfma_f32_16x16x16f16 v[242:245], v[246:247], v[2:3], v[242:245]
	v_mfma_f32_16x16x16f16 v[242:245], v[248:249], v[4:5], v[242:245]
	ds_read2_b64 v[246:249], v50 offset0:64 offset1:68
	s_waitcnt lgkmcnt(0)
	v_mfma_f32_16x16x16f16 v[250:253], v[246:247], v[14:15], 0
	v_mfma_f32_16x16x16f16 v[246:249], v[248:249], v[16:17], v[250:253]
	s_nop 7
	s_nop 1
	ds_read2_b64 v[250:253], v50 offset0:72 offset1:76
	s_waitcnt lgkmcnt(0)
	v_mfma_f32_16x16x16f16 v[246:249], v[250:251], v[10:11], v[246:249]
	v_mfma_f32_16x16x16f16 v[246:249], v[252:253], v[12:13], v[246:249]
	ds_read2_b64 v[250:253], v50 offset0:80 offset1:84
	s_waitcnt lgkmcnt(0)
	v_mfma_f32_16x16x16f16 v[246:249], v[250:251], v[6:7], v[246:249]
	v_mfma_f32_16x16x16f16 v[246:249], v[252:253], v[8:9], v[246:249]
	ds_read2_b64 v[250:253], v50 offset0:88 offset1:92
	v_add_u32_e32 v50, 0x4400, v85
	s_waitcnt lgkmcnt(0)
	s_barrier
	ds_read2_b32 v[76:77], v50 offset1:1
	ds_read_b32 v50, v115 offset:17408
	ds_read_b32 v224, v116 offset:17408
	v_mfma_f32_16x16x16f16 v[246:249], v[250:251], v[2:3], v[246:249]
	s_waitcnt lgkmcnt(2)
	v_cvt_f32_f16_e32 v250, v76
	v_cvt_f32_f16_sdwa v251, v76 dst_sel:DWORD dst_unused:UNUSED_PAD src0_sel:WORD_1
	v_pk_add_f32 v[242:243], v[242:243], v[250:251]
	v_add_f32_e32 v76, 0x40051340, v242
	v_mfma_f32_16x16x16f16 v[246:249], v[252:253], v[4:5], v[246:249]
	v_add_f32_e32 v250, 0x40051340, v243
	v_max3_f32 v252, v241, v76, v250
	s_waitcnt lgkmcnt(0)
	v_cvt_f32_f16_sdwa v251, v224 dst_sel:DWORD dst_unused:UNUSED_PAD src0_sel:WORD_1
	v_cvt_f32_f16_e32 v250, v224
	v_cvt_f32_f16_e32 v76, v77
	v_cvt_f32_f16_sdwa v77, v77 dst_sel:DWORD dst_unused:UNUSED_PAD src0_sel:WORD_1
	s_nop 3
	v_pk_add_f32 v[248:249], v[248:249], v[250:251]
	v_cvt_f32_f16_sdwa v251, v50 dst_sel:DWORD dst_unused:UNUSED_PAD src0_sel:WORD_1
	v_cvt_f32_f16_e32 v250, v50
	v_pk_add_f32 v[76:77], v[244:245], v[76:77]
	v_add_f32_e32 v244, 0x40051340, v76
	v_add_f32_e32 v245, 0x40051340, v77
	v_pk_add_f32 v[246:247], v[246:247], v[250:251]
	v_add_f32_e32 v50, 0x40051340, v246
	v_add_f32_e32 v250, 0x40051340, v247
	v_max3_f32 v244, v252, v244, v245
	v_add_f32_e32 v224, 0x40051340, v248
	v_add_f32_e32 v253, 0x40051340, v249
	v_max3_f32 v50, v244, v50, v250
	v_max3_f32 v50, v50, v224, v253
	ds_bpermute_b32 v224, v225, v50
	s_waitcnt lgkmcnt(0)
	v_max_f32_e32 v224, v224, v224
	v_max_f32_e32 v50, v50, v224
	ds_bpermute_b32 v224, v226, v50
	s_waitcnt lgkmcnt(0)
	v_max_f32_e32 v224, v224, v224
	v_max_f32_e32 v50, v50, v224
	v_pk_add_f32 v[242:243], v[242:243], v[50:51] op_sel_hi:[1,0] neg_lo:[0,1] neg_hi:[0,1]
	v_mul_f32_e32 v224, 0x3fb8aa3b, v243
	v_fma_f32 v244, v243, s43, -v224
	v_rndne_f32_e32 v245, v224
	v_fmac_f32_e32 v244, 0x32a5705f, v243
	v_sub_f32_e32 v224, v224, v245
	v_add_f32_e32 v224, v224, v244
	v_exp_f32_e32 v224, v224
	v_cvt_i32_f32_e32 v244, v245
	v_cmp_ngt_f32_e32 vcc, s65, v243
	v_pk_add_f32 v[76:77], v[76:77], v[50:51] op_sel_hi:[1,0] neg_lo:[0,1] neg_hi:[0,1]
	v_ldexp_f32 v224, v224, v244
	v_cndmask_b32_e32 v224, 0, v224, vcc
	v_cmp_nlt_f32_e32 vcc, s95, v243
	v_cndmask_b32_e32 v243, v218, v224, vcc
	v_mul_f32_e32 v224, 0x3fb8aa3b, v242
	v_fma_f32 v244, v242, s43, -v224
	v_rndne_f32_e32 v245, v224
	v_fmac_f32_e32 v244, 0x32a5705f, v242
	v_sub_f32_e32 v224, v224, v245
	v_add_f32_e32 v224, v224, v244
	v_exp_f32_e32 v224, v224
	v_cvt_i32_f32_e32 v244, v245
	v_cmp_ngt_f32_e32 vcc, s65, v242
	v_ldexp_f32 v224, v224, v244
	v_cndmask_b32_e32 v224, 0, v224, vcc
	v_cmp_nlt_f32_e32 vcc, s95, v242
	v_cndmask_b32_e32 v244, v218, v224, vcc
	v_mul_f32_e32 v224, 0x3fb8aa3b, v77
	v_fma_f32 v242, v77, s43, -v224
	v_rndne_f32_e32 v245, v224
	v_fmac_f32_e32 v242, 0x32a5705f, v77
	v_sub_f32_e32 v224, v224, v245
	v_add_f32_e32 v224, v224, v242
	v_exp_f32_e32 v224, v224
	v_cvt_i32_f32_e32 v242, v245
	v_cmp_ngt_f32_e32 vcc, s65, v77
	v_ldexp_f32 v224, v224, v242
	v_cndmask_b32_e32 v224, 0, v224, vcc
	v_cmp_nlt_f32_e32 vcc, s95, v77
	v_mul_f32_e32 v77, 0x3fb8aa3b, v76
	v_cndmask_b32_e32 v245, v218, v224, vcc
	v_fma_f32 v224, v76, s43, -v77
	v_rndne_f32_e32 v242, v77
	v_fmac_f32_e32 v224, 0x32a5705f, v76
	v_sub_f32_e32 v77, v77, v242
	v_add_f32_e32 v77, v77, v224
	v_exp_f32_e32 v77, v77
	v_cvt_i32_f32_e32 v224, v242
	v_cmp_ngt_f32_e32 vcc, s65, v76
	v_ldexp_f32 v77, v77, v224
	v_cndmask_b32_e32 v77, 0, v77, vcc
	v_cmp_nlt_f32_e32 vcc, s95, v76
	v_cndmask_b32_e32 v250, v218, v77, vcc
	v_pk_add_f32 v[76:77], v[246:247], v[50:51] op_sel_hi:[1,0] neg_lo:[0,1] neg_hi:[0,1]
	v_mul_f32_e32 v224, 0x3fb8aa3b, v77
	v_fma_f32 v242, v77, s43, -v224
	v_rndne_f32_e32 v246, v224
	v_fmac_f32_e32 v242, 0x32a5705f, v77
	v_sub_f32_e32 v224, v224, v246
	v_add_f32_e32 v224, v224, v242
	v_exp_f32_e32 v224, v224
	v_cvt_i32_f32_e32 v242, v246
	v_cmp_ngt_f32_e32 vcc, s65, v77
	v_ldexp_f32 v224, v224, v242
	v_cndmask_b32_e32 v224, 0, v224, vcc
	v_cmp_nlt_f32_e32 vcc, s95, v77
	v_mul_f32_e32 v77, 0x3fb8aa3b, v76
	v_cndmask_b32_e32 v246, v218, v224, vcc
	v_fma_f32 v224, v76, s43, -v77
	v_rndne_f32_e32 v242, v77
	v_fmac_f32_e32 v224, 0x32a5705f, v76
	v_sub_f32_e32 v77, v77, v242
	v_add_f32_e32 v77, v77, v224
	v_exp_f32_e32 v77, v77
	v_cvt_i32_f32_e32 v224, v242
	v_cmp_ngt_f32_e32 vcc, s65, v76
	v_ldexp_f32 v77, v77, v224
	v_cndmask_b32_e32 v77, 0, v77, vcc
	v_cmp_nlt_f32_e32 vcc, s95, v76
	v_cndmask_b32_e32 v247, v218, v77, vcc
	v_pk_add_f32 v[76:77], v[248:249], v[50:51] op_sel_hi:[1,0] neg_lo:[0,1] neg_hi:[0,1]
	v_mul_f32_e32 v224, 0x3fb8aa3b, v77
	v_fma_f32 v242, v77, s43, -v224
	v_rndne_f32_e32 v248, v224
	v_fmac_f32_e32 v242, 0x32a5705f, v77
	v_sub_f32_e32 v224, v224, v248
	v_add_f32_e32 v224, v224, v242
	v_exp_f32_e32 v224, v224
	v_cvt_i32_f32_e32 v242, v248
	v_cmp_ngt_f32_e32 vcc, s65, v77
	v_ldexp_f32 v224, v224, v242
	v_cndmask_b32_e32 v224, 0, v224, vcc
	v_cmp_nlt_f32_e32 vcc, s95, v77
	v_mul_f32_e32 v77, 0x3fb8aa3b, v76
	v_cndmask_b32_e32 v248, v218, v224, vcc
	v_fma_f32 v224, v76, s43, -v77
	v_rndne_f32_e32 v242, v77
	v_fmac_f32_e32 v224, 0x32a5705f, v76
	v_sub_f32_e32 v77, v77, v242
	v_add_f32_e32 v77, v77, v224
	v_exp_f32_e32 v77, v77
	v_cvt_i32_f32_e32 v224, v242
	v_cmp_ngt_f32_e32 vcc, s65, v76
	v_ldexp_f32 v77, v77, v224
	v_cndmask_b32_e32 v77, 0, v77, vcc
	v_cmp_nlt_f32_e32 vcc, s95, v76
	v_add_f32_e32 v76, v244, v243
	v_add_f32_e32 v76, v250, v76
	;; [unrolled: 1-line block ×4, first 2 shown]
	v_cndmask_b32_e32 v249, v218, v77, vcc
	v_add_f32_e32 v76, v246, v76
	v_add_f32_e32 v76, v249, v76
	;; [unrolled: 1-line block ×3, first 2 shown]
	v_sub_f32_e32 v76, v241, v50
	v_mul_f32_e32 v77, 0x3fb8aa3b, v76
	v_fma_f32 v241, v76, s43, -v77
	v_rndne_f32_e32 v242, v77
	v_fmac_f32_e32 v241, 0x32a5705f, v76
	v_sub_f32_e32 v77, v77, v242
	v_add_f32_e32 v77, v77, v241
	v_exp_f32_e32 v77, v77
	v_cvt_i32_f32_e32 v241, v242
	v_cmp_ngt_f32_e32 vcc, s65, v76
	v_ldexp_f32 v77, v77, v241
	v_cndmask_b32_e32 v77, 0, v77, vcc
	v_cmp_nlt_f32_e32 vcc, s95, v76
	v_cndmask_b32_e32 v77, v218, v77, vcc
	v_cmp_le_f32_e32 vcc, s54, v76
	v_cndmask_b32_e32 v76, 0, v77, vcc
	v_fmac_f32_e32 v224, v254, v76
	v_cvt_f16_f32_e32 v76, v76
	v_pk_mul_f16 v242, v76, v74 op_sel_hi:[0,1]
	v_pk_mul_f16 v241, v76, v75 op_sel_hi:[0,1]
	v_cvt_f16_f32_e32 v74, v244
	v_cvt_f16_f32_e32 v75, v243
	v_pk_mul_f16 v228, v76, v228 op_sel_hi:[0,1]
	v_pk_mul_f16 v227, v76, v227 op_sel_hi:[0,1]
	;; [unrolled: 1-line block ×14, first 2 shown]
	v_pack_b32_f16 v76, v74, v75
	v_cvt_f16_f32_e32 v74, v245
	v_cvt_f16_f32_e32 v75, v250
	v_add_co_u32_e32 v244, vcc, v58, v40
	v_addc_co_u32_e32 v245, vcc, 0, v1, vcc
	v_pack_b32_f16 v77, v75, v74
	v_cvt_f16_f32_e32 v74, v246
	v_cvt_f16_f32_e32 v75, v247
	global_load_dwordx4 v[244:247], v[244:245], off
	v_cvt_f16_f32_e32 v243, v249
	v_pack_b32_f16 v74, v75, v74
	v_cvt_f16_f32_e32 v75, v248
	v_add_co_u32_e32 v248, vcc, v60, v40
	v_addc_co_u32_e32 v249, vcc, 0, v19, vcc
	v_add_co_u32_e32 v250, vcc, v62, v40
	v_addc_co_u32_e32 v251, vcc, 0, v39, vcc
	;; [unrolled: 2-line block ×3, first 2 shown]
	v_pack_b32_f16 v75, v243, v75
	v_add_co_u32_e32 v56, vcc, s88, v56
	v_addc_co_u32_e32 v57, vcc, 0, v57, vcc
	v_add_co_u32_e32 v48, vcc, s88, v48
	v_addc_co_u32_e32 v49, vcc, 0, v49, vcc
	v_add_co_u32_e32 v58, vcc, s66, v58
	s_waitcnt vmcnt(0)
	ds_write_b128 v84, v[244:247]
	global_load_dwordx4 v[244:247], v[248:249], off
	s_waitcnt vmcnt(0)
	ds_write_b128 v190, v[244:247]
	global_load_dwordx4 v[244:247], v[250:251], off
	;; [unrolled: 3-line block ×3, first 2 shown]
	s_waitcnt vmcnt(0)
	ds_write_b128 v192, v[244:247]
	s_waitcnt lgkmcnt(0)
	s_barrier
	ds_read_u16 v243, v87 offset:272
	ds_read_u16 v248, v87 offset:544
	v_cvt_f32_f16_e32 v246, v227
	v_cvt_f32_f16_sdwa v247, v227 dst_sel:DWORD dst_unused:UNUSED_PAD src0_sel:WORD_1
	ds_read_u16 v227, v88
	ds_read_u16 v250, v88 offset:32
	v_cvt_f32_f16_e32 v244, v228
	v_cvt_f32_f16_sdwa v245, v228 dst_sel:DWORD dst_unused:UNUSED_PAD src0_sel:WORD_1
	s_waitcnt lgkmcnt(1)
	v_perm_b32 v249, v227, v248, s53
	ds_read_u16 v227, v86
	ds_read_u16 v251, v86 offset:32
	s_waitcnt lgkmcnt(1)
	v_perm_b32 v248, v243, v227, s53
	s_nop 1
	v_mfma_f32_16x16x16f16 v[244:247], v[248:249], v[76:77], v[244:247]
	ds_read_u16 v248, v86 offset:8704
	ds_read_u16 v252, v193 offset:272
	;; [unrolled: 1-line block ×4, first 2 shown]
	s_waitcnt lgkmcnt(2)
	v_perm_b32 v248, v252, v248, s53
	s_waitcnt lgkmcnt(0)
	v_perm_b32 v249, v253, v249, s53
	s_nop 2
	v_cvt_f16_f32_e32 v227, v244
	v_cvt_f16_f32_e32 v228, v245
	;; [unrolled: 1-line block ×4, first 2 shown]
	v_cvt_f32_f16_e32 v244, v227
	v_cvt_f32_f16_e32 v245, v228
	;; [unrolled: 1-line block ×4, first 2 shown]
	s_nop 1
	v_mfma_f32_16x16x16f16 v[244:247], v[248:249], v[74:75], v[244:247]
	s_nop 7
	s_nop 2
	v_cvt_f16_f32_e32 v227, v244
	v_cvt_f16_f32_e32 v228, v245
	;; [unrolled: 1-line block ×4, first 2 shown]
	v_cvt_f32_f16_sdwa v245, v230 dst_sel:DWORD dst_unused:UNUSED_PAD src0_sel:WORD_1
	v_pack_b32_f16 v228, v227, v228
	v_cvt_f32_f16_e32 v246, v229
	v_pack_b32_f16 v227, v243, v244
	ds_read_u16 v243, v194 offset:272
	ds_read_u16 v248, v194 offset:544
	v_cvt_f32_f16_e32 v244, v230
	v_cvt_f32_f16_sdwa v247, v229 dst_sel:DWORD dst_unused:UNUSED_PAD src0_sel:WORD_1
	s_waitcnt lgkmcnt(0)
	v_perm_b32 v249, v250, v248, s53
	v_perm_b32 v248, v243, v251, s53
	s_nop 1
	v_mfma_f32_16x16x16f16 v[244:247], v[248:249], v[76:77], v[244:247]
	ds_read_u16 v248, v89 offset:8704
	ds_read_u16 v250, v90 offset:272
	ds_read_u16 v249, v195 offset:544
	ds_read_u16 v251, v91 offset:8704
	s_waitcnt lgkmcnt(2)
	v_perm_b32 v248, v250, v248, s53
	s_waitcnt lgkmcnt(0)
	v_perm_b32 v249, v251, v249, s53
	s_nop 2
	v_cvt_f16_f32_e32 v229, v244
	v_cvt_f16_f32_e32 v230, v245
	v_cvt_f16_f32_e32 v243, v246
	v_cvt_f16_f32_e32 v247, v247
	v_cvt_f32_f16_e32 v244, v229
	v_cvt_f32_f16_e32 v245, v230
	v_cvt_f32_f16_e32 v246, v243
	v_cvt_f32_f16_e32 v247, v247
	s_nop 1
	v_mfma_f32_16x16x16f16 v[244:247], v[248:249], v[74:75], v[244:247]
	s_nop 7
	s_nop 2
	v_cvt_f16_f32_e32 v229, v244
	v_cvt_f16_f32_e32 v230, v245
	v_cvt_f16_f32_e32 v243, v246
	v_cvt_f16_f32_e32 v244, v247
	v_cvt_f32_f16_sdwa v245, v232 dst_sel:DWORD dst_unused:UNUSED_PAD src0_sel:WORD_1
	v_pack_b32_f16 v230, v229, v230
	v_cvt_f32_f16_e32 v246, v231
	v_pack_b32_f16 v229, v243, v244
	ds_read_u16 v243, v86 offset:64
	ds_read_u16 v248, v196 offset:272
	ds_read_u16 v249, v196 offset:544
	ds_read_u16 v250, v88 offset:64
	v_cvt_f32_f16_e32 v244, v232
	v_cvt_f32_f16_sdwa v247, v231 dst_sel:DWORD dst_unused:UNUSED_PAD src0_sel:WORD_1
	s_waitcnt lgkmcnt(2)
	v_perm_b32 v248, v248, v243, s53
	s_waitcnt lgkmcnt(0)
	v_perm_b32 v249, v250, v249, s53
	s_nop 1
	v_mfma_f32_16x16x16f16 v[244:247], v[248:249], v[76:77], v[244:247]
	ds_read_u16 v248, v92 offset:8704
	ds_read_u16 v250, v93 offset:272
	ds_read_u16 v249, v197 offset:544
	ds_read_u16 v251, v94 offset:8704
	s_waitcnt lgkmcnt(2)
	v_perm_b32 v248, v250, v248, s53
	s_waitcnt lgkmcnt(0)
	v_perm_b32 v249, v251, v249, s53
	s_nop 2
	v_cvt_f16_f32_e32 v231, v244
	v_cvt_f16_f32_e32 v232, v245
	v_cvt_f16_f32_e32 v243, v246
	v_cvt_f16_f32_e32 v247, v247
	v_cvt_f32_f16_e32 v244, v231
	v_cvt_f32_f16_e32 v245, v232
	v_cvt_f32_f16_e32 v246, v243
	v_cvt_f32_f16_e32 v247, v247
	s_nop 1
	v_mfma_f32_16x16x16f16 v[244:247], v[248:249], v[74:75], v[244:247]
	s_nop 7
	s_nop 2
	v_cvt_f16_f32_e32 v231, v244
	v_cvt_f16_f32_e32 v232, v245
	v_cvt_f16_f32_e32 v243, v246
	v_cvt_f16_f32_e32 v244, v247
	v_cvt_f32_f16_sdwa v245, v234 dst_sel:DWORD dst_unused:UNUSED_PAD src0_sel:WORD_1
	v_pack_b32_f16 v232, v231, v232
	v_cvt_f32_f16_e32 v246, v233
	v_pack_b32_f16 v231, v243, v244
	ds_read_u16 v243, v86 offset:96
	ds_read_u16 v248, v198 offset:272
	ds_read_u16 v249, v198 offset:544
	ds_read_u16 v250, v88 offset:96
	v_cvt_f32_f16_e32 v244, v234
	v_cvt_f32_f16_sdwa v247, v233 dst_sel:DWORD dst_unused:UNUSED_PAD src0_sel:WORD_1
	s_waitcnt lgkmcnt(2)
	v_perm_b32 v248, v248, v243, s53
	s_waitcnt lgkmcnt(0)
	;; [unrolled: 41-line block ×6, first 2 shown]
	v_perm_b32 v243, v250, v243, s53
	s_nop 1
	v_mfma_f32_16x16x16f16 v[242:245], v[242:243], v[76:77], v[244:247]
	s_nop 6
	ds_read_u16 v246, v107 offset:8704
	ds_read_u16 v247, v108 offset:272
	;; [unrolled: 1-line block ×4, first 2 shown]
	s_waitcnt lgkmcnt(0)
	s_barrier
	v_cvt_f16_f32_e32 v76, v242
	v_cvt_f16_f32_e32 v77, v243
	;; [unrolled: 1-line block ×4, first 2 shown]
	v_cvt_f32_f16_e32 v242, v76
	v_cvt_f32_f16_e32 v243, v77
	v_perm_b32 v77, v249, v248, s53
	v_perm_b32 v76, v247, v246, s53
	v_cvt_f32_f16_e32 v244, v241
	v_cvt_f32_f16_e32 v245, v245
	s_nop 1
	v_mfma_f32_16x16x16f16 v[74:77], v[76:77], v[74:75], v[242:245]
	s_nop 7
	s_nop 2
	v_cvt_f16_f32_e32 v74, v74
	v_cvt_f16_f32_e32 v75, v75
	;; [unrolled: 1-line block ×4, first 2 shown]
	v_pack_b32_f16 v74, v74, v75
	v_pack_b32_f16 v75, v76, v77
	v_mov_b32_e32 v76, s67
	v_addc_co_u32_e32 v1, vcc, v1, v76, vcc
	v_add_co_u32_e32 v60, vcc, s66, v60
	v_addc_co_u32_e32 v19, vcc, v19, v76, vcc
	v_add_co_u32_e32 v62, vcc, s66, v62
	;; [unrolled: 2-line block ×4, first 2 shown]
	v_mov_b32_e32 v76, s69
	v_addc_co_u32_e32 v43, vcc, v43, v76, vcc
	v_add_co_u32_e32 v68, vcc, s68, v68
	v_addc_co_u32_e32 v45, vcc, v45, v76, vcc
	v_add_co_u32_e32 v70, vcc, s68, v70
	;; [unrolled: 2-line block ×3, first 2 shown]
	v_addc_co_u32_e32 v51, vcc, v51, v76, vcc
	s_cbranch_scc1 .LBB24_182
.LBB24_183:                             ;   in Loop: Header=BB24_12 Depth=1
	s_lshl_b32 s58, s72, 6
	s_lshl_b64 s[8:9], s[58:59], 1
	v_mov_b32_e32 v1, s9
	v_add_co_u32_e32 v19, vcc, s8, v219
	v_addc_co_u32_e32 v1, vcc, v220, v1, vcc
	v_lshlrev_b32_e32 v39, 1, v38
	v_add_co_u32_e32 v19, vcc, v19, v39
	v_addc_co_u32_e32 v1, vcc, 0, v1, vcc
	v_lshlrev_b64 v[48:49], 1, v[52:53]
	s_mul_i32 s8, s35, s58
	s_mul_hi_u32 s9, s34, s58
	v_add_co_u32_e32 v48, vcc, v19, v48
	s_add_i32 s9, s9, s8
	s_mul_i32 s8, s34, s58
	v_addc_co_u32_e32 v49, vcc, v1, v49, vcc
	v_lshlrev_b64 v[52:53], 1, v[54:55]
	s_lshl_b64 s[8:9], s[8:9], 2
	v_add_co_u32_e32 v52, vcc, v19, v52
	s_add_u32 s8, s10, s8
	v_addc_co_u32_e32 v53, vcc, v1, v53, vcc
	s_addc_u32 s9, s11, s9
	v_mov_b32_e32 v39, s9
	v_add_co_u32_e32 v41, vcc, s8, v30
	v_addc_co_u32_e32 v39, vcc, v39, v31, vcc
	global_load_dword v1, v[48:49], off
	global_load_dword v19, v[52:53], off
	v_add_co_u32_e32 v48, vcc, v41, v111
	v_addc_co_u32_e32 v49, vcc, 0, v39, vcc
	v_mov_b32_e32 v39, s9
	v_add_co_u32_e32 v41, vcc, s8, v32
	v_addc_co_u32_e32 v39, vcc, v39, v33, vcc
	v_add_co_u32_e32 v56, vcc, v41, v111
	v_addc_co_u32_e32 v57, vcc, 0, v39, vcc
	v_mov_b32_e32 v39, s9
	v_add_co_u32_e32 v41, vcc, s8, v34
	v_addc_co_u32_e32 v39, vcc, v39, v35, vcc
	global_load_dwordx4 v[52:55], v[48:49], off
	global_load_dwordx4 v[242:245], v[56:57], off
	v_add_co_u32_e32 v48, vcc, v41, v111
	v_addc_co_u32_e32 v49, vcc, 0, v39, vcc
	v_mov_b32_e32 v39, s9
	v_add_co_u32_e32 v41, vcc, s8, v36
	v_addc_co_u32_e32 v39, vcc, v39, v37, vcc
	v_add_co_u32_e32 v56, vcc, v41, v111
	v_addc_co_u32_e32 v57, vcc, 0, v39, vcc
	global_load_dwordx4 v[246:249], v[48:49], off
	global_load_dwordx4 v[250:253], v[56:57], off
	v_add_u32_e32 v39, v189, v187
	v_add_u32_e32 v41, v83, v114
	v_cmp_lt_i32_e32 vcc, v223, v221
	s_mul_i32 s8, s31, s58
	s_mul_hi_u32 s9, s30, s58
	s_add_i32 s9, s9, s8
	s_mul_i32 s8, s30, s58
	s_lshl_b64 s[8:9], s[8:9], 2
	s_add_u32 s8, s49, s8
	s_addc_u32 s7, s7, s9
	s_cmp_eq_u64 s[70:71], 0
	s_waitcnt vmcnt(5)
	ds_write_b32 v39, v1 offset:17408
	s_waitcnt vmcnt(4)
	ds_write_b32 v39, v19 offset:18560
	s_waitcnt vmcnt(3)
	ds_write_b128 v84, v[52:55]
	s_waitcnt vmcnt(2)
	ds_write_b128 v190, v[242:245]
	;; [unrolled: 2-line block ×4, first 2 shown]
	v_add_u32_e32 v1, 0x2000, v41
	s_waitcnt lgkmcnt(0)
	s_barrier
	ds_read2_b64 v[52:55], v41 offset1:4
	ds_read2_b64 v[246:249], v1 offset0:64 offset1:68
	s_waitcnt lgkmcnt(1)
	v_mfma_f32_16x16x16f16 v[242:245], v[52:53], v[14:15], 0
	s_waitcnt lgkmcnt(0)
	v_mfma_f32_16x16x16f16 v[250:253], v[246:247], v[14:15], 0
	v_mfma_f32_16x16x16f16 v[52:55], v[54:55], v[16:17], v[242:245]
	;; [unrolled: 1-line block ×3, first 2 shown]
	s_nop 6
	ds_read2_b64 v[242:245], v41 offset0:8 offset1:12
	ds_read2_b64 v[246:249], v1 offset0:72 offset1:76
	s_waitcnt lgkmcnt(1)
	v_mfma_f32_16x16x16f16 v[52:55], v[242:243], v[10:11], v[52:55]
	s_waitcnt lgkmcnt(0)
	v_mfma_f32_16x16x16f16 v[14:17], v[246:247], v[10:11], v[14:17]
	v_mfma_f32_16x16x16f16 v[52:55], v[244:245], v[12:13], v[52:55]
	ds_read2_b64 v[242:245], v1 offset0:80 offset1:84
	v_mfma_f32_16x16x16f16 v[10:13], v[248:249], v[12:13], v[14:17]
	s_nop 7
	ds_read2_b64 v[14:17], v41 offset0:16 offset1:20
	s_waitcnt lgkmcnt(0)
	v_mfma_f32_16x16x16f16 v[52:55], v[14:15], v[6:7], v[52:55]
	v_mfma_f32_16x16x16f16 v[10:13], v[242:243], v[6:7], v[10:13]
	;; [unrolled: 1-line block ×4, first 2 shown]
	s_nop 7
	ds_read2_b64 v[52:55], v1 offset0:88 offset1:92
	v_add_u32_e32 v1, 0x4400, v85
	ds_read2_b64 v[10:13], v41 offset0:24 offset1:28
	s_waitcnt lgkmcnt(0)
	v_mfma_f32_16x16x16f16 v[14:17], v[10:11], v[2:3], v[14:17]
	s_barrier
	v_mfma_f32_16x16x16f16 v[8:11], v[52:53], v[2:3], v[6:9]
	ds_read2_b32 v[2:3], v1 offset1:1
	s_nop 5
	ds_read_b32 v6, v115 offset:17408
	ds_read_b32 v19, v116 offset:17408
	v_cndmask_b32_e32 v1, v59, v223, vcc
	v_lshlrev_b32_e32 v7, 2, v1
	v_cmp_lt_i32_e32 vcc, v222, v221
	s_waitcnt lgkmcnt(2)
	v_cvt_f32_f16_e32 v48, v2
	v_cvt_f32_f16_sdwa v49, v2 dst_sel:DWORD dst_unused:UNUSED_PAD src0_sel:WORD_1
	v_mfma_f32_16x16x16f16 v[12:15], v[12:13], v[4:5], v[14:17]
	v_cvt_f32_f16_e32 v56, v3
	v_cvt_f32_f16_sdwa v57, v3 dst_sel:DWORD dst_unused:UNUSED_PAD src0_sel:WORD_1
	s_waitcnt lgkmcnt(1)
	v_cvt_f32_f16_sdwa v53, v6 dst_sel:DWORD dst_unused:UNUSED_PAD src0_sel:WORD_1
	v_cvt_f32_f16_e32 v52, v6
	v_mfma_f32_16x16x16f16 v[2:5], v[54:55], v[4:5], v[8:11]
	s_waitcnt lgkmcnt(0)
	v_cvt_f32_f16_sdwa v17, v19 dst_sel:DWORD dst_unused:UNUSED_PAD src0_sel:WORD_1
	v_cvt_f32_f16_e32 v16, v19
	s_nop 3
	v_pk_add_f32 v[8:9], v[12:13], v[48:49]
	v_pk_add_f32 v[10:11], v[14:15], v[56:57]
	v_add_f32_e32 v1, 0x40051340, v8
	v_add_f32_e32 v6, 0x40051340, v9
	v_pk_add_f32 v[4:5], v[4:5], v[16:17]
	v_pk_add_f32 v[2:3], v[2:3], v[52:53]
	v_add_f32_e32 v16, 0x40051340, v10
	v_add_f32_e32 v17, 0x40051340, v11
	v_max3_f32 v1, v50, v1, v6
	v_add_f32_e32 v14, 0x40051340, v2
	v_add_f32_e32 v15, 0x40051340, v3
	v_max3_f32 v1, v1, v16, v17
	;; [unrolled: 3-line block ×3, first 2 shown]
	v_max3_f32 v1, v1, v12, v13
	ds_bpermute_b32 v6, v7, v1
	v_cndmask_b32_e32 v12, v59, v222, vcc
	v_lshlrev_b32_e32 v19, 2, v12
	s_waitcnt lgkmcnt(0)
	v_max_f32_e32 v6, v6, v6
	v_max_f32_e32 v1, v1, v6
	ds_bpermute_b32 v6, v19, v1
	s_waitcnt lgkmcnt(0)
	v_max_f32_e32 v6, v6, v6
	v_max_f32_e32 v6, v1, v6
	v_pk_add_f32 v[8:9], v[8:9], v[6:7] op_sel_hi:[1,0] neg_lo:[0,1] neg_hi:[0,1]
	v_mul_f32_e32 v1, 0x3fb8aa3b, v9
	v_mul_f32_e32 v12, 0x3fb8aa3b, v8
	v_fma_f32 v15, v9, s43, -v1
	v_rndne_f32_e32 v16, v1
	v_fma_f32 v17, v8, s43, -v12
	v_rndne_f32_e32 v39, v12
	v_fmac_f32_e32 v15, 0x32a5705f, v9
	v_sub_f32_e32 v1, v1, v16
	v_fmac_f32_e32 v17, 0x32a5705f, v8
	v_sub_f32_e32 v12, v12, v39
	v_add_f32_e32 v1, v1, v15
	v_pk_add_f32 v[10:11], v[10:11], v[6:7] op_sel_hi:[1,0] neg_lo:[0,1] neg_hi:[0,1]
	v_cvt_i32_f32_e32 v16, v16
	v_add_f32_e32 v12, v12, v17
	v_exp_f32_e32 v1, v1
	v_mul_f32_e32 v13, 0x3fb8aa3b, v11
	v_cvt_i32_f32_e32 v39, v39
	v_exp_f32_e32 v12, v12
	v_fma_f32 v41, v11, s43, -v13
	v_rndne_f32_e32 v43, v13
	v_mul_f32_e32 v14, 0x3fb8aa3b, v10
	v_fmac_f32_e32 v41, 0x32a5705f, v11
	v_sub_f32_e32 v13, v13, v43
	v_fma_f32 v45, v10, s43, -v14
	v_rndne_f32_e32 v47, v14
	v_add_f32_e32 v13, v13, v41
	v_ldexp_f32 v1, v1, v16
	v_cmp_ngt_f32_e32 vcc, s65, v9
	v_cvt_i32_f32_e32 v43, v43
	v_fmac_f32_e32 v45, 0x32a5705f, v10
	v_sub_f32_e32 v14, v14, v47
	v_exp_f32_e32 v13, v13
	v_ldexp_f32 v12, v12, v39
	v_cndmask_b32_e32 v1, 0, v1, vcc
	v_cmp_ngt_f32_e32 vcc, s65, v8
	v_add_f32_e32 v14, v14, v45
	v_cndmask_b32_e32 v12, 0, v12, vcc
	v_cmp_nlt_f32_e32 vcc, s95, v9
	v_exp_f32_e32 v14, v14
	v_cndmask_b32_e32 v1, v218, v1, vcc
	v_cmp_nlt_f32_e32 vcc, s95, v8
	v_cvt_i32_f32_e32 v8, v47
	v_ldexp_f32 v13, v13, v43
	v_cndmask_b32_e32 v39, v218, v12, vcc
	v_cmp_ngt_f32_e32 vcc, s65, v11
	v_cndmask_b32_e32 v9, 0, v13, vcc
	v_cmp_nlt_f32_e32 vcc, s95, v11
	v_cndmask_b32_e32 v41, v218, v9, vcc
	v_ldexp_f32 v11, v14, v8
	v_pk_add_f32 v[8:9], v[2:3], v[6:7] op_sel_hi:[1,0] neg_lo:[0,1] neg_hi:[0,1]
	v_mul_f32_e32 v2, 0x3fb8aa3b, v9
	v_fma_f32 v3, v9, s43, -v2
	v_rndne_f32_e32 v12, v2
	v_fmac_f32_e32 v3, 0x32a5705f, v9
	v_sub_f32_e32 v2, v2, v12
	v_add_f32_e32 v2, v2, v3
	v_exp_f32_e32 v2, v2
	v_cvt_i32_f32_e32 v3, v12
	v_cmp_ngt_f32_e32 vcc, s65, v10
	v_cndmask_b32_e32 v11, 0, v11, vcc
	v_cmp_nlt_f32_e32 vcc, s95, v10
	v_ldexp_f32 v2, v2, v3
	v_mul_f32_e32 v3, 0x3fb8aa3b, v8
	v_cndmask_b32_e32 v43, v218, v11, vcc
	v_fma_f32 v10, v8, s43, -v3
	v_rndne_f32_e32 v11, v3
	v_fmac_f32_e32 v10, 0x32a5705f, v8
	v_sub_f32_e32 v3, v3, v11
	v_add_f32_e32 v3, v3, v10
	v_exp_f32_e32 v3, v3
	v_cvt_i32_f32_e32 v10, v11
	v_cmp_ngt_f32_e32 vcc, s65, v9
	v_cndmask_b32_e32 v2, 0, v2, vcc
	v_cmp_nlt_f32_e32 vcc, s95, v9
	v_cndmask_b32_e32 v45, v218, v2, vcc
	v_ldexp_f32 v9, v3, v10
	v_mov_b32_e32 v2, s7
	v_add_co_u32_e32 v3, vcc, s8, v22
	v_pk_add_f32 v[10:11], v[4:5], v[6:7] op_sel_hi:[1,0] neg_lo:[0,1] neg_hi:[0,1]
	v_addc_co_u32_e32 v4, vcc, v2, v23, vcc
	v_add_co_u32_e32 v2, vcc, v3, v111
	v_addc_co_u32_e32 v3, vcc, 0, v4, vcc
	v_mov_b32_e32 v4, s7
	v_add_co_u32_e32 v5, vcc, s8, v24
	v_addc_co_u32_e32 v4, vcc, v4, v25, vcc
	v_add_co_u32_e32 v12, vcc, v5, v111
	v_addc_co_u32_e32 v13, vcc, 0, v4, vcc
	v_mov_b32_e32 v4, s7
	v_add_co_u32_e32 v5, vcc, s8, v26
	;; [unrolled: 5-line block ×3, first 2 shown]
	v_addc_co_u32_e32 v4, vcc, v4, v29, vcc
	v_add_co_u32_e32 v16, vcc, v5, v111
	v_addc_co_u32_e32 v17, vcc, 0, v4, vcc
	global_load_dwordx4 v[2:5], v[2:3], off
	s_nop 0
	global_load_dwordx4 v[52:55], v[12:13], off
	global_load_dwordx4 v[56:59], v[14:15], off
	;; [unrolled: 1-line block ×3, first 2 shown]
	v_mul_f32_e32 v12, 0x3fb8aa3b, v11
	v_fma_f32 v13, v11, s43, -v12
	v_rndne_f32_e32 v14, v12
	v_fmac_f32_e32 v13, 0x32a5705f, v11
	v_sub_f32_e32 v12, v12, v14
	v_add_f32_e32 v12, v12, v13
	v_exp_f32_e32 v12, v12
	v_cvt_i32_f32_e32 v13, v14
	v_cmp_ngt_f32_e32 vcc, s65, v8
	v_cndmask_b32_e32 v9, 0, v9, vcc
	v_cmp_nlt_f32_e32 vcc, s95, v8
	v_cndmask_b32_e32 v14, v218, v9, vcc
	v_mul_f32_e32 v9, 0x3fb8aa3b, v10
	v_ldexp_f32 v8, v12, v13
	v_fma_f32 v12, v10, s43, -v9
	v_rndne_f32_e32 v13, v9
	v_fmac_f32_e32 v12, 0x32a5705f, v10
	v_sub_f32_e32 v9, v9, v13
	v_add_f32_e32 v9, v9, v12
	v_exp_f32_e32 v9, v9
	v_cvt_i32_f32_e32 v12, v13
	v_cmp_ngt_f32_e32 vcc, s65, v11
	v_cndmask_b32_e32 v8, 0, v8, vcc
	v_cmp_nlt_f32_e32 vcc, s95, v11
	v_cndmask_b32_e32 v16, v218, v8, vcc
	v_ldexp_f32 v8, v9, v12
	v_cmp_ngt_f32_e32 vcc, s65, v10
	v_sub_f32_e32 v9, v50, v6
	v_cndmask_b32_e32 v8, 0, v8, vcc
	v_cmp_nlt_f32_e32 vcc, s95, v10
	v_mul_f32_e32 v10, 0x3fb8aa3b, v9
	v_fma_f32 v11, v9, s43, -v10
	v_rndne_f32_e32 v13, v10
	v_fmac_f32_e32 v11, 0x32a5705f, v9
	v_sub_f32_e32 v10, v10, v13
	v_add_f32_e32 v10, v10, v11
	v_exp_f32_e32 v10, v10
	v_cvt_i32_f32_e32 v11, v13
	v_cndmask_b32_e32 v12, v218, v8, vcc
	v_add_f32_e32 v8, v39, v1
	v_add_f32_e32 v8, v43, v8
	v_ldexp_f32 v10, v10, v11
	v_cmp_ngt_f32_e32 vcc, s65, v9
	v_add_f32_e32 v8, v41, v8
	v_cndmask_b32_e32 v10, 0, v10, vcc
	v_cmp_nlt_f32_e32 vcc, s95, v9
	v_add_f32_e32 v8, v14, v8
	v_cndmask_b32_e32 v10, v218, v10, vcc
	v_cmp_le_f32_e32 vcc, s54, v9
	v_add_f32_e32 v8, v45, v8
	v_cndmask_b32_e32 v9, 0, v10, vcc
	v_cvt_f16_f32_e32 v47, v9
	v_add_f32_e32 v8, v12, v8
	v_add_f32_e32 v17, v16, v8
	v_cvt_f16_f32_e32 v8, v39
	v_cvt_f16_f32_e32 v1, v1
	v_fmac_f32_e32 v17, v224, v9
	v_cvt_f16_f32_e32 v9, v41
	v_cvt_f16_f32_e32 v11, v43
	v_pk_mul_f16 v10, v47, v228 op_sel_hi:[0,1]
	v_pack_b32_f16 v8, v8, v1
	v_cvt_f16_f32_e32 v1, v45
	s_waitcnt vmcnt(3)
	ds_write_b128 v84, v[2:5]
	s_waitcnt vmcnt(2)
	ds_write_b128 v190, v[52:55]
	;; [unrolled: 2-line block ×4, first 2 shown]
	s_waitcnt lgkmcnt(0)
	s_barrier
	v_cvt_f32_f16_e32 v2, v10
	v_cvt_f32_f16_sdwa v3, v10 dst_sel:DWORD dst_unused:UNUSED_PAD src0_sel:WORD_1
	ds_read_u16 v5, v87 offset:544
	ds_read_u16 v10, v88
	ds_read_u16 v39, v88 offset:32
	ds_read_u16 v41, v88 offset:64
	;; [unrolled: 1-line block ×4, first 2 shown]
	v_pack_b32_f16 v9, v11, v9
	s_waitcnt lgkmcnt(4)
	v_perm_b32 v11, v10, v5, s53
	ds_read_u16 v5, v87 offset:272
	ds_read_u16 v50, v86 offset:8704
	ds_read_u16 v10, v86
	ds_read_u16 v52, v86 offset:32
	ds_read_u16 v55, v86 offset:64
	;; [unrolled: 1-line block ×7, first 2 shown]
	v_pk_mul_f16 v48, v47, v227 op_sel_hi:[0,1]
	s_waitcnt lgkmcnt(7)
	v_perm_b32 v10, v5, v10, s53
	v_cvt_f32_f16_e32 v4, v48
	v_cvt_f32_f16_sdwa v5, v48 dst_sel:DWORD dst_unused:UNUSED_PAD src0_sel:WORD_1
	v_cvt_f16_f32_e32 v14, v14
	v_cvt_f16_f32_e32 v16, v16
	v_mfma_f32_16x16x16f16 v[2:5], v[10:11], v[8:9], v[2:5]
	ds_read_u16 v10, v193 offset:544
	ds_read_u16 v53, v194 offset:272
	;; [unrolled: 1-line block ×5, first 2 shown]
	v_cvt_f16_f32_e32 v12, v12
	v_pack_b32_f16 v56, v14, v1
	v_pk_mul_f16 v49, v47, v230 op_sel_hi:[0,1]
	v_pk_mul_f16 v51, v47, v229 op_sel_hi:[0,1]
	s_waitcnt lgkmcnt(0)
	v_perm_b32 v11, v11, v10, s53
	v_perm_b32 v10, v48, v50, s53
	v_cvt_f16_f32_e32 v2, v2
	v_cvt_f16_f32_e32 v3, v3
	;; [unrolled: 1-line block ×4, first 2 shown]
	v_cvt_f32_f16_e32 v2, v2
	v_cvt_f32_f16_e32 v3, v3
	v_cvt_f32_f16_e32 v4, v4
	v_cvt_f32_f16_e32 v5, v5
	v_pack_b32_f16 v57, v12, v16
	v_cvt_f32_f16_e32 v48, v49
	v_cvt_f32_f16_sdwa v49, v49 dst_sel:DWORD dst_unused:UNUSED_PAD src0_sel:WORD_1
	v_mfma_f32_16x16x16f16 v[2:5], v[10:11], v[56:57], v[2:5]
	v_perm_b32 v11, v39, v54, s53
	v_perm_b32 v10, v53, v52, s53
	v_cvt_f32_f16_e32 v50, v51
	v_cvt_f32_f16_sdwa v51, v51 dst_sel:DWORD dst_unused:UNUSED_PAD src0_sel:WORD_1
	v_pk_mul_f16 v60, v47, v232 op_sel_hi:[0,1]
	v_pk_mul_f16 v62, v47, v231 op_sel_hi:[0,1]
	;; [unrolled: 1-line block ×3, first 2 shown]
	v_mfma_f32_16x16x16f16 v[48:51], v[10:11], v[8:9], v[48:51]
	s_nop 2
	v_cvt_f16_f32_e32 v1, v2
	v_cvt_f16_f32_e32 v2, v3
	v_pk_mul_f16 v66, v47, v233 op_sel_hi:[0,1]
	v_pk_mul_f16 v68, v47, v236 op_sel_hi:[0,1]
	;; [unrolled: 1-line block ×5, first 2 shown]
	s_nop 0
	v_cvt_f16_f32_e32 v3, v48
	v_cvt_f16_f32_e32 v10, v49
	;; [unrolled: 1-line block ×4, first 2 shown]
	v_pk_mul_f16 v15, v47, v240 op_sel_hi:[0,1]
	v_pk_mul_f16 v13, v47, v239 op_sel_hi:[0,1]
	ds_read_u16 v222, v88 offset:160
	ds_read_u16 v223, v88 offset:192
	;; [unrolled: 1-line block ×3, first 2 shown]
	v_pk_mul_f16 v74, v47, v74 op_sel_hi:[0,1]
	v_pk_mul_f16 v39, v47, v75 op_sel_hi:[0,1]
	v_cvt_f32_f16_e32 v48, v3
	v_cvt_f32_f16_e32 v49, v10
	;; [unrolled: 1-line block ×3, first 2 shown]
	ds_read_u16 v3, v89 offset:8704
	ds_read_u16 v10, v90 offset:272
	;; [unrolled: 1-line block ×8, first 2 shown]
	s_waitcnt lgkmcnt(6)
	v_perm_b32 v10, v10, v3, s53
	v_cvt_f32_f16_e32 v51, v12
	v_cvt_f16_f32_e32 v3, v4
	v_cvt_f16_f32_e32 v12, v5
	s_waitcnt lgkmcnt(2)
	v_perm_b32 v5, v41, v47, s53
	v_perm_b32 v4, v16, v55, s53
	v_cvt_f32_f16_e32 v52, v60
	v_cvt_f32_f16_sdwa v53, v60 dst_sel:DWORD dst_unused:UNUSED_PAD src0_sel:WORD_1
	v_cvt_f32_f16_e32 v54, v62
	v_cvt_f32_f16_sdwa v55, v62 dst_sel:DWORD dst_unused:UNUSED_PAD src0_sel:WORD_1
	v_perm_b32 v11, v14, v11, s53
	v_pack_b32_f16 v2, v1, v2
	v_mfma_f32_16x16x16f16 v[52:55], v[4:5], v[8:9], v[52:55]
	v_pack_b32_f16 v1, v3, v12
	ds_bpermute_b32 v7, v7, v17
	s_cselect_b64 s[8:9], -1, 0
	s_xor_b64 s[10:11], s[0:1], -1
	s_or_b64 s[8:9], s[10:11], s[8:9]
	s_waitcnt lgkmcnt(0)
	v_add_f32_e32 v7, v17, v7
	v_mfma_f32_16x16x16f16 v[48:51], v[10:11], v[56:57], v[48:51]
	s_nop 2
	v_cvt_f16_f32_e32 v4, v52
	v_cvt_f16_f32_e32 v5, v53
	;; [unrolled: 1-line block ×4, first 2 shown]
	v_cvt_f32_f16_e32 v52, v4
	v_cvt_f32_f16_e32 v53, v5
	;; [unrolled: 1-line block ×3, first 2 shown]
	ds_read_u16 v4, v197 offset:544
	ds_read_u16 v5, v94 offset:8704
	;; [unrolled: 1-line block ×8, first 2 shown]
	s_waitcnt lgkmcnt(6)
	v_perm_b32 v11, v5, v4, s53
	v_perm_b32 v10, v75, v59, s53
	v_cvt_f32_f16_e32 v55, v14
	v_cvt_f16_f32_e32 v3, v48
	v_cvt_f16_f32_e32 v12, v49
	;; [unrolled: 1-line block ×4, first 2 shown]
	v_mfma_f32_16x16x16f16 v[48:51], v[10:11], v[56:57], v[52:55]
	s_waitcnt lgkmcnt(4)
	v_perm_b32 v11, v43, v41, s53
	v_perm_b32 v10, v16, v58, s53
	v_pack_b32_f16 v4, v3, v12
	v_pack_b32_f16 v3, v5, v14
	s_nop 1
	v_cvt_f32_f16_e32 v52, v64
	v_cvt_f32_f16_sdwa v53, v64 dst_sel:DWORD dst_unused:UNUSED_PAD src0_sel:WORD_1
	v_cvt_f32_f16_e32 v54, v66
	v_cvt_f32_f16_sdwa v55, v66 dst_sel:DWORD dst_unused:UNUSED_PAD src0_sel:WORD_1
	v_cvt_f16_f32_e32 v5, v48
	v_cvt_f16_f32_e32 v12, v49
	v_mfma_f32_16x16x16f16 v[52:55], v[10:11], v[8:9], v[52:55]
	s_waitcnt lgkmcnt(0)
	v_perm_b32 v49, v225, v62, s53
	v_perm_b32 v48, v60, v47, s53
	s_nop 7
	v_cvt_f16_f32_e32 v10, v52
	v_cvt_f16_f32_e32 v11, v53
	;; [unrolled: 1-line block ×4, first 2 shown]
	v_cvt_f32_f16_e32 v52, v10
	v_cvt_f32_f16_e32 v53, v11
	v_cvt_f32_f16_e32 v54, v14
	v_cvt_f32_f16_e32 v55, v16
	v_pack_b32_f16 v10, v5, v12
	ds_read_u16 v5, v200 offset:272
	ds_read_u16 v12, v200 offset:544
	;; [unrolled: 1-line block ×8, first 2 shown]
	s_waitcnt lgkmcnt(6)
	v_perm_b32 v59, v45, v12, s53
	v_perm_b32 v58, v5, v77, s53
	v_cvt_f16_f32_e32 v11, v50
	v_cvt_f16_f32_e32 v14, v51
	v_mfma_f32_16x16x16f16 v[48:51], v[48:49], v[56:57], v[52:55]
	v_pack_b32_f16 v5, v11, v14
	s_nop 5
	v_cvt_f32_f16_e32 v52, v68
	v_cvt_f32_f16_sdwa v53, v68 dst_sel:DWORD dst_unused:UNUSED_PAD src0_sel:WORD_1
	v_cvt_f32_f16_e32 v54, v70
	v_cvt_f32_f16_sdwa v55, v70 dst_sel:DWORD dst_unused:UNUSED_PAD src0_sel:WORD_1
	v_cvt_f16_f32_e32 v11, v48
	v_cvt_f16_f32_e32 v12, v49
	v_mfma_f32_16x16x16f16 v[52:55], v[58:59], v[8:9], v[52:55]
	s_waitcnt lgkmcnt(2)
	v_perm_b32 v49, v47, v43, s53
	s_waitcnt lgkmcnt(0)
	v_perm_b32 v59, v222, v62, s53
	v_perm_b32 v58, v60, v219, s53
	v_pack_b32_f16 v12, v11, v12
	s_nop 4
	v_cvt_f16_f32_e32 v48, v54
	v_cvt_f16_f32_e32 v14, v52
	;; [unrolled: 1-line block ×4, first 2 shown]
	v_cvt_f32_f16_e32 v54, v48
	v_perm_b32 v48, v41, v16, s53
	v_cvt_f32_f16_e32 v52, v14
	v_cvt_f32_f16_e32 v53, v45
	;; [unrolled: 1-line block ×3, first 2 shown]
	v_cvt_f16_f32_e32 v14, v50
	v_cvt_f16_f32_e32 v16, v51
	v_mfma_f32_16x16x16f16 v[48:51], v[48:49], v[56:57], v[52:55]
	v_pack_b32_f16 v11, v14, v16
	s_nop 5
	v_cvt_f32_f16_e32 v52, v72
	v_cvt_f32_f16_sdwa v53, v72 dst_sel:DWORD dst_unused:UNUSED_PAD src0_sel:WORD_1
	v_cvt_f32_f16_e32 v54, v76
	v_cvt_f32_f16_sdwa v55, v76 dst_sel:DWORD dst_unused:UNUSED_PAD src0_sel:WORD_1
	v_cvt_f16_f32_e32 v14, v48
	v_cvt_f16_f32_e32 v16, v49
	v_mfma_f32_16x16x16f16 v[52:55], v[58:59], v[8:9], v[52:55]
	v_pack_b32_f16 v14, v14, v16
	s_nop 7
	s_nop 1
	v_cvt_f16_f32_e32 v41, v52
	v_cvt_f16_f32_e32 v43, v53
	;; [unrolled: 1-line block ×4, first 2 shown]
	v_cvt_f32_f16_e32 v52, v41
	v_cvt_f32_f16_e32 v53, v43
	;; [unrolled: 1-line block ×3, first 2 shown]
	ds_read_u16 v41, v101 offset:8704
	ds_read_u16 v43, v102 offset:272
	;; [unrolled: 1-line block ×8, first 2 shown]
	s_waitcnt lgkmcnt(4)
	v_perm_b32 v49, v48, v45, s53
	v_perm_b32 v48, v43, v41, s53
	v_cvt_f32_f16_e32 v55, v47
	s_waitcnt lgkmcnt(2)
	v_perm_b32 v59, v223, v59, s53
	v_perm_b32 v58, v58, v220, s53
	v_cvt_f16_f32_e32 v41, v50
	v_cvt_f16_f32_e32 v43, v51
	v_mfma_f32_16x16x16f16 v[48:51], v[48:49], v[56:57], v[52:55]
	s_nop 6
	v_cvt_f32_f16_e32 v52, v15
	v_cvt_f32_f16_sdwa v53, v15 dst_sel:DWORD dst_unused:UNUSED_PAD src0_sel:WORD_1
	v_cvt_f32_f16_e32 v54, v13
	v_cvt_f32_f16_sdwa v55, v13 dst_sel:DWORD dst_unused:UNUSED_PAD src0_sel:WORD_1
	v_pack_b32_f16 v13, v41, v43
	v_cvt_f16_f32_e32 v15, v48
	v_mfma_f32_16x16x16f16 v[52:55], v[58:59], v[8:9], v[52:55]
	v_cvt_f16_f32_e32 v16, v49
	s_waitcnt lgkmcnt(0)
	v_perm_b32 v48, v62, v60, s53
	v_pack_b32_f16 v16, v15, v16
	s_nop 6
	v_cvt_f16_f32_e32 v41, v52
	v_cvt_f16_f32_e32 v43, v53
	;; [unrolled: 1-line block ×4, first 2 shown]
	v_cvt_f32_f16_e32 v52, v41
	v_cvt_f32_f16_e32 v53, v43
	v_cvt_f32_f16_e32 v54, v45
	ds_read_u16 v41, v205 offset:544
	ds_read_u16 v43, v106 offset:8704
	;; [unrolled: 1-line block ×8, first 2 shown]
	s_waitcnt lgkmcnt(6)
	v_perm_b32 v49, v43, v41, s53
	v_cvt_f32_f16_e32 v55, v47
	s_waitcnt lgkmcnt(4)
	v_perm_b32 v59, v224, v58, s53
	v_perm_b32 v58, v45, v221, s53
	v_cvt_f16_f32_e32 v41, v50
	v_cvt_f16_f32_e32 v43, v51
	v_mfma_f32_16x16x16f16 v[48:51], v[48:49], v[56:57], v[52:55]
	s_waitcnt lgkmcnt(0)
	s_barrier
	v_pack_b32_f16 v15, v41, v43
	s_nop 3
	v_cvt_f32_f16_e32 v52, v74
	v_cvt_f32_f16_sdwa v53, v74 dst_sel:DWORD dst_unused:UNUSED_PAD src0_sel:WORD_1
	v_cvt_f32_f16_e32 v54, v39
	v_cvt_f32_f16_sdwa v55, v39 dst_sel:DWORD dst_unused:UNUSED_PAD src0_sel:WORD_1
	v_cvt_f16_f32_e32 v39, v48
	v_cvt_f16_f32_e32 v41, v49
	v_mfma_f32_16x16x16f16 v[52:55], v[58:59], v[8:9], v[52:55]
	v_perm_b32 v49, v70, v68, s53
	v_perm_b32 v48, v66, v64, s53
	s_nop 7
	s_nop 0
	v_cvt_f16_f32_e32 v8, v52
	v_cvt_f16_f32_e32 v9, v53
	;; [unrolled: 1-line block ×4, first 2 shown]
	v_cvt_f32_f16_e32 v52, v8
	v_cvt_f32_f16_e32 v53, v9
	v_cvt_f32_f16_e32 v54, v43
	v_cvt_f32_f16_e32 v55, v45
	v_cvt_f16_f32_e32 v9, v50
	v_cvt_f16_f32_e32 v43, v51
	v_mfma_f32_16x16x16f16 v[48:51], v[48:49], v[56:57], v[52:55]
	v_pack_b32_f16 v8, v39, v41
	v_pack_b32_f16 v9, v9, v43
	s_nop 7
	s_nop 0
	v_cvt_f16_f32_e32 v39, v48
	v_cvt_f16_f32_e32 v41, v49
	;; [unrolled: 1-line block ×4, first 2 shown]
	v_pack_b32_f16 v48, v39, v41
	ds_bpermute_b32 v39, v19, v7
	v_pack_b32_f16 v17, v43, v45
	s_waitcnt lgkmcnt(0)
	v_add_f32_e32 v7, v7, v39
	s_and_saveexec_b64 s[10:11], s[8:9]
	s_xor_b64 s[8:9], exec, s[10:11]
	s_andn2_saveexec_b64 s[8:9], s[8:9]
	s_cbranch_execz .LBB24_185
; %bb.184:                              ;   in Loop: Header=BB24_12 Depth=1
	v_lshlrev_b32_e32 v39, 2, v42
	global_load_dword v39, v39, s[70:71]
	v_max_f32_e32 v41, v6, v6
	s_waitcnt vmcnt(0)
	v_max_f32_e32 v43, v39, v39
	v_max_f32_e32 v50, v41, v43
	v_sub_f32_e32 v6, v6, v50
	v_sub_f32_e32 v39, v39, v50
	v_mul_f32_e32 v41, 0x3fb8aa3b, v6
	v_mul_f32_e32 v43, 0x3fb8aa3b, v39
	v_fma_f32 v45, v6, s43, -v41
	v_rndne_f32_e32 v47, v41
	v_fma_f32 v49, v39, s43, -v43
	v_rndne_f32_e32 v51, v43
	v_fmac_f32_e32 v45, 0x32a5705f, v6
	v_sub_f32_e32 v41, v41, v47
	v_fmac_f32_e32 v49, 0x32a5705f, v39
	v_sub_f32_e32 v43, v43, v51
	v_add_f32_e32 v41, v41, v45
	v_cvt_i32_f32_e32 v47, v47
	v_add_f32_e32 v43, v43, v49
	v_exp_f32_e32 v41, v41
	v_cvt_i32_f32_e32 v51, v51
	v_exp_f32_e32 v43, v43
	v_cmp_ngt_f32_e32 vcc, s65, v6
	v_ldexp_f32 v41, v41, v47
	v_cndmask_b32_e32 v41, 0, v41, vcc
	v_ldexp_f32 v43, v43, v51
	v_cmp_ngt_f32_e32 vcc, s65, v39
	v_cndmask_b32_e32 v43, 0, v43, vcc
	v_cmp_nlt_f32_e32 vcc, s95, v6
	v_cndmask_b32_e32 v41, v218, v41, vcc
	v_cmp_le_f32_e32 vcc, s54, v6
	v_cndmask_b32_e32 v6, 0, v41, vcc
	v_cvt_f16_f32_e32 v41, v6
	v_cmp_nlt_f32_e32 vcc, s95, v39
	v_cndmask_b32_e32 v51, v218, v43, vcc
	v_fmac_f32_e32 v51, v7, v6
	v_pk_mul_f16 v2, v41, v2 op_sel_hi:[0,1]
	v_pk_mul_f16 v1, v41, v1 op_sel_hi:[0,1]
	;; [unrolled: 1-line block ×16, first 2 shown]
	v_pk_mov_b32 v[6:7], v[50:51], v[50:51] op_sel:[0,1]
.LBB24_185:                             ;   in Loop: Header=BB24_12 Depth=1
	s_or_b64 exec, exec, s[8:9]
	s_and_saveexec_b64 s[8:9], s[4:5]
	s_cbranch_execz .LBB24_187
; %bb.186:                              ;   in Loop: Header=BB24_12 Depth=1
	v_add_u32_e32 v39, 0, v118
	ds_write2_b32 v39, v6, v7 offset0:64 offset1:65
.LBB24_187:                             ;   in Loop: Header=BB24_12 Depth=1
	s_or_b64 exec, exec, s[8:9]
	s_waitcnt lgkmcnt(0)
	s_barrier
	s_and_saveexec_b64 s[8:9], s[2:3]
	s_xor_b64 s[8:9], exec, s[8:9]
	s_cbranch_execz .LBB24_189
; %bb.188:                              ;   in Loop: Header=BB24_12 Depth=1
	s_barrier
	s_waitcnt lgkmcnt(0)
                                        ; implicit-def: $vgpr19
.LBB24_189:                             ;   in Loop: Header=BB24_12 Depth=1
	s_andn2_saveexec_b64 s[8:9], s[8:9]
	s_cbranch_execz .LBB24_193
; %bb.190:                              ;   in Loop: Header=BB24_12 Depth=1
	v_add_u32_e32 v39, 0, v119
	ds_read_b64 v[6:7], v39 offset:256
	s_waitcnt lgkmcnt(0)
	s_barrier
	ds_bpermute_b32 v41, v19, v6
	v_max_f32_e32 v43, v6, v6
	s_waitcnt lgkmcnt(0)
	v_max_f32_e32 v41, v41, v41
	v_max_f32_e32 v41, v43, v41
	v_sub_f32_e32 v6, v6, v41
	v_mul_f32_e32 v41, 0x3fb8aa3b, v6
	v_fma_f32 v43, v6, s43, -v41
	v_rndne_f32_e32 v45, v41
	v_fmac_f32_e32 v43, 0x32a5705f, v6
	v_sub_f32_e32 v41, v41, v45
	v_add_f32_e32 v41, v41, v43
	v_cvt_i32_f32_e32 v45, v45
	v_exp_f32_e32 v41, v41
	v_cmp_ngt_f32_e32 vcc, s65, v6
	v_ldexp_f32 v41, v41, v45
	v_cndmask_b32_e32 v41, 0, v41, vcc
	v_cmp_nlt_f32_e32 vcc, s95, v6
	v_cndmask_b32_e32 v6, v218, v41, vcc
	v_mul_f32_e32 v7, v7, v6
	ds_bpermute_b32 v19, v19, v7
	s_mov_b64 s[70:71], exec
	v_readlane_b32 s10, v255, 14
	v_readlane_b32 s11, v255, 15
	s_and_b64 s[10:11], s[70:71], s[10:11]
	s_mov_b64 exec, s[10:11]
	s_cbranch_execz .LBB24_192
; %bb.191:                              ;   in Loop: Header=BB24_12 Depth=1
	s_waitcnt lgkmcnt(0)
	v_add_f32_e32 v7, v7, v19
	ds_write_b64 v39, v[6:7] offset:256
.LBB24_192:                             ;   in Loop: Header=BB24_12 Depth=1
	s_or_b64 exec, exec, s[70:71]
.LBB24_193:                             ;   in Loop: Header=BB24_12 Depth=1
	s_or_b64 exec, exec, s[8:9]
	ds_write2_b32 v120, v2, v1 offset1:1
	ds_write2_b32 v120, v4, v3 offset0:8 offset1:9
	ds_write2_b32 v120, v10, v5 offset0:16 offset1:17
	;; [unrolled: 1-line block ×7, first 2 shown]
	s_waitcnt lgkmcnt(0)
	s_barrier
	s_and_saveexec_b64 s[70:71], s[0:1]
	s_cbranch_execz .LBB24_10
; %bb.194:                              ;   in Loop: Header=BB24_12 Depth=1
	v_add_u32_e32 v2, s76, v215
	v_or_b32_e32 v1, s64, v44
	v_cmp_gt_i32_e32 vcc, s28, v2
	v_cmp_gt_i32_e64 s[8:9], s78, v1
	s_and_b64 s[10:11], vcc, s[8:9]
	v_mov_b32_e32 v1, 0x47
	s_and_saveexec_b64 s[72:73], s[10:11]
	s_cbranch_execz .LBB24_196
; %bb.195:                              ;   in Loop: Header=BB24_12 Depth=1
	v_add_u32_e32 v1, 0, v121
	ds_read2st64_b32 v[4:5], v122 offset1:17
	ds_read2_b32 v[6:7], v1 offset0:64 offset1:65
	ds_read_b32 v8, v1 offset:4608
	v_mad_u64_u32 v[2:3], s[10:11], v2, s29, v[44:45]
	s_waitcnt lgkmcnt(2)
	v_cvt_f32_f16_sdwa v11, v4 dst_sel:DWORD dst_unused:UNUSED_PAD src0_sel:WORD_1
	v_cvt_f32_f16_e32 v10, v4
	v_cvt_f32_f16_sdwa v13, v5 dst_sel:DWORD dst_unused:UNUSED_PAD src0_sel:WORD_1
	v_cvt_f32_f16_e32 v12, v5
	v_lshl_add_u32 v2, v2, 6, v18
	s_waitcnt lgkmcnt(1)
	v_pk_fma_f32 v[4:5], v[6:7], v[10:11], 0 op_sel_hi:[0,1,0]
	v_ashrrev_i32_e32 v3, 31, v2
	s_waitcnt lgkmcnt(0)
	v_pk_fma_f32 v[4:5], v[8:9], v[12:13], v[4:5] op_sel_hi:[0,1,1]
	v_div_scale_f32 v6, s[10:11], v7, v7, v5
	v_rcp_f32_e32 v8, v6
	v_lshlrev_b64 v[2:3], 3, v[2:3]
	v_mov_b32_e32 v1, s87
	v_add_co_u32_e32 v2, vcc, s6, v2
	v_addc_co_u32_e32 v3, vcc, v1, v3, vcc
	v_fma_f32 v1, -v6, v8, 1.0
	v_fmac_f32_e32 v8, v1, v8
	v_div_scale_f32 v1, vcc, v5, v7, v5
	v_mul_f32_e32 v9, v1, v8
	v_fma_f32 v10, -v6, v9, v1
	v_fmac_f32_e32 v9, v10, v8
	v_fma_f32 v1, -v6, v9, v1
	v_div_scale_f32 v6, s[10:11], v7, v7, v4
	v_rcp_f32_e32 v10, v6
	v_div_fmas_f32 v1, v1, v8, v9
	v_div_fixup_f32 v5, v1, v7, v5
	v_fma_f32 v1, -v6, v10, 1.0
	v_fmac_f32_e32 v10, v1, v10
	v_div_scale_f32 v1, vcc, v4, v7, v4
	v_mul_f32_e32 v8, v1, v10
	v_fma_f32 v9, -v6, v8, v1
	v_fmac_f32_e32 v8, v9, v10
	v_fma_f32 v1, -v6, v8, v1
	v_div_fmas_f32 v1, v1, v10, v8
	v_div_fixup_f32 v4, v1, v7, v4
	v_mov_b32_e32 v1, 0
	global_store_dwordx2 v[2:3], v[4:5], off
.LBB24_196:                             ;   in Loop: Header=BB24_12 Depth=1
	s_or_b64 exec, exec, s[72:73]
	s_movk_i32 s7, 0x47
	v_cmp_gt_i32_e32 vcc, s7, v1
	s_mov_b64 s[72:73], -1
	s_and_saveexec_b64 s[74:75], vcc
; %bb.197:                              ;   in Loop: Header=BB24_12 Depth=1
	v_cmp_eq_u32_e32 vcc, 0, v1
	s_orn2_b64 s[72:73], vcc, exec
; %bb.198:                              ;   in Loop: Header=BB24_12 Depth=1
	s_or_b64 exec, exec, s[74:75]
	s_and_b64 exec, exec, s[72:73]
	s_cbranch_execz .LBB24_10
; %bb.199:                              ;   in Loop: Header=BB24_12 Depth=1
	v_add_u32_e32 v2, s76, v123
	v_cmp_gt_i32_e32 vcc, s28, v2
	s_and_b64 s[10:11], vcc, s[8:9]
	v_mov_b32_e32 v1, 0x47
	s_and_saveexec_b64 s[72:73], s[10:11]
	s_cbranch_execz .LBB24_201
; %bb.200:                              ;   in Loop: Header=BB24_12 Depth=1
	v_add_u32_e32 v1, 0, v124
	ds_read2st64_b32 v[4:5], v125 offset1:17
	ds_read2_b32 v[6:7], v1 offset0:64 offset1:65
	ds_read_b32 v8, v1 offset:4608
	v_mad_u64_u32 v[2:3], s[10:11], v2, s29, v[44:45]
	s_waitcnt lgkmcnt(2)
	v_cvt_f32_f16_sdwa v11, v4 dst_sel:DWORD dst_unused:UNUSED_PAD src0_sel:WORD_1
	v_cvt_f32_f16_e32 v10, v4
	v_cvt_f32_f16_sdwa v13, v5 dst_sel:DWORD dst_unused:UNUSED_PAD src0_sel:WORD_1
	v_cvt_f32_f16_e32 v12, v5
	v_lshl_add_u32 v2, v2, 6, v18
	s_waitcnt lgkmcnt(1)
	v_pk_fma_f32 v[4:5], v[6:7], v[10:11], 0 op_sel_hi:[0,1,0]
	v_ashrrev_i32_e32 v3, 31, v2
	s_waitcnt lgkmcnt(0)
	v_pk_fma_f32 v[4:5], v[8:9], v[12:13], v[4:5] op_sel_hi:[0,1,1]
	v_div_scale_f32 v6, s[10:11], v7, v7, v5
	v_rcp_f32_e32 v8, v6
	v_lshlrev_b64 v[2:3], 3, v[2:3]
	v_mov_b32_e32 v1, s87
	v_add_co_u32_e32 v2, vcc, s6, v2
	v_addc_co_u32_e32 v3, vcc, v1, v3, vcc
	v_fma_f32 v1, -v6, v8, 1.0
	v_fmac_f32_e32 v8, v1, v8
	v_div_scale_f32 v1, vcc, v5, v7, v5
	v_mul_f32_e32 v9, v1, v8
	v_fma_f32 v10, -v6, v9, v1
	v_fmac_f32_e32 v9, v10, v8
	v_fma_f32 v1, -v6, v9, v1
	v_div_scale_f32 v6, s[10:11], v7, v7, v4
	v_rcp_f32_e32 v10, v6
	v_div_fmas_f32 v1, v1, v8, v9
	v_div_fixup_f32 v5, v1, v7, v5
	v_fma_f32 v1, -v6, v10, 1.0
	v_fmac_f32_e32 v10, v1, v10
	v_div_scale_f32 v1, vcc, v4, v7, v4
	v_mul_f32_e32 v8, v1, v10
	v_fma_f32 v9, -v6, v8, v1
	v_fmac_f32_e32 v8, v9, v10
	v_fma_f32 v1, -v6, v8, v1
	v_div_fmas_f32 v1, v1, v10, v8
	v_div_fixup_f32 v4, v1, v7, v4
	v_mov_b32_e32 v1, 0
	global_store_dwordx2 v[2:3], v[4:5], off
.LBB24_201:                             ;   in Loop: Header=BB24_12 Depth=1
	s_or_b64 exec, exec, s[72:73]
	v_cmp_gt_i32_e32 vcc, s7, v1
	s_mov_b64 s[72:73], -1
	s_and_saveexec_b64 s[74:75], vcc
; %bb.202:                              ;   in Loop: Header=BB24_12 Depth=1
	v_cmp_eq_u32_e32 vcc, 0, v1
	s_orn2_b64 s[72:73], vcc, exec
; %bb.203:                              ;   in Loop: Header=BB24_12 Depth=1
	s_or_b64 exec, exec, s[74:75]
	s_and_b64 exec, exec, s[72:73]
	s_cbranch_execz .LBB24_10
; %bb.204:                              ;   in Loop: Header=BB24_12 Depth=1
	v_add_u32_e32 v2, s76, v126
	v_cmp_gt_i32_e32 vcc, s28, v2
	s_and_b64 s[10:11], vcc, s[8:9]
	v_mov_b32_e32 v1, 0x47
	s_and_saveexec_b64 s[72:73], s[10:11]
	s_cbranch_execz .LBB24_206
; %bb.205:                              ;   in Loop: Header=BB24_12 Depth=1
	v_add_u32_e32 v1, 0, v127
	ds_read2st64_b32 v[4:5], v128 offset1:17
	ds_read2_b32 v[6:7], v1 offset0:64 offset1:65
	ds_read_b32 v8, v1 offset:4608
	v_mad_u64_u32 v[2:3], s[10:11], v2, s29, v[44:45]
	s_waitcnt lgkmcnt(2)
	v_cvt_f32_f16_sdwa v11, v4 dst_sel:DWORD dst_unused:UNUSED_PAD src0_sel:WORD_1
	v_cvt_f32_f16_e32 v10, v4
	v_cvt_f32_f16_sdwa v13, v5 dst_sel:DWORD dst_unused:UNUSED_PAD src0_sel:WORD_1
	v_cvt_f32_f16_e32 v12, v5
	v_lshl_add_u32 v2, v2, 6, v18
	s_waitcnt lgkmcnt(1)
	v_pk_fma_f32 v[4:5], v[6:7], v[10:11], 0 op_sel_hi:[0,1,0]
	v_ashrrev_i32_e32 v3, 31, v2
	s_waitcnt lgkmcnt(0)
	v_pk_fma_f32 v[4:5], v[8:9], v[12:13], v[4:5] op_sel_hi:[0,1,1]
	v_div_scale_f32 v6, s[10:11], v7, v7, v5
	v_rcp_f32_e32 v8, v6
	v_lshlrev_b64 v[2:3], 3, v[2:3]
	v_mov_b32_e32 v1, s87
	v_add_co_u32_e32 v2, vcc, s6, v2
	v_addc_co_u32_e32 v3, vcc, v1, v3, vcc
	v_fma_f32 v1, -v6, v8, 1.0
	v_fmac_f32_e32 v8, v1, v8
	v_div_scale_f32 v1, vcc, v5, v7, v5
	v_mul_f32_e32 v9, v1, v8
	v_fma_f32 v10, -v6, v9, v1
	v_fmac_f32_e32 v9, v10, v8
	v_fma_f32 v1, -v6, v9, v1
	v_div_scale_f32 v6, s[10:11], v7, v7, v4
	v_rcp_f32_e32 v10, v6
	v_div_fmas_f32 v1, v1, v8, v9
	v_div_fixup_f32 v5, v1, v7, v5
	v_fma_f32 v1, -v6, v10, 1.0
	v_fmac_f32_e32 v10, v1, v10
	v_div_scale_f32 v1, vcc, v4, v7, v4
	v_mul_f32_e32 v8, v1, v10
	v_fma_f32 v9, -v6, v8, v1
	v_fmac_f32_e32 v8, v9, v10
	v_fma_f32 v1, -v6, v8, v1
	v_div_fmas_f32 v1, v1, v10, v8
	v_div_fixup_f32 v4, v1, v7, v4
	v_mov_b32_e32 v1, 0
	global_store_dwordx2 v[2:3], v[4:5], off
.LBB24_206:                             ;   in Loop: Header=BB24_12 Depth=1
	s_or_b64 exec, exec, s[72:73]
	;; [unrolled: 64-line block ×14, first 2 shown]
	v_cmp_gt_i32_e32 vcc, s7, v1
	s_mov_b64 s[72:73], -1
	s_and_saveexec_b64 s[74:75], vcc
; %bb.267:                              ;   in Loop: Header=BB24_12 Depth=1
	v_cmp_eq_u32_e32 vcc, 0, v1
	s_orn2_b64 s[72:73], vcc, exec
; %bb.268:                              ;   in Loop: Header=BB24_12 Depth=1
	s_or_b64 exec, exec, s[74:75]
	s_and_b64 exec, exec, s[72:73]
	s_cbranch_execz .LBB24_10
; %bb.269:                              ;   in Loop: Header=BB24_12 Depth=1
	v_add_u32_e32 v1, s76, v165
	v_cmp_gt_i32_e32 vcc, s28, v1
	s_and_b64 s[8:9], vcc, s[8:9]
	s_and_b64 exec, exec, s[8:9]
	s_cbranch_execz .LBB24_10
; %bb.270:                              ;   in Loop: Header=BB24_12 Depth=1
	v_add_u32_e32 v8, 0, v166
	ds_read2st64_b32 v[4:5], v167 offset1:17
	ds_read2_b32 v[6:7], v8 offset0:64 offset1:65
	ds_read_b32 v8, v8 offset:4608
	v_mad_u64_u32 v[2:3], s[8:9], v1, s29, v[44:45]
	s_waitcnt lgkmcnt(2)
	v_cvt_f32_f16_sdwa v11, v4 dst_sel:DWORD dst_unused:UNUSED_PAD src0_sel:WORD_1
	v_cvt_f32_f16_e32 v10, v4
	v_cvt_f32_f16_sdwa v13, v5 dst_sel:DWORD dst_unused:UNUSED_PAD src0_sel:WORD_1
	v_cvt_f32_f16_e32 v12, v5
	v_lshl_add_u32 v2, v2, 6, v18
	s_waitcnt lgkmcnt(1)
	v_pk_fma_f32 v[4:5], v[6:7], v[10:11], 0 op_sel_hi:[0,1,0]
	v_ashrrev_i32_e32 v3, 31, v2
	s_waitcnt lgkmcnt(0)
	v_pk_fma_f32 v[4:5], v[8:9], v[12:13], v[4:5] op_sel_hi:[0,1,1]
	v_div_scale_f32 v6, s[8:9], v7, v7, v5
	v_rcp_f32_e32 v8, v6
	v_lshlrev_b64 v[2:3], 3, v[2:3]
	v_mov_b32_e32 v1, s87
	v_add_co_u32_e32 v2, vcc, s6, v2
	v_addc_co_u32_e32 v3, vcc, v1, v3, vcc
	v_fma_f32 v1, -v6, v8, 1.0
	v_fmac_f32_e32 v8, v1, v8
	v_div_scale_f32 v1, vcc, v5, v7, v5
	v_mul_f32_e32 v9, v1, v8
	v_fma_f32 v10, -v6, v9, v1
	v_fmac_f32_e32 v9, v10, v8
	v_fma_f32 v1, -v6, v9, v1
	v_div_scale_f32 v6, s[6:7], v7, v7, v4
	v_rcp_f32_e32 v10, v6
	v_div_fmas_f32 v1, v1, v8, v9
	v_div_fixup_f32 v5, v1, v7, v5
	v_fma_f32 v1, -v6, v10, 1.0
	v_fmac_f32_e32 v10, v1, v10
	v_div_scale_f32 v1, vcc, v4, v7, v4
	v_mul_f32_e32 v8, v1, v10
	v_fma_f32 v9, -v6, v8, v1
	v_fmac_f32_e32 v8, v9, v10
	v_fma_f32 v1, -v6, v8, v1
	v_div_fmas_f32 v1, v1, v10, v8
	v_div_fixup_f32 v4, v1, v7, v4
	global_store_dwordx2 v[2:3], v[4:5], off
	s_branch .LBB24_10
.LBB24_271:
	v_readlane_b32 s49, v255, 11
	v_readlane_b32 s43, v255, 6
	v_readlane_b32 s60, v255, 22
	v_readlane_b32 s10, v255, 12
	v_readlane_b32 s11, v255, 13
	s_andn2_b64 vcc, exec, s[8:9]
	s_cbranch_vccnz .LBB24_8
.LBB24_272:
	v_readlane_b32 s6, v255, 3
	s_abs_i32 s0, s6
	v_cvt_f32_u32_e32 v1, s0
	s_sub_i32 s3, 0, s0
	s_abs_i32 s2, s52
	s_xor_b32 s1, s52, s6
	v_rcp_iflag_f32_e32 v1, v1
	s_ashr_i32 s1, s1, 31
	v_readlane_b32 s8, v255, 2
	v_readlane_b32 s9, v255, 1
	v_mul_f32_e32 v1, 0x4f7ffffe, v1
	v_cvt_u32_f32_e32 v1, v1
	v_mov_b32_e32 v16, s80
	v_readfirstlane_b32 s4, v1
	s_mul_i32 s3, s3, s4
	s_mul_hi_u32 s3, s4, s3
	s_add_i32 s4, s4, s3
	s_mul_hi_u32 s3, s2, s4
	s_mul_i32 s4, s3, s0
	s_sub_i32 s2, s2, s4
	s_add_i32 s5, s3, 1
	s_sub_i32 s4, s2, s0
	s_cmp_ge_u32 s2, s0
	s_cselect_b32 s3, s5, s3
	s_cselect_b32 s2, s4, s2
	s_add_i32 s4, s3, 1
	s_cmp_ge_u32 s2, s0
	s_cselect_b32 s0, s4, s3
	s_abs_i32 s2, s8
	v_cvt_f32_u32_e32 v1, s2
	s_xor_b32 s0, s0, s1
	s_sub_i32 s5, s0, s1
	s_sub_i32 s3, 0, s2
	v_rcp_iflag_f32_e32 v1, v1
	s_mul_i32 s0, s5, s6
	s_sub_i32 s0, s52, s0
	s_abs_i32 s4, s0
	v_mul_f32_e32 v1, 0x4f7ffffe, v1
	v_cvt_u32_f32_e32 v1, v1
	s_xor_b32 s1, s0, s8
	s_ashr_i32 s1, s1, 31
	v_readfirstlane_b32 s6, v1
	s_mul_i32 s3, s3, s6
	s_mul_hi_u32 s3, s6, s3
	s_add_i32 s6, s6, s3
	s_mul_hi_u32 s3, s4, s6
	s_mul_i32 s6, s3, s2
	s_sub_i32 s4, s4, s6
	s_add_i32 s7, s3, 1
	s_sub_i32 s6, s4, s2
	s_cmp_ge_u32 s4, s2
	s_cselect_b32 s3, s7, s3
	s_cselect_b32 s4, s6, s4
	s_add_i32 s6, s3, 1
	s_cmp_ge_u32 s4, s2
	s_cselect_b32 s2, s6, s3
	s_abs_i32 s3, s9
	v_cvt_f32_u32_e32 v1, s3
	s_xor_b32 s2, s2, s1
	s_sub_i32 s4, 0, s3
	s_sub_i32 s6, s2, s1
	v_rcp_iflag_f32_e32 v1, v1
	s_mul_i32 s1, s6, s8
	s_sub_i32 s1, s0, s1
	s_abs_i32 s2, s1
	v_mul_f32_e32 v1, 0x4f7ffffe, v1
	v_cvt_u32_f32_e32 v1, v1
	s_xor_b32 s0, s1, s9
	s_ashr_i32 s0, s0, 31
	v_readfirstlane_b32 s7, v1
	s_mul_i32 s4, s4, s7
	s_mul_hi_u32 s4, s7, s4
	s_add_i32 s7, s7, s4
	s_mul_hi_u32 s4, s2, s7
	s_mul_i32 s7, s4, s3
	s_sub_i32 s2, s2, s7
	s_add_i32 s8, s4, 1
	s_sub_i32 s7, s2, s3
	s_cmp_ge_u32 s2, s3
	s_cselect_b32 s4, s8, s4
	s_cselect_b32 s2, s7, s2
	s_add_i32 s7, s4, 1
	s_cmp_ge_u32 s2, s3
	s_cselect_b32 s2, s7, s4
	s_xor_b32 s2, s2, s0
	s_sub_i32 s0, s2, s0
	s_mul_i32 s2, s0, s9
	s_sub_i32 s1, s1, s2
	s_ashr_i32 s2, s1, 31
	s_abs_i32 s1, s1
	s_mul_hi_u32 s3, s1, s48
	s_mul_i32 s4, s3, s57
	s_sub_i32 s1, s1, s4
	s_xor_b32 s2, s2, s38
	s_add_i32 s4, s3, 1
	s_sub_i32 s7, s1, s57
	s_cmp_ge_u32 s1, s57
	s_cselect_b32 s3, s4, s3
	s_cselect_b32 s1, s7, s1
	s_add_i32 s4, s3, 1
	s_cmp_ge_u32 s1, s57
	s_cselect_b32 s1, s4, s3
	s_abs_i32 s7, s10
	v_cvt_f32_u32_e32 v1, s7
	s_xor_b32 s1, s1, s2
	s_sub_i32 s1, s1, s2
	s_cmp_eq_u64 s[22:23], 0
	v_rcp_iflag_f32_e32 v1, v1
	v_mul_f32_e32 v1, 0x4f7ffffe, v1
	v_cvt_u32_f32_e32 v1, v1
	v_readfirstlane_b32 s10, v1
	s_cbranch_scc1 .LBB24_274
; %bb.273:
	v_readlane_b32 s2, v255, 0
	s_mul_i32 s2, s5, s2
	s_add_i32 s2, s1, s2
	s_ashr_i32 s3, s2, 31
	s_lshl_b64 s[2:3], s[2:3], 2
	s_add_u32 s2, s22, s2
	s_addc_u32 s3, s23, s3
	v_mov_b32_e32 v1, 0
	global_load_dword v1, v1, s[2:3]
	s_waitcnt vmcnt(0)
	v_ashrrev_i32_e32 v2, 31, v1
	v_lshrrev_b32_e32 v2, 26, v2
	v_add_u32_e32 v1, v1, v2
	v_ashrrev_i32_e32 v1, 6, v1
	v_min_i32_e32 v16, s80, v1
.LBB24_274:
	s_mul_i32 s2, s6, s78
	s_lshl_b32 s0, s0, 1
	s_mul_i32 s3, s5, s51
	s_add_i32 s2, s0, s2
	s_ashr_i32 s4, s3, 31
	s_add_u32 s3, s12, s3
	s_mul_i32 s2, s2, s50
	s_addc_u32 s4, s13, s4
	s_ashr_i32 s9, s2, 31
	s_add_u32 s8, s3, s2
	s_addc_u32 s9, s4, s9
	s_lshl_b32 s4, s1, 4
	v_or_b32_e32 v1, s0, v67
	v_and_b32_e32 v58, 0x3ff, v0
	v_add_u32_e32 v0, s4, v61
	v_cmp_gt_i32_e64 s[0:1], s78, v1
	v_cmp_le_i32_e32 vcc, s28, v0
	s_xor_b64 s[0:1], s[0:1], -1
	s_or_b64 s[2:3], vcc, s[0:1]
	s_and_saveexec_b64 s[12:13], s[2:3]
	s_xor_b64 s[2:3], exec, s[12:13]
	s_cbranch_execz .LBB24_276
; %bb.275:
	s_movk_i32 s11, 0x44
	v_mad_u32_u24 v0, v63, s11, v58
	v_lshl_add_u32 v0, v0, 2, 0
	v_mov_b32_e32 v1, 0
	ds_write_b32 v0, v1
                                        ; implicit-def: $vgpr0
.LBB24_276:
	s_andn2_saveexec_b64 s[2:3], s[2:3]
	s_cbranch_execz .LBB24_278
; %bb.277:
	v_mul_lo_u32 v0, v0, s33
	v_mul_lo_u32 v1, v67, s60
	v_add3_u32 v0, v1, v58, v0
	v_ashrrev_i32_e32 v1, 31, v0
	v_lshlrev_b64 v[0:1], 3, v[0:1]
	v_mov_b32_e32 v2, s9
	v_add_co_u32_e32 v0, vcc, s8, v0
	v_addc_co_u32_e32 v1, vcc, v2, v1, vcc
	global_load_dwordx2 v[0:1], v[0:1], off
	s_movk_i32 s11, 0x44
	v_mad_u32_u24 v2, v63, s11, v58
	s_waitcnt vmcnt(0)
	v_cvt_f16_f32_e32 v0, v0
	v_cvt_f16_f32_e32 v1, v1
	v_pack_b32_f16 v0, v0, v1
	v_pk_mul_f16 v0, v69, v0
	v_lshl_add_u32 v1, v2, 2, 0
	ds_write_b32 v1, v0
.LBB24_278:
	s_or_b64 exec, exec, s[2:3]
	v_lshrrev_b32_e32 v0, 1, v82
	v_add_u32_e32 v0, s4, v0
	v_cmp_le_i32_e32 vcc, s28, v0
	s_or_b64 s[2:3], vcc, s[0:1]
	s_and_saveexec_b64 s[12:13], s[2:3]
	s_xor_b64 s[2:3], exec, s[12:13]
	s_cbranch_execz .LBB24_280
; %bb.279:
	s_movk_i32 s11, 0x44
	v_mad_u32_u24 v0, v82, s11, v58
	v_lshl_add_u32 v0, v0, 2, 0
	v_mov_b32_e32 v1, 0
	ds_write_b32 v0, v1
                                        ; implicit-def: $vgpr0
                                        ; implicit-def: $vgpr82
.LBB24_280:
	s_andn2_saveexec_b64 s[2:3], s[2:3]
	s_cbranch_execz .LBB24_282
; %bb.281:
	v_mul_lo_u32 v0, v0, s33
	v_mul_lo_u32 v1, v67, s60
	v_add3_u32 v0, v1, v58, v0
	v_ashrrev_i32_e32 v1, 31, v0
	v_lshlrev_b64 v[0:1], 3, v[0:1]
	v_mov_b32_e32 v2, s9
	v_add_co_u32_e32 v0, vcc, s8, v0
	v_addc_co_u32_e32 v1, vcc, v2, v1, vcc
	global_load_dwordx2 v[0:1], v[0:1], off
	s_movk_i32 s11, 0x44
	v_mad_u32_u24 v2, v82, s11, v58
	s_waitcnt vmcnt(0)
	v_cvt_f16_f32_e32 v0, v0
	v_cvt_f16_f32_e32 v1, v1
	v_pack_b32_f16 v0, v0, v1
	v_pk_mul_f16 v0, v69, v0
	v_lshl_add_u32 v1, v2, 2, 0
	ds_write_b32 v1, v0
.LBB24_282:
	s_or_b64 exec, exec, s[2:3]
	v_lshrrev_b32_e32 v0, 1, v81
	v_add_u32_e32 v0, s4, v0
	v_cmp_le_i32_e32 vcc, s28, v0
	s_or_b64 s[2:3], vcc, s[0:1]
	s_and_saveexec_b64 s[12:13], s[2:3]
	s_xor_b64 s[2:3], exec, s[12:13]
	s_cbranch_execz .LBB24_284
; %bb.283:
	s_movk_i32 s11, 0x44
	v_mad_u32_u24 v0, v81, s11, v58
	v_lshl_add_u32 v0, v0, 2, 0
	v_mov_b32_e32 v1, 0
	ds_write_b32 v0, v1
                                        ; implicit-def: $vgpr0
                                        ; implicit-def: $vgpr81
.LBB24_284:
	s_andn2_saveexec_b64 s[2:3], s[2:3]
	s_cbranch_execz .LBB24_286
; %bb.285:
	v_mul_lo_u32 v0, v0, s33
	v_mul_lo_u32 v1, v67, s60
	v_add3_u32 v0, v1, v58, v0
	v_ashrrev_i32_e32 v1, 31, v0
	v_lshlrev_b64 v[0:1], 3, v[0:1]
	v_mov_b32_e32 v2, s9
	v_add_co_u32_e32 v0, vcc, s8, v0
	v_addc_co_u32_e32 v1, vcc, v2, v1, vcc
	global_load_dwordx2 v[0:1], v[0:1], off
	s_movk_i32 s11, 0x44
	v_mad_u32_u24 v2, v81, s11, v58
	s_waitcnt vmcnt(0)
	v_cvt_f16_f32_e32 v0, v0
	v_cvt_f16_f32_e32 v1, v1
	v_pack_b32_f16 v0, v0, v1
	v_pk_mul_f16 v0, v69, v0
	v_lshl_add_u32 v1, v2, 2, 0
	ds_write_b32 v1, v0
.LBB24_286:
	s_or_b64 exec, exec, s[2:3]
	v_lshrrev_b32_e32 v0, 1, v80
	v_add_u32_e32 v0, s4, v0
	v_cmp_le_i32_e32 vcc, s28, v0
	s_or_b64 s[2:3], vcc, s[0:1]
	s_and_saveexec_b64 s[12:13], s[2:3]
	s_xor_b64 s[2:3], exec, s[12:13]
	s_cbranch_execz .LBB24_288
; %bb.287:
	s_movk_i32 s11, 0x44
	v_mad_u32_u24 v0, v80, s11, v58
	v_lshl_add_u32 v0, v0, 2, 0
	v_mov_b32_e32 v1, 0
	ds_write_b32 v0, v1
                                        ; implicit-def: $vgpr0
                                        ; implicit-def: $vgpr80
.LBB24_288:
	s_andn2_saveexec_b64 s[2:3], s[2:3]
	s_cbranch_execz .LBB24_290
; %bb.289:
	v_mul_lo_u32 v0, v0, s33
	v_mul_lo_u32 v1, v67, s60
	v_add3_u32 v0, v1, v58, v0
	v_ashrrev_i32_e32 v1, 31, v0
	v_lshlrev_b64 v[0:1], 3, v[0:1]
	v_mov_b32_e32 v2, s9
	v_add_co_u32_e32 v0, vcc, s8, v0
	v_addc_co_u32_e32 v1, vcc, v2, v1, vcc
	global_load_dwordx2 v[0:1], v[0:1], off
	s_movk_i32 s11, 0x44
	v_mad_u32_u24 v2, v80, s11, v58
	s_waitcnt vmcnt(0)
	v_cvt_f16_f32_e32 v0, v0
	v_cvt_f16_f32_e32 v1, v1
	v_pack_b32_f16 v0, v0, v1
	v_pk_mul_f16 v0, v69, v0
	v_lshl_add_u32 v1, v2, 2, 0
	ds_write_b32 v1, v0
.LBB24_290:
	s_or_b64 exec, exec, s[2:3]
	v_lshrrev_b32_e32 v0, 1, v79
	v_add_u32_e32 v0, s4, v0
	v_cmp_le_i32_e32 vcc, s28, v0
	s_or_b64 s[2:3], vcc, s[0:1]
	s_and_saveexec_b64 s[12:13], s[2:3]
	s_xor_b64 s[2:3], exec, s[12:13]
	s_cbranch_execz .LBB24_292
; %bb.291:
	s_movk_i32 s11, 0x44
	v_mad_u32_u24 v0, v79, s11, v58
	v_lshl_add_u32 v0, v0, 2, 0
	v_mov_b32_e32 v1, 0
	ds_write_b32 v0, v1
                                        ; implicit-def: $vgpr0
                                        ; implicit-def: $vgpr79
.LBB24_292:
	s_andn2_saveexec_b64 s[2:3], s[2:3]
	s_cbranch_execz .LBB24_294
; %bb.293:
	v_mul_lo_u32 v0, v0, s33
	v_mul_lo_u32 v1, v67, s60
	v_add3_u32 v0, v1, v58, v0
	v_ashrrev_i32_e32 v1, 31, v0
	v_lshlrev_b64 v[0:1], 3, v[0:1]
	v_mov_b32_e32 v2, s9
	v_add_co_u32_e32 v0, vcc, s8, v0
	v_addc_co_u32_e32 v1, vcc, v2, v1, vcc
	global_load_dwordx2 v[0:1], v[0:1], off
	s_movk_i32 s11, 0x44
	v_mad_u32_u24 v2, v79, s11, v58
	s_waitcnt vmcnt(0)
	v_cvt_f16_f32_e32 v0, v0
	v_cvt_f16_f32_e32 v1, v1
	v_pack_b32_f16 v0, v0, v1
	v_pk_mul_f16 v0, v69, v0
	v_lshl_add_u32 v1, v2, 2, 0
	ds_write_b32 v1, v0
.LBB24_294:
	s_or_b64 exec, exec, s[2:3]
	v_lshrrev_b32_e32 v0, 1, v78
	v_add_u32_e32 v0, s4, v0
	v_cmp_le_i32_e32 vcc, s28, v0
	s_sub_i32 s11, 0, s7
	s_or_b64 s[2:3], vcc, s[0:1]
	s_and_saveexec_b64 s[12:13], s[2:3]
	s_xor_b64 s[2:3], exec, s[12:13]
	s_cbranch_execz .LBB24_296
; %bb.295:
	s_movk_i32 s12, 0x44
	v_mad_u32_u24 v0, v78, s12, v58
	v_lshl_add_u32 v0, v0, 2, 0
	v_mov_b32_e32 v1, 0
	ds_write_b32 v0, v1
                                        ; implicit-def: $vgpr0
                                        ; implicit-def: $vgpr78
.LBB24_296:
	s_or_saveexec_b64 s[2:3], s[2:3]
	s_mul_i32 s11, s11, s10
	s_xor_b64 exec, exec, s[2:3]
	s_cbranch_execz .LBB24_298
; %bb.297:
	v_mul_lo_u32 v0, v0, s33
	v_mul_lo_u32 v1, v67, s60
	v_add3_u32 v0, v1, v58, v0
	v_ashrrev_i32_e32 v1, 31, v0
	v_lshlrev_b64 v[0:1], 3, v[0:1]
	v_mov_b32_e32 v2, s9
	v_add_co_u32_e32 v0, vcc, s8, v0
	v_addc_co_u32_e32 v1, vcc, v2, v1, vcc
	global_load_dwordx2 v[0:1], v[0:1], off
	s_movk_i32 s12, 0x44
	v_mad_u32_u24 v2, v78, s12, v58
	s_waitcnt vmcnt(0)
	v_cvt_f16_f32_e32 v0, v0
	v_cvt_f16_f32_e32 v1, v1
	v_pack_b32_f16 v0, v0, v1
	v_pk_mul_f16 v0, v69, v0
	v_lshl_add_u32 v1, v2, 2, 0
	ds_write_b32 v1, v0
.LBB24_298:
	s_or_b64 exec, exec, s[2:3]
	v_lshrrev_b32_e32 v0, 1, v73
	v_add_u32_e32 v0, s4, v0
	v_cmp_le_i32_e32 vcc, s28, v0
	s_mul_hi_u32 s12, s10, s11
	s_or_b64 s[2:3], vcc, s[0:1]
	s_and_saveexec_b64 s[20:21], s[2:3]
	s_xor_b64 s[2:3], exec, s[20:21]
	s_cbranch_execz .LBB24_300
; %bb.299:
	s_movk_i32 s11, 0x44
	v_mad_u32_u24 v0, v73, s11, v58
	v_lshl_add_u32 v0, v0, 2, 0
	v_mov_b32_e32 v1, 0
	ds_write_b32 v0, v1
                                        ; implicit-def: $vgpr0
                                        ; implicit-def: $vgpr73
.LBB24_300:
	s_or_saveexec_b64 s[2:3], s[2:3]
	s_abs_i32 s11, s5
	s_add_i32 s10, s10, s12
	s_xor_b64 exec, exec, s[2:3]
	s_cbranch_execz .LBB24_302
; %bb.301:
	v_mul_lo_u32 v0, v0, s33
	v_mul_lo_u32 v1, v67, s60
	v_add3_u32 v0, v1, v58, v0
	v_ashrrev_i32_e32 v1, 31, v0
	v_lshlrev_b64 v[0:1], 3, v[0:1]
	v_mov_b32_e32 v2, s9
	v_add_co_u32_e32 v0, vcc, s8, v0
	v_addc_co_u32_e32 v1, vcc, v2, v1, vcc
	global_load_dwordx2 v[0:1], v[0:1], off
	s_movk_i32 s12, 0x44
	v_mad_u32_u24 v2, v73, s12, v58
	s_waitcnt vmcnt(0)
	v_cvt_f16_f32_e32 v0, v0
	v_cvt_f16_f32_e32 v1, v1
	v_pack_b32_f16 v0, v0, v1
	v_pk_mul_f16 v0, v69, v0
	v_lshl_add_u32 v1, v2, 2, 0
	ds_write_b32 v1, v0
.LBB24_302:
	s_or_b64 exec, exec, s[2:3]
	v_lshrrev_b32_e32 v0, 1, v71
	v_add_u32_e32 v0, s4, v0
	v_cmp_le_i32_e32 vcc, s28, v0
	s_mul_hi_u32 s2, s11, s10
	s_or_b64 s[0:1], vcc, s[0:1]
	s_and_saveexec_b64 s[12:13], s[0:1]
	s_xor_b64 s[0:1], exec, s[12:13]
	s_cbranch_execz .LBB24_304
; %bb.303:
	s_movk_i32 s3, 0x44
	v_mad_u32_u24 v0, v71, s3, v58
	v_lshl_add_u32 v0, v0, 2, 0
	v_mov_b32_e32 v1, 0
	ds_write_b32 v0, v1
                                        ; implicit-def: $vgpr0
                                        ; implicit-def: $vgpr69
                                        ; implicit-def: $vgpr71
.LBB24_304:
	s_or_saveexec_b64 s[0:1], s[0:1]
	s_ashr_i32 s3, s5, 31
	s_xor_b64 exec, exec, s[0:1]
	s_cbranch_execz .LBB24_306
; %bb.305:
	v_mul_lo_u32 v0, v0, s33
	v_mul_lo_u32 v1, v67, s60
	v_add3_u32 v0, v1, v58, v0
	v_ashrrev_i32_e32 v1, 31, v0
	v_lshlrev_b64 v[0:1], 3, v[0:1]
	v_mov_b32_e32 v2, s9
	v_add_co_u32_e32 v0, vcc, s8, v0
	v_addc_co_u32_e32 v1, vcc, v2, v1, vcc
	global_load_dwordx2 v[0:1], v[0:1], off
	s_movk_i32 s8, 0x44
	v_mad_u32_u24 v2, v71, s8, v58
	s_waitcnt vmcnt(0)
	v_cvt_f16_f32_e32 v0, v0
	v_cvt_f16_f32_e32 v1, v1
	v_pack_b32_f16 v0, v0, v1
	v_pk_mul_f16 v0, v69, v0
	v_lshl_add_u32 v1, v2, 2, 0
	ds_write_b32 v1, v0
.LBB24_306:
	s_or_b64 exec, exec, s[0:1]
	s_mul_i32 s0, s5, s37
	s_mul_hi_u32 s1, s5, s36
	s_add_i32 s0, s1, s0
	s_mul_i32 s1, s3, s36
	v_readlane_b32 s8, v255, 4
	s_add_i32 s0, s0, s1
	s_mul_i32 s1, s5, s36
	v_readlane_b32 s9, v255, 5
	s_add_u32 s1, s14, s1
	s_mul_i32 s8, s6, s9
	s_addc_u32 s0, s15, s0
	s_ashr_i32 s9, s8, 31
	s_add_u32 s29, s1, s8
	s_mul_i32 s2, s2, s7
	s_addc_u32 s31, s0, s9
	s_sub_i32 s0, s11, s2
	s_sub_i32 s1, s0, s7
	s_cmp_ge_u32 s0, s7
	s_cselect_b32 s0, s1, s0
	s_sub_i32 s1, s0, s7
	s_cmp_ge_u32 s0, s7
	s_cselect_b32 s0, s1, s0
	s_xor_b32 s0, s0, s3
	s_sub_i32 s0, s0, s3
	s_ashr_i32 s1, s0, 31
	s_mul_i32 s2, s0, s47
	s_mul_hi_u32 s7, s0, s46
	s_add_i32 s2, s7, s2
	s_mul_i32 s1, s1, s46
	s_add_i32 s2, s2, s1
	s_mul_i32 s0, s0, s46
	s_add_u32 s33, s18, s0
	s_mul_i32 s0, s5, s45
	s_mul_hi_u32 s1, s5, s44
	s_addc_u32 s35, s19, s2
	s_add_i32 s0, s1, s0
	s_mul_i32 s3, s3, s44
	s_add_i32 s0, s0, s3
	s_mul_i32 s5, s5, s44
	s_add_u32 s1, s16, s5
	s_mul_i32 s6, s6, s39
	s_addc_u32 s0, s17, s0
	s_ashr_i32 s2, s6, 31
	s_add_u32 s6, s1, s6
	v_lshrrev_b32_e32 v1, 3, v58
	s_addc_u32 s7, s0, s2
	v_and_b32_e32 v17, 0x1ff0, v65
	s_movk_i32 s0, 0x110
	v_and_b32_e32 v59, 15, v58
	v_and_b32_e32 v60, 0x7e, v1
	v_mad_u32_u24 v0, v17, s0, 0
	v_mul_u32_u24_e32 v86, 0x110, v59
	v_lshlrev_b32_e32 v87, 2, v60
	v_add3_u32 v0, v0, v86, v87
	s_waitcnt lgkmcnt(0)
	s_barrier
	ds_read2_b64 v[12:15], v0 offset1:4
	ds_read2_b64 v[8:11], v0 offset0:8 offset1:12
	ds_read2_b64 v[4:7], v0 offset0:16 offset1:20
	;; [unrolled: 1-line block ×3, first 2 shown]
	v_add_u32_e32 v104, -1, v16
	v_cmp_lt_i32_e32 vcc, s74, v104
	v_lshlrev_b32_e32 v16, 1, v58
	s_mov_b32 s2, 0
	v_and_b32_e32 v18, 62, v16
	v_mov_b32_e32 v39, 0
	s_waitcnt lgkmcnt(0)
	s_barrier
	s_cbranch_vccnz .LBB24_310
; %bb.307:
	v_lshrrev_b32_e32 v16, 5, v58
	v_lshl_add_u32 v16, v63, 1, v16
	v_add_u32_e32 v19, s4, v16
	v_mul_hi_u32 v20, s40, v19
	v_add_u32_e32 v20, v19, v20
	v_lshrrev_b32_e32 v20, s41, v20
	v_mul_lo_u32 v20, v20, s28
	v_sub_u32_e32 v20, v19, v20
	v_add_u32_e32 v19, 8, v19
	v_mad_i64_i32 v[40:41], s[8:9], v20, s42, 0
	v_mul_hi_u32 v20, s40, v19
	v_add_u32_e32 v20, v19, v20
	v_lshrrev_b32_e32 v20, s41, v20
	v_mul_lo_u32 v20, v20, s28
	s_movk_i32 s1, 0x90
	v_sub_u32_e32 v19, v19, v20
	v_mov_b32_e32 v20, 0x480
	v_mul_u32_u24_e32 v88, 0x90, v16
	v_mad_u32_u24 v89, v16, s1, v20
	v_lshrrev_b32_e32 v16, 4, v58
	v_lshl_add_u32 v16, v63, 2, v16
	v_mov_b32_e32 v20, 0x3300
	v_lshlrev_b32_e32 v62, 4, v63
	v_lshrrev_b32_e32 v21, 2, v58
	v_mad_u32_u24 v97, v16, s0, v20
	v_and_b32_e32 v20, 16, v62
	v_and_b32_e32 v22, 0xfc, v21
	v_mul_u32_u24_e32 v102, 0x110, v20
	v_add_u32_e32 v23, v22, v20
	v_add_u16_e32 v20, v22, v20
	v_mad_i64_i32 v[42:43], s[8:9], v19, s42, 0
	v_lshlrev_b32_e32 v19, 2, v58
	v_lshrrev_b16_e32 v98, 1, v20
	v_add_u32_e32 v20, 32, v23
	v_and_b32_e32 v38, 60, v19
	v_mov_b32_e32 v19, 0x1100
	v_lshrrev_b32_e32 v100, 1, v20
	v_add_u32_e32 v20, 34, v23
	v_mad_u32_u24 v93, v16, s0, v19
	v_mov_b32_e32 v19, 0x2200
	v_lshrrev_b32_e32 v101, 1, v20
	v_mbcnt_lo_u32_b32 v20, -1, 0
	v_mul_lo_u32 v44, s34, v16
	s_lshl_b32 s1, s34, 4
	v_mad_u32_u24 v95, v16, s0, v19
	v_mbcnt_hi_u32_b32 v91, -1, v20
	v_mul_lo_u32 v30, s30, v16
	s_lshl_b32 s0, s30, 4
	v_add_u32_e32 v46, s1, v44
	v_and_b32_e32 v20, 64, v91
	v_add_u32_e32 v32, s0, v30
	v_add_u32_e32 v48, s1, v46
	v_and_or_b32 v24, v58, 14, v17
	v_add_u32_e32 v92, 64, v20
	v_add_u32_e32 v34, s0, v32
	v_mul_u32_u24_e32 v20, 0x88, v22
	v_mul_u32_u24_e32 v90, 0x110, v16
	v_add_u32_e32 v50, s1, v48
	v_lshrrev_b32_e32 v24, 1, v24
	v_add_u32_e32 v36, s0, v34
	v_and_b32_e32 v16, 8, v65
	v_or_b32_e32 v80, v20, v59
	v_or_b32_e32 v20, 3, v21
	s_movk_i32 s0, 0x220
	s_ashr_i32 s23, s34, 31
	v_ashrrev_i32_e32 v45, 31, v44
	v_ashrrev_i32_e32 v47, 31, v46
	;; [unrolled: 1-line block ×4, first 2 shown]
	v_mul_u32_u24_e32 v96, 0x90, v24
	v_or_b32_e32 v99, 1, v98
	v_xor_b32_e32 v103, 32, v91
	v_xor_b32_e32 v94, 16, v91
	s_ashr_i32 s21, s30, 31
	v_ashrrev_i32_e32 v31, 31, v30
	v_ashrrev_i32_e32 v33, 31, v32
	;; [unrolled: 1-line block ×4, first 2 shown]
	v_mul_u32_u24_e32 v66, 0x110, v22
	v_add_u32_e32 v82, 0x110, v80
	v_mul_u32_u24_e32 v68, 0x110, v20
	v_mul_u32_u24_e32 v84, 0x220, v16
	v_mad_u32_u24 v69, v16, s0, v19
	s_mov_b64 s[0:1], 0
	s_mov_b32 s3, 0xfeffffff
	s_branch .LBB24_311
.LBB24_308:
                                        ; implicit-def: $sgpr52_sgpr53
	s_load_dwordx2 s[50:51], s[4:5], 0x74
	v_cvt_f32_u32_e32 v2, s43
	s_branch .LBB24_2
.LBB24_309:
                                        ; implicit-def: $sgpr56_sgpr57
	s_load_dwordx2 s[40:41], s[4:5], 0x5c
	s_branch .LBB24_5
.LBB24_310:
	s_mov_b64 s[0:1], -1
                                        ; implicit-def: $sgpr2
                                        ; implicit-def: $sgpr3
                                        ; implicit-def: $vgpr88
                                        ; implicit-def: $vgpr40_vgpr41
                                        ; implicit-def: $vgpr89
                                        ; implicit-def: $vgpr42_vgpr43
                                        ; implicit-def: $vgpr90
                                        ; implicit-def: $vgpr38
                                        ; implicit-def: $vgpr44_vgpr45
                                        ; implicit-def: $vgpr93
                                        ; implicit-def: $vgpr46_vgpr47
                                        ; implicit-def: $vgpr95
                                        ; implicit-def: $vgpr48_vgpr49
                                        ; implicit-def: $vgpr97
                                        ; implicit-def: $vgpr50_vgpr51
                                        ; implicit-def: $vgpr62
                                        ; implicit-def: $vgpr102
                                        ; implicit-def: $vgpr96
                                        ; implicit-def: $vgpr98
                                        ; implicit-def: $vgpr99
                                        ; implicit-def: $vgpr100
                                        ; implicit-def: $vgpr101
                                        ; implicit-def: $vgpr91
                                        ; implicit-def: $vgpr92
                                        ; implicit-def: $vgpr103
                                        ; implicit-def: $vgpr94
                                        ; implicit-def: $vgpr30_vgpr31
                                        ; implicit-def: $vgpr32_vgpr33
                                        ; implicit-def: $vgpr34_vgpr35
                                        ; implicit-def: $vgpr36_vgpr37
                                        ; implicit-def: $vgpr80
                                        ; implicit-def: $vgpr66
                                        ; implicit-def: $vgpr82
                                        ; implicit-def: $vgpr68
                                        ; implicit-def: $vgpr84
                                        ; implicit-def: $vgpr69
                                        ; implicit-def: $sgpr22_sgpr23
                                        ; implicit-def: $sgpr20_sgpr21
.LBB24_311:
	s_andn2_b64 vcc, exec, s[0:1]
	v_mov_b32_e32 v105, s2
	v_mov_b32_e32 v56, s2
	;; [unrolled: 1-line block ×3, first 2 shown]
	v_lshlrev_b32_e32 v108, 1, v18
	v_lshlrev_b32_e32 v64, 1, v59
	v_mov_b32_e32 v107, s2
	v_mov_b32_e32 v85, s2
	v_mov_b32_e32 v106, s2
	v_mov_b32_e32 v81, s2
	v_mov_b32_e32 v83, s2
	v_mov_b32_e32 v78, s2
	v_mov_b32_e32 v79, s2
	v_mov_b32_e32 v76, s2
	v_mov_b32_e32 v77, s2
	v_mov_b32_e32 v74, s2
	v_mov_b32_e32 v75, s2
	v_mov_b32_e32 v72, s2
	v_mov_b32_e32 v73, s2
	v_mov_b32_e32 v70, s2
	v_mov_b32_e32 v71, s2
	s_cbranch_vccnz .LBB24_314
; %bb.312:
	v_mov_b32_e32 v16, s35
	v_add_co_u32_e32 v109, vcc, s33, v108
	v_addc_co_u32_e32 v110, vcc, 0, v16, vcc
	v_lshrrev_b32_e32 v16, 5, v58
	v_lshl_add_u32 v16, v63, 1, v16
	v_add_u32_e32 v19, s4, v16
	v_mul_hi_u32 v20, s40, v19
	v_add_u32_e32 v20, v19, v20
	v_lshrrev_b32_e32 v20, s41, v20
	v_mul_lo_u32 v20, v20, s28
	v_sub_u32_e32 v20, v19, v20
	v_add_u32_e32 v19, 8, v19
	v_mad_i64_i32 v[40:41], s[0:1], v20, s42, 0
	v_mul_hi_u32 v20, s40, v19
	v_add_u32_e32 v20, v19, v20
	v_lshrrev_b32_e32 v20, s41, v20
	v_mul_lo_u32 v20, v20, s28
	s_movk_i32 s2, 0x90
	v_sub_u32_e32 v19, v19, v20
	v_mov_b32_e32 v20, 0x480
	v_mul_u32_u24_e32 v88, 0x90, v16
	v_mad_u32_u24 v89, v16, s2, v20
	v_mad_i64_i32 v[42:43], s[0:1], v19, s42, 0
	v_lshrrev_b32_e32 v16, 4, v58
	v_lshl_add_u32 v16, v63, 2, v16
	s_movk_i32 s0, 0x110
	v_mov_b32_e32 v20, 0x3300
	v_lshlrev_b32_e32 v62, 4, v63
	v_lshrrev_b32_e32 v22, 2, v58
	v_mad_u32_u24 v97, v16, s0, v20
	v_and_b32_e32 v20, 16, v62
	v_and_b32_e32 v23, 0xfc, v22
	v_and_or_b32 v17, v58, 14, v17
	v_mul_u32_u24_e32 v102, 0x110, v20
	v_add_u32_e32 v24, v23, v20
	v_lshrrev_b32_e32 v17, 1, v17
	v_add_u16_e32 v20, v23, v20
	v_mul_u32_u24_e32 v96, 0x90, v17
	v_mad_u32_u24 v17, v17, s2, 0
	v_lshrrev_b16_e32 v98, 1, v20
	v_add_u32_e32 v25, 32, v24
	v_add_u32_e32 v24, 34, v24
	v_lshl_add_u32 v20, v98, 2, v17
	v_lshl_add_u32 v115, v25, 1, v17
	;; [unrolled: 1-line block ×3, first 2 shown]
	v_mbcnt_lo_u32_b32 v17, -1, 0
	v_mbcnt_hi_u32_b32 v91, -1, v17
	v_mul_lo_u32 v44, s34, v16
	s_lshl_b32 s1, s34, 4
	v_and_b32_e32 v17, 64, v91
	v_lshlrev_b32_e32 v19, 2, v58
	v_add_u32_e32 v46, s1, v44
	v_add_u32_e32 v92, 64, v17
	v_xor_b32_e32 v103, 32, v91
	v_and_b32_e32 v38, 60, v19
	v_add_u32_e32 v48, s1, v46
	v_cmp_lt_i32_e32 vcc, v103, v92
	v_xor_b32_e32 v94, 16, v91
	v_mul_u32_u24_e32 v90, 0x110, v16
	v_lshlrev_b32_e32 v19, 2, v38
	v_add_u32_e32 v50, s1, v48
	v_cndmask_b32_e32 v17, v91, v103, vcc
	v_cmp_lt_i32_e32 vcc, v94, v92
	v_mul_lo_u32 v30, s30, v16
	s_lshl_b32 s1, s30, 4
	v_add3_u32 v111, 0, v90, v19
	v_mov_b32_e32 v19, 0x1100
	v_lshlrev_b32_e32 v117, 2, v17
	v_cndmask_b32_e32 v17, v91, v94, vcc
	v_add_u32_e32 v32, s1, v30
	v_mad_u32_u24 v93, v16, s0, v19
	v_mov_b32_e32 v19, 0x2200
	v_lshlrev_b32_e32 v118, 2, v17
	v_add_u32_e32 v34, s1, v32
	v_mul_u32_u24_e32 v17, 0x88, v23
	v_mad_u32_u24 v95, v16, s0, v19
	v_add_u32_e32 v36, s1, v34
	v_and_b32_e32 v16, 8, v65
	v_or_b32_e32 v80, v17, v59
	v_or_b32_e32 v17, 3, v22
	s_movk_i32 s1, 0x220
	v_mul_u32_u24_e32 v66, 0x110, v23
	v_mul_u32_u24_e32 v68, 0x110, v17
	;; [unrolled: 1-line block ×3, first 2 shown]
	v_mad_u32_u24 v17, v16, s1, 0
	v_lshlrev_b32_e32 v22, 1, v80
	v_add_u32_e32 v119, v17, v22
	v_add3_u32 v120, v17, v66, v64
	v_add3_u32 v121, v17, v68, v64
	;; [unrolled: 1-line block ×3, first 2 shown]
	s_movk_i32 s3, 0x2200
	v_mad_u32_u24 v69, v16, s1, v19
	v_add_u32_e32 v124, v17, v22
	v_mad_u32_u24 v19, v23, s0, v17
	v_add3_u32 v127, v17, v68, v64
	v_add3_u32 v17, 0, 64, v84
	s_add_i32 s2, 0, 0x60
	v_add3_u32 v125, v19, v64, s3
	v_add_u32_e32 v129, v17, v22
	v_mad_u32_u24 v19, v23, s0, v17
	v_add3_u32 v132, v17, v68, v64
	v_mov_b32_e32 v17, s2
	v_mad_u32_u24 v17, v16, s1, v17
	s_add_i32 s2, 0, 0x80
	v_add3_u32 v130, v19, v64, s3
	v_add_u32_e32 v134, v17, v22
	v_mad_u32_u24 v19, v23, s0, v17
	v_add3_u32 v137, v17, v68, v64
	v_mov_b32_e32 v17, s2
	v_mad_u32_u24 v17, v16, s1, v17
	;; [unrolled: 7-line block ×5, first 2 shown]
	v_add_u32_e32 v18, 0, v108
	v_mov_b32_e32 v39, 0
	v_add3_u32 v21, 0, v86, v87
	v_add_u32_e32 v154, v16, v22
	v_mad_u32_u24 v17, v23, s0, v16
	s_ashr_i32 s23, s34, 31
	v_ashrrev_i32_e32 v45, 31, v44
	v_add_u32_e32 v112, 0x1100, v111
	v_ashrrev_i32_e32 v47, 31, v46
	v_add_u32_e32 v113, 0x2200, v111
	;; [unrolled: 2-line block ×3, first 2 shown]
	v_ashrrev_i32_e32 v51, 31, v50
	v_or_b32_e32 v99, 1, v98
	v_lshrrev_b32_e32 v100, 1, v25
	v_lshrrev_b32_e32 v101, 1, v24
	s_ashr_i32 s21, s30, 31
	v_ashrrev_i32_e32 v31, 31, v30
	v_ashrrev_i32_e32 v33, 31, v32
	;; [unrolled: 1-line block ×4, first 2 shown]
	v_add_u32_e32 v82, 0x110, v80
	v_add_u32_e32 v122, 0x2200, v120
	;; [unrolled: 1-line block ×13, first 2 shown]
	v_add3_u32 v150, v19, v64, s3
	v_add_u32_e32 v151, 0x2200, v149
	v_add_u32_e32 v153, 0xe0, v120
	v_add3_u32 v155, v17, v64, s3
	v_add_u32_e32 v156, 0x2200, v154
	v_add3_u32 v157, v16, v68, v64
	s_lshl_b32 s24, s74, 6
	v_mov_b32_e32 v16, 0xfeffffff
	v_add_u32_e32 v158, v18, v88
	v_lshlrev_b32_e32 v159, 2, v38
	v_add_u32_e32 v160, v21, v102
	v_add_u32_e32 v161, 0x4400, v20
	s_mov_b32 s20, 0x3fb8aa3b
	s_mov_b32 s22, 0xc2ce8ed0
	;; [unrolled: 1-line block ×5, first 2 shown]
	v_mov_b32_e32 v162, 0x7f800000
	v_mov_b32_e32 v56, v39
	;; [unrolled: 1-line block ×18, first 2 shown]
.LBB24_313:                             ; =>This Inner Loop Header: Depth=1
	s_ashr_i32 s25, s24, 31
	s_mul_hi_i32 s1, s24, s34
	s_mul_i32 s0, s24, s34
	s_lshl_b64 s[2:3], s[24:25], 1
	s_lshl_b64 s[0:1], s[0:1], 2
	v_mov_b32_e32 v28, s3
	v_add_co_u32_e32 v29, vcc, s2, v109
	v_mov_b32_e32 v164, v16
	v_lshlrev_b64 v[16:17], 1, v[40:41]
	v_lshlrev_b64 v[18:19], 1, v[42:43]
	s_add_u32 s4, s29, s0
	v_addc_co_u32_e32 v28, vcc, v110, v28, vcc
	v_add_co_u32_e32 v18, vcc, v29, v18
	s_addc_u32 s5, s31, s1
	v_add_co_u32_e64 v16, s[0:1], v29, v16
	v_lshlrev_b64 v[20:21], 2, v[44:45]
	v_lshlrev_b64 v[22:23], 2, v[46:47]
	;; [unrolled: 1-line block ×3, first 2 shown]
	v_addc_co_u32_e64 v17, s[0:1], v28, v17, s[0:1]
	v_addc_co_u32_e32 v19, vcc, v28, v19, vcc
	v_lshlrev_b64 v[26:27], 2, v[50:51]
	v_mov_b32_e32 v28, s5
	v_add_co_u32_e32 v29, vcc, s4, v20
	v_mov_b32_e32 v20, s5
	v_add_co_u32_e64 v22, s[0:1], s4, v22
	v_mov_b32_e32 v166, s5
	v_add_co_u32_e64 v24, s[2:3], s4, v24
	;; [unrolled: 2-line block ×3, first 2 shown]
	global_load_dword v170, v[16:17], off
	global_load_dword v171, v[18:19], off
	v_addc_co_u32_e32 v17, vcc, v28, v21, vcc
	v_addc_co_u32_e64 v18, vcc, v20, v23, s[0:1]
	v_addc_co_u32_e64 v19, s[0:1], v166, v25, s[2:3]
	v_add_co_u32_e32 v20, vcc, v22, v159
	v_add_co_u32_e64 v24, s[0:1], v24, v159
	v_addc_co_u32_e64 v22, s[2:3], v167, v27, s[4:5]
	v_add_co_u32_e64 v16, s[4:5], v29, v159
	v_add_co_u32_e64 v28, s[2:3], v26, v159
	v_addc_co_u32_e64 v17, s[4:5], 0, v17, s[4:5]
	v_addc_co_u32_e32 v21, vcc, 0, v18, vcc
	v_addc_co_u32_e64 v25, vcc, 0, v19, s[0:1]
	v_addc_co_u32_e64 v29, vcc, 0, v22, s[2:3]
	global_load_dwordx4 v[16:19], v[16:17], off
	s_nop 0
	global_load_dwordx4 v[20:23], v[20:21], off
	s_nop 0
	;; [unrolled: 2-line block ×3, first 2 shown]
	global_load_dwordx4 v[166:169], v[28:29], off
	v_add_u32_e32 v165, 0x2000, v160
	s_mul_hi_i32 s9, s24, s30
	s_mul_i32 s8, s24, s30
	s_lshl_b64 s[0:1], s[8:9], 2
	s_add_u32 s8, s6, s0
	v_mov_b32_e32 v163, v56
	v_lshlrev_b64 v[52:53], 2, v[30:31]
	v_lshlrev_b64 v[54:55], 2, v[32:33]
	;; [unrolled: 1-line block ×3, first 2 shown]
	s_addc_u32 s2, s7, s1
	v_add_co_u32_e32 v54, vcc, s8, v54
	v_mov_b32_e32 v172, s2
	v_add_co_u32_e64 v173, s[0:1], s8, v56
	v_mov_b32_e32 v174, s2
	s_add_i32 s74, s74, 1
	v_cmp_lt_i32_e64 s[4:5], s74, v104
	s_add_i32 s24, s24, 64
	s_waitcnt vmcnt(5)
	ds_write_b32 v158, v170 offset:17408
	s_waitcnt vmcnt(4)
	ds_write_b32 v158, v171 offset:18560
	s_waitcnt vmcnt(3)
	ds_write_b128 v111, v[16:19]
	s_waitcnt vmcnt(2)
	ds_write_b128 v112, v[20:23]
	;; [unrolled: 2-line block ×4, first 2 shown]
	s_waitcnt lgkmcnt(0)
	s_barrier
	ds_read2_b64 v[22:25], v160 offset1:4
	ds_read2_b64 v[16:19], v165 offset0:64 offset1:68
	s_waitcnt lgkmcnt(1)
	v_mfma_f32_16x16x16f16 v[26:29], v[22:23], v[12:13], 0
	ds_read2_b64 v[166:169], v160 offset0:8 offset1:12
	v_mov_b32_e32 v170, s2
	v_mov_b32_e32 v171, s2
	s_waitcnt lgkmcnt(1)
	v_mfma_f32_16x16x16f16 v[20:23], v[16:17], v[12:13], 0
	v_lshlrev_b64 v[16:17], 2, v[36:37]
	v_add_co_u32_e64 v16, s[2:3], s8, v16
	v_mfma_f32_16x16x16f16 v[24:27], v[24:25], v[14:15], v[26:29]
	v_mfma_f32_16x16x16f16 v[18:21], v[18:19], v[14:15], v[20:23]
	s_waitcnt lgkmcnt(0)
	v_mfma_f32_16x16x16f16 v[22:25], v[166:167], v[8:9], v[24:27]
	v_add_co_u32_e64 v166, s[8:9], s8, v52
	v_addc_co_u32_e64 v167, s[8:9], v170, v53, s[8:9]
	v_add_co_u32_e64 v56, s[8:9], v54, v159
	s_nop 4
	ds_read2_b64 v[26:29], v165 offset0:72 offset1:76
	s_waitcnt lgkmcnt(0)
	v_mfma_f32_16x16x16f16 v[18:21], v[26:27], v[8:9], v[18:21]
	v_mfma_f32_16x16x16f16 v[18:21], v[28:29], v[10:11], v[18:21]
	ds_read2_b64 v[26:29], v160 offset0:16 offset1:20
	v_mfma_f32_16x16x16f16 v[22:25], v[168:169], v[10:11], v[22:25]
	v_addc_co_u32_e32 v168, vcc, v171, v55, vcc
	ds_read2_b64 v[52:55], v165 offset0:80 offset1:84
	v_addc_co_u32_e64 v169, vcc, v172, v57, s[0:1]
	v_addc_co_u32_e64 v17, vcc, v174, v17, s[2:3]
	s_waitcnt lgkmcnt(1)
	v_mfma_f32_16x16x16f16 v[22:25], v[26:27], v[4:5], v[22:25]
	v_add_co_u32_e64 v170, s[0:1], v173, v159
	s_and_b64 vcc, exec, s[4:5]
	v_add_co_u32_e64 v174, s[2:3], v16, v159
	v_addc_co_u32_e64 v171, s[0:1], 0, v169, s[0:1]
	v_mfma_f32_16x16x16f16 v[22:25], v[28:29], v[6:7], v[22:25]
	ds_read2_b64 v[26:29], v160 offset0:24 offset1:28
	v_addc_co_u32_e64 v175, s[0:1], 0, v17, s[2:3]
	s_waitcnt lgkmcnt(1)
	v_mfma_f32_16x16x16f16 v[18:21], v[52:53], v[4:5], v[18:21]
	v_add_co_u32_e64 v52, s[4:5], v166, v159
	v_addc_co_u32_e64 v53, s[4:5], 0, v167, s[4:5]
	v_addc_co_u32_e64 v57, s[4:5], 0, v168, s[8:9]
	v_mfma_f32_16x16x16f16 v[16:19], v[54:55], v[6:7], v[18:21]
	s_waitcnt lgkmcnt(0)
	v_mfma_f32_16x16x16f16 v[20:23], v[26:27], v[0:1], v[22:25]
	s_nop 6
	ds_read2_b64 v[24:27], v165 offset0:88 offset1:92
	s_waitcnt lgkmcnt(0)
	s_barrier
	global_load_dwordx4 v[52:55], v[52:53], off
	s_nop 0
	global_load_dwordx4 v[166:169], v[56:57], off
	s_nop 0
	global_load_dwordx4 v[170:173], v[170:171], off
	v_mfma_f32_16x16x16f16 v[16:19], v[24:25], v[0:1], v[16:19]
	global_load_dwordx4 v[174:177], v[174:175], off
	ds_read2_b32 v[24:25], v161 offset1:1
	ds_read_b32 v165, v116 offset:17408
	ds_read_b32 v178, v115 offset:17408
	s_waitcnt vmcnt(3)
	ds_write_b128 v111, v[52:55]
	s_waitcnt vmcnt(2)
	ds_write_b128 v112, v[166:169]
	;; [unrolled: 2-line block ×4, first 2 shown]
	v_mfma_f32_16x16x16f16 v[20:23], v[28:29], v[2:3], v[20:23]
	s_waitcnt lgkmcnt(6)
	v_cvt_f32_f16_e32 v56, v24
	v_cvt_f32_f16_sdwa v57, v24 dst_sel:DWORD dst_unused:UNUSED_PAD src0_sel:WORD_1
	s_waitcnt lgkmcnt(4)
	v_cvt_f32_f16_sdwa v179, v178 dst_sel:DWORD dst_unused:UNUSED_PAD src0_sel:WORD_1
	v_cvt_f32_f16_e32 v178, v178
	v_cvt_f32_f16_e32 v24, v25
	v_cvt_f32_f16_sdwa v25, v25 dst_sel:DWORD dst_unused:UNUSED_PAD src0_sel:WORD_1
	v_cvt_f32_f16_sdwa v29, v165 dst_sel:DWORD dst_unused:UNUSED_PAD src0_sel:WORD_1
	v_mfma_f32_16x16x16f16 v[16:19], v[26:27], v[2:3], v[16:19]
	v_cvt_f32_f16_e32 v28, v165
	v_pk_add_f32 v[56:57], v[20:21], v[56:57]
	v_pk_add_f32 v[182:183], v[22:23], v[24:25]
	v_add_f32_e32 v22, 0x40051340, v182
	v_add_f32_e32 v23, 0x40051340, v183
	s_waitcnt lgkmcnt(0)
	s_barrier
	s_nop 3
	v_pk_add_f32 v[178:179], v[16:17], v[178:179]
	v_add_f32_e32 v16, 0x40051340, v56
	v_add_f32_e32 v17, 0x40051340, v57
	v_max3_f32 v16, v164, v16, v17
	v_pk_add_f32 v[180:181], v[18:19], v[28:29]
	v_add_f32_e32 v20, 0x40051340, v178
	v_add_f32_e32 v21, 0x40051340, v179
	v_max3_f32 v16, v16, v22, v23
	v_add_f32_e32 v18, 0x40051340, v180
	v_add_f32_e32 v19, 0x40051340, v181
	v_max3_f32 v16, v16, v20, v21
	v_max3_f32 v16, v16, v18, v19
	ds_bpermute_b32 v17, v117, v16
	s_waitcnt lgkmcnt(0)
	ds_read_u16 v18, v120 offset:544
	ds_read_u16 v19, v121
	ds_read_u16 v20, v121 offset:32
	ds_read_u16 v21, v121 offset:64
	;; [unrolled: 1-line block ×43, first 2 shown]
	ds_read_u16 v54, v119
	ds_read_u16 v168, v119 offset:32
	ds_read_u16 v206, v119 offset:64
	;; [unrolled: 1-line block ×18, first 2 shown]
	s_waitcnt lgkmcnt(14)
	v_perm_b32 v52, v52, v29, s37
	v_perm_b32 v29, v175, v174, s37
	v_max_f32_e32 v17, v17, v17
	v_max_f32_e32 v16, v16, v17
	ds_bpermute_b32 v17, v118, v16
	v_perm_b32 v166, v24, v54, s37
	s_waitcnt lgkmcnt(10)
	v_perm_b32 v55, v55, v26, s37
	v_perm_b32 v54, v169, v25, s37
	v_perm_b32 v53, v165, v53, s37
	s_waitcnt lgkmcnt(0)
	v_max_f32_e32 v17, v17, v17
	v_max_f32_e32 v16, v16, v17
	v_pk_add_f32 v[56:57], v[56:57], v[16:17] op_sel_hi:[1,0] neg_lo:[0,1] neg_hi:[0,1]
	v_pk_add_f32 v[174:175], v[182:183], v[16:17] op_sel_hi:[1,0] neg_lo:[0,1] neg_hi:[0,1]
	;; [unrolled: 1-line block ×4, first 2 shown]
	v_sub_f32_e32 v17, v164, v16
	v_perm_b32 v26, v185, v184, s37
	v_perm_b32 v25, v193, v192, s37
	;; [unrolled: 1-line block ×4, first 2 shown]
	v_mul_f32_e32 v164, 0x3fb8aa3b, v57
	v_mul_f32_e32 v165, 0x3fb8aa3b, v56
	v_mul_f32_e32 v182, 0x3fb8aa3b, v175
	v_mul_f32_e32 v183, 0x3fb8aa3b, v174
	v_mul_f32_e32 v190, 0x3fb8aa3b, v179
	v_mul_f32_e32 v191, 0x3fb8aa3b, v178
	v_mul_f32_e32 v192, 0x3fb8aa3b, v181
	v_mul_f32_e32 v193, 0x3fb8aa3b, v180
	v_mul_f32_e32 v194, 0x3fb8aa3b, v17
	v_perm_b32 v169, v20, v28, s37
	v_perm_b32 v168, v27, v168, s37
	;; [unrolled: 1-line block ×17, first 2 shown]
	v_fma_f32 v195, v57, s20, -v164
	v_rndne_f32_e32 v196, v164
	v_fma_f32 v197, v56, s20, -v165
	v_rndne_f32_e32 v198, v165
	;; [unrolled: 2-line block ×9, first 2 shown]
	v_fmac_f32_e32 v195, 0x32a5705f, v57
	v_sub_f32_e32 v164, v164, v196
	v_fmac_f32_e32 v197, 0x32a5705f, v56
	v_sub_f32_e32 v165, v165, v198
	v_fmac_f32_e32 v199, 0x32a5705f, v175
	v_sub_f32_e32 v182, v182, v200
	v_fmac_f32_e32 v201, 0x32a5705f, v174
	v_sub_f32_e32 v183, v183, v202
	v_fmac_f32_e32 v203, 0x32a5705f, v179
	v_sub_f32_e32 v190, v190, v204
	v_fmac_f32_e32 v205, 0x32a5705f, v178
	v_sub_f32_e32 v191, v191, v206
	v_fmac_f32_e32 v207, 0x32a5705f, v181
	v_sub_f32_e32 v192, v192, v208
	v_fmac_f32_e32 v209, 0x32a5705f, v180
	v_sub_f32_e32 v193, v193, v210
	v_fmac_f32_e32 v211, 0x32a5705f, v17
	v_sub_f32_e32 v194, v194, v212
	v_add_f32_e32 v164, v164, v195
	v_add_f32_e32 v165, v165, v197
	;; [unrolled: 1-line block ×9, first 2 shown]
	v_cvt_i32_f32_e32 v196, v196
	v_cvt_i32_f32_e32 v198, v198
	;; [unrolled: 1-line block ×9, first 2 shown]
	v_exp_f32_e32 v164, v164
	v_exp_f32_e32 v165, v165
	;; [unrolled: 1-line block ×9, first 2 shown]
	v_ldexp_f32 v164, v164, v196
	v_ldexp_f32 v165, v165, v198
	v_cmp_ngt_f32_e64 s[0:1], s22, v56
	v_ldexp_f32 v182, v182, v200
	v_cmp_ngt_f32_e64 s[2:3], s22, v175
	;; [unrolled: 2-line block ×8, first 2 shown]
	v_cmp_ngt_f32_e64 s[18:19], s22, v57
	v_cndmask_b32_e64 v164, 0, v164, s[18:19]
	v_cndmask_b32_e64 v165, 0, v165, s[0:1]
	v_cmp_nlt_f32_e64 s[0:1], s28, v56
	v_cndmask_b32_e64 v56, 0, v182, s[2:3]
	v_cmp_nlt_f32_e64 s[2:3], s28, v175
	;; [unrolled: 2-line block ×8, first 2 shown]
	v_cmp_nlt_f32_e64 s[18:19], s28, v57
	v_cndmask_b32_e64 v57, v162, v164, s[18:19]
	v_cndmask_b32_e64 v164, v162, v165, s[0:1]
	;; [unrolled: 1-line block ×5, first 2 shown]
	v_cmp_le_f32_e64 s[0:1], s36, v17
	v_add_f32_e32 v17, v164, v57
	v_cndmask_b32_e64 v195, 0, v179, s[0:1]
	v_cndmask_b32_e64 v174, v162, v174, s[8:9]
	v_cndmask_b32_e64 v194, v162, v178, s[12:13]
	v_cndmask_b32_e64 v178, v162, v181, s[14:15]
	v_cvt_f16_f32_e32 v164, v164
	v_cvt_f16_f32_e32 v57, v57
	v_cvt_f16_f32_e32 v180, v165
	v_add_f32_e32 v17, v165, v17
	v_cvt_f16_f32_e32 v165, v195
	v_cvt_f16_f32_e32 v181, v174
	v_cvt_f16_f32_e32 v182, v175
	v_cvt_f16_f32_e32 v183, v194
	v_cvt_f16_f32_e32 v193, v178
	v_cndmask_b32_e64 v56, v162, v56, s[2:3]
	v_perm_b32 v167, v19, v18, s37
	v_cvt_f16_f32_e32 v179, v56
	v_add_f32_e32 v17, v56, v17
	v_pack_b32_f16 v190, v164, v57
	v_pk_mul_f16 v56, v165, v107 op_sel_hi:[0,1]
	v_pk_mul_f16 v57, v165, v105 op_sel_hi:[0,1]
	v_pack_b32_f16 v192, v182, v181
	v_pack_b32_f16 v193, v193, v183
	v_pk_mul_f16 v181, v165, v73 op_sel_hi:[0,1]
	v_pk_mul_f16 v183, v165, v72 op_sel_hi:[0,1]
	;; [unrolled: 1-line block ×4, first 2 shown]
	v_cvt_f32_f16_e32 v70, v56
	v_cvt_f32_f16_sdwa v71, v56 dst_sel:DWORD dst_unused:UNUSED_PAD src0_sel:WORD_1
	v_cvt_f32_f16_e32 v72, v57
	v_cvt_f32_f16_sdwa v73, v57 dst_sel:DWORD dst_unused:UNUSED_PAD src0_sel:WORD_1
	v_add_f32_e32 v17, v175, v17
	v_perm_b32 v171, v21, v171, s37
	v_add_f32_e32 v17, v174, v17
	v_pack_b32_f16 v191, v180, v179
	v_pk_mul_f16 v105, v165, v106 op_sel_hi:[0,1]
	v_pk_mul_f16 v85, v165, v85 op_sel_hi:[0,1]
	;; [unrolled: 1-line block ×4, first 2 shown]
	v_add_f32_e32 v17, v178, v17
	v_pk_mul_f16 v79, v165, v79 op_sel_hi:[0,1]
	v_pk_mul_f16 v78, v165, v78 op_sel_hi:[0,1]
	v_pk_mul_f16 v106, v165, v77 op_sel_hi:[0,1]
	v_pk_mul_f16 v107, v165, v76 op_sel_hi:[0,1]
	v_pk_mul_f16 v178, v165, v75 op_sel_hi:[0,1]
	v_pk_mul_f16 v179, v165, v74 op_sel_hi:[0,1]
	v_mfma_f32_16x16x16f16 v[70:73], v[166:167], v[190:191], v[70:73]
	v_cvt_f32_f16_e32 v74, v105
	v_cvt_f32_f16_sdwa v75, v105 dst_sel:DWORD dst_unused:UNUSED_PAD src0_sel:WORD_1
	v_cvt_f32_f16_e32 v76, v85
	v_cvt_f32_f16_sdwa v77, v85 dst_sel:DWORD dst_unused:UNUSED_PAD src0_sel:WORD_1
	;; [unrolled: 2-line block ×4, first 2 shown]
	v_mfma_f32_16x16x16f16 v[74:77], v[168:169], v[190:191], v[74:77]
	v_cvt_f32_f16_e32 v168, v79
	v_cvt_f32_f16_sdwa v169, v79 dst_sel:DWORD dst_unused:UNUSED_PAD src0_sel:WORD_1
	v_cvt_f32_f16_e32 v174, v107
	v_cvt_f32_f16_sdwa v175, v107 dst_sel:DWORD dst_unused:UNUSED_PAD src0_sel:WORD_1
	v_cvt_f32_f16_e32 v180, v181
	v_cvt_f32_f16_sdwa v181, v181 dst_sel:DWORD dst_unused:UNUSED_PAD src0_sel:WORD_1
	v_cvt_f32_f16_e32 v182, v183
	v_mfma_f32_16x16x16f16 v[164:167], v[170:171], v[190:191], v[164:167]
	v_cvt_f32_f16_e32 v170, v78
	v_cvt_f32_f16_sdwa v171, v78 dst_sel:DWORD dst_unused:UNUSED_PAD src0_sel:WORD_1
	v_cvt_f32_f16_sdwa v183, v183 dst_sel:DWORD dst_unused:UNUSED_PAD src0_sel:WORD_1
	v_add_f32_e32 v56, v194, v17
	v_cvt_f16_f32_e32 v17, v70
	v_cvt_f16_f32_e32 v57, v71
	v_cvt_f16_f32_e32 v72, v72
	v_mfma_f32_16x16x16f16 v[168:171], v[172:173], v[190:191], v[168:171]
	v_cvt_f32_f16_e32 v172, v106
	v_cvt_f32_f16_sdwa v173, v106 dst_sel:DWORD dst_unused:UNUSED_PAD src0_sel:WORD_1
	v_cvt_f16_f32_e32 v73, v73
	v_cvt_f16_f32_e32 v74, v74
	;; [unrolled: 1-line block ×5, first 2 shown]
	v_mfma_f32_16x16x16f16 v[172:175], v[176:177], v[190:191], v[172:175]
	v_cvt_f32_f16_e32 v176, v178
	v_cvt_f32_f16_sdwa v177, v178 dst_sel:DWORD dst_unused:UNUSED_PAD src0_sel:WORD_1
	v_cvt_f32_f16_e32 v178, v179
	v_cvt_f32_f16_sdwa v179, v179 dst_sel:DWORD dst_unused:UNUSED_PAD src0_sel:WORD_1
	v_cvt_f16_f32_e32 v78, v164
	v_cvt_f16_f32_e32 v79, v165
	;; [unrolled: 1-line block ×3, first 2 shown]
	v_mfma_f32_16x16x16f16 v[176:179], v[184:185], v[190:191], v[176:179]
	v_cvt_f32_f16_e32 v184, v196
	v_cvt_f32_f16_sdwa v185, v196 dst_sel:DWORD dst_unused:UNUSED_PAD src0_sel:WORD_1
	v_cvt_f16_f32_e32 v83, v167
	v_cvt_f16_f32_e32 v85, v168
	;; [unrolled: 1-line block ×5, first 2 shown]
	v_mfma_f32_16x16x16f16 v[180:183], v[186:187], v[190:191], v[180:183]
	v_cvt_f32_f16_e32 v186, v197
	v_cvt_f32_f16_sdwa v187, v197 dst_sel:DWORD dst_unused:UNUSED_PAD src0_sel:WORD_1
	v_cvt_f32_f16_e32 v70, v17
	v_cvt_f32_f16_e32 v71, v57
	v_cvt_f32_f16_e32 v72, v72
	v_cvt_f32_f16_e32 v73, v73
	v_cvt_f32_f16_e32 v74, v74
	v_mfma_f32_16x16x16f16 v[184:187], v[188:189], v[190:191], v[184:187]
	v_cvt_f32_f16_e32 v75, v75
	v_cvt_f32_f16_e32 v76, v76
	;; [unrolled: 1-line block ×3, first 2 shown]
	v_fmac_f32_e32 v56, v163, v195
	v_cvt_f16_f32_e32 v163, v172
	v_cvt_f16_f32_e32 v168, v173
	;; [unrolled: 1-line block ×8, first 2 shown]
	v_mfma_f32_16x16x16f16 v[70:73], v[54:55], v[192:193], v[70:73]
	v_cvt_f32_f16_e32 v164, v85
	v_cvt_f32_f16_e32 v165, v105
	v_cvt_f32_f16_e32 v166, v106
	v_cvt_f32_f16_e32 v167, v107
	v_cvt_f16_f32_e32 v175, v180
	v_cvt_f16_f32_e32 v176, v181
	;; [unrolled: 1-line block ×3, first 2 shown]
	v_mfma_f32_16x16x16f16 v[52:55], v[52:53], v[192:193], v[74:77]
	v_cvt_f16_f32_e32 v178, v183
	v_cvt_f16_f32_e32 v179, v184
	;; [unrolled: 1-line block ×5, first 2 shown]
	s_nop 1
	v_cvt_f32_f16_e32 v74, v78
	v_cvt_f32_f16_e32 v75, v79
	;; [unrolled: 1-line block ×4, first 2 shown]
	v_perm_b32 v21, v214, v213, s37
	v_perm_b32 v19, v220, v219, s37
	v_mfma_f32_16x16x16f16 v[74:77], v[28:29], v[192:193], v[74:77]
	v_perm_b32 v18, v218, v217, s37
	v_cvt_f16_f32_e32 v17, v70
	v_cvt_f16_f32_e32 v57, v71
	;; [unrolled: 1-line block ×6, first 2 shown]
	v_mfma_f32_16x16x16f16 v[26:29], v[26:27], v[192:193], v[164:167]
	v_cvt_f16_f32_e32 v54, v54
	v_cvt_f16_f32_e32 v55, v55
	s_nop 0
	v_cvt_f16_f32_e32 v72, v74
	v_cvt_f16_f32_e32 v73, v75
	;; [unrolled: 1-line block ×3, first 2 shown]
	s_nop 0
	v_cvt_f32_f16_e32 v164, v163
	v_cvt_f32_f16_e32 v165, v168
	v_cvt_f32_f16_e32 v166, v169
	v_cvt_f32_f16_e32 v167, v170
	v_cvt_f32_f16_e32 v168, v171
	v_cvt_f32_f16_e32 v169, v172
	v_cvt_f32_f16_e32 v170, v173
	v_cvt_f32_f16_e32 v171, v174
	v_mfma_f32_16x16x16f16 v[164:167], v[24:25], v[192:193], v[164:167]
	v_cvt_f32_f16_e32 v172, v179
	v_cvt_f32_f16_e32 v173, v180
	;; [unrolled: 1-line block ×3, first 2 shown]
	v_cvt_f16_f32_e32 v75, v77
	v_cvt_f16_f32_e32 v26, v26
	;; [unrolled: 1-line block ×4, first 2 shown]
	v_mfma_f32_16x16x16f16 v[22:25], v[22:23], v[192:193], v[168:171]
	v_cvt_f16_f32_e32 v29, v29
	s_nop 1
	v_cvt_f16_f32_e32 v76, v164
	v_cvt_f16_f32_e32 v77, v165
	;; [unrolled: 1-line block ×4, first 2 shown]
	v_cvt_f32_f16_e32 v168, v175
	v_cvt_f32_f16_e32 v169, v176
	v_cvt_f32_f16_e32 v170, v177
	v_cvt_f32_f16_e32 v171, v178
	v_cvt_f32_f16_e32 v175, v182
	v_cvt_f16_f32_e32 v22, v22
	v_mfma_f32_16x16x16f16 v[168:171], v[20:21], v[192:193], v[168:171]
	v_cvt_f16_f32_e32 v23, v23
	v_cvt_f16_f32_e32 v24, v24
	;; [unrolled: 1-line block ×3, first 2 shown]
	v_pack_b32_f16 v107, v17, v57
	v_pack_b32_f16 v105, v70, v71
	v_pack_b32_f16 v106, v52, v53
	v_pack_b32_f16 v85, v54, v55
	v_mfma_f32_16x16x16f16 v[18:21], v[18:19], v[192:193], v[172:175]
	s_nop 2
	v_cvt_f16_f32_e32 v165, v168
	v_cvt_f16_f32_e32 v166, v169
	;; [unrolled: 1-line block ×4, first 2 shown]
	v_pack_b32_f16 v83, v72, v73
	v_pack_b32_f16 v81, v74, v75
	;; [unrolled: 1-line block ×3, first 2 shown]
	s_nop 0
	v_cvt_f16_f32_e32 v18, v18
	v_cvt_f16_f32_e32 v19, v19
	;; [unrolled: 1-line block ×4, first 2 shown]
	v_pack_b32_f16 v78, v28, v29
	v_pack_b32_f16 v77, v76, v77
	;; [unrolled: 1-line block ×9, first 2 shown]
	s_barrier
	s_cbranch_vccnz .LBB24_313
.LBB24_314:
	s_lshl_b32 s0, s74, 6
	s_ashr_i32 s1, s0, 31
	s_lshl_b64 s[2:3], s[0:1], 1
	s_add_u32 s2, s33, s2
	s_addc_u32 s3, s35, s3
	v_mov_b32_e32 v17, s3
	v_add_co_u32_e32 v22, vcc, s2, v108
	s_mul_i32 s2, s34, s1
	s_mul_hi_u32 s3, s34, s0
	v_addc_co_u32_e32 v17, vcc, 0, v17, vcc
	v_lshlrev_b64 v[18:19], 1, v[40:41]
	s_add_i32 s2, s3, s2
	s_mul_i32 s3, s23, s0
	v_add_co_u32_e32 v18, vcc, v22, v18
	s_add_i32 s3, s2, s3
	s_mul_i32 s2, s34, s0
	v_addc_co_u32_e32 v19, vcc, v17, v19, vcc
	v_lshlrev_b64 v[20:21], 1, v[42:43]
	s_lshl_b64 s[2:3], s[2:3], 2
	v_add_co_u32_e32 v20, vcc, v22, v20
	s_add_u32 s2, s29, s2
	v_addc_co_u32_e32 v21, vcc, v17, v21, vcc
	global_load_dword v17, v[18:19], off
	global_load_dword v52, v[20:21], off
	s_addc_u32 s3, s31, s3
	v_lshlrev_b64 v[18:19], 2, v[44:45]
	v_mov_b32_e32 v20, s3
	v_add_co_u32_e32 v21, vcc, s2, v18
	v_addc_co_u32_e32 v20, vcc, v20, v19, vcc
	v_lshlrev_b64 v[18:19], 2, v[38:39]
	v_add_co_u32_e32 v28, vcc, v21, v18
	v_addc_co_u32_e32 v29, vcc, v20, v19, vcc
	v_lshlrev_b64 v[20:21], 2, v[46:47]
	v_mov_b32_e32 v22, s3
	v_add_co_u32_e32 v20, vcc, s2, v20
	v_addc_co_u32_e32 v21, vcc, v22, v21, vcc
	v_add_co_u32_e32 v40, vcc, v20, v18
	v_addc_co_u32_e32 v41, vcc, v21, v19, vcc
	global_load_dwordx4 v[20:23], v[28:29], off
	global_load_dwordx4 v[24:27], v[40:41], off
	v_lshlrev_b64 v[28:29], 2, v[48:49]
	v_mov_b32_e32 v39, s3
	v_add_co_u32_e32 v28, vcc, s2, v28
	v_addc_co_u32_e32 v29, vcc, v39, v29, vcc
	v_add_co_u32_e32 v28, vcc, v28, v18
	v_addc_co_u32_e32 v29, vcc, v29, v19, vcc
	v_lshlrev_b64 v[40:41], 2, v[50:51]
	v_add_co_u32_e32 v40, vcc, s2, v40
	v_addc_co_u32_e32 v39, vcc, v39, v41, vcc
	v_add_co_u32_e32 v48, vcc, v40, v18
	v_addc_co_u32_e32 v49, vcc, v39, v19, vcc
	global_load_dwordx4 v[40:43], v[28:29], off
	global_load_dwordx4 v[44:47], v[48:49], off
	v_add_u32_e32 v28, 0, v108
	v_lshlrev_b32_e32 v29, 2, v38
	v_add_u32_e32 v38, v28, v88
	v_add_u32_e32 v28, v28, v89
	v_add3_u32 v48, 0, v90, v29
	v_add3_u32 v49, 0, v93, v29
	;; [unrolled: 1-line block ×4, first 2 shown]
	v_cmp_lt_i32_e32 vcc, v103, v92
	s_mov_b32 s4, 0x3fb8aa3b
	s_mov_b32 s2, 0xc2ce8ed0
	;; [unrolled: 1-line block ×3, first 2 shown]
	s_mul_i32 s1, s30, s1
	s_mul_hi_u32 s5, s30, s0
	s_add_i32 s1, s5, s1
	s_mul_i32 s5, s21, s0
	s_add_i32 s1, s1, s5
	s_mul_i32 s0, s30, s0
	s_lshl_b64 s[0:1], s[0:1], 2
	s_add_u32 s0, s6, s0
	s_addc_u32 s1, s7, s1
	s_waitcnt vmcnt(5)
	ds_write_b32 v38, v17 offset:17408
	s_waitcnt vmcnt(4)
	ds_write_b32 v28, v52 offset:17408
	s_waitcnt vmcnt(3)
	ds_write_b128 v48, v[20:23]
	s_waitcnt vmcnt(2)
	ds_write_b128 v49, v[24:27]
	;; [unrolled: 2-line block ×4, first 2 shown]
	v_add_u32_e32 v17, 0, v86
	v_add3_u32 v17, v17, v87, v102
	v_add_u32_e32 v28, 0x2000, v17
	s_waitcnt lgkmcnt(0)
	s_barrier
	ds_read2_b64 v[20:23], v17 offset1:4
	ds_read2_b64 v[38:41], v28 offset0:64 offset1:68
	s_waitcnt lgkmcnt(1)
	v_mfma_f32_16x16x16f16 v[24:27], v[20:21], v[12:13], 0
	s_waitcnt lgkmcnt(0)
	v_mfma_f32_16x16x16f16 v[42:45], v[38:39], v[12:13], 0
	v_mfma_f32_16x16x16f16 v[20:23], v[22:23], v[14:15], v[24:27]
	;; [unrolled: 1-line block ×3, first 2 shown]
	s_nop 6
	ds_read2_b64 v[24:27], v17 offset0:8 offset1:12
	ds_read2_b64 v[38:41], v28 offset0:72 offset1:76
	s_waitcnt lgkmcnt(1)
	v_mfma_f32_16x16x16f16 v[20:23], v[24:25], v[8:9], v[20:23]
	s_waitcnt lgkmcnt(0)
	v_mfma_f32_16x16x16f16 v[12:15], v[38:39], v[8:9], v[12:15]
	v_mfma_f32_16x16x16f16 v[20:23], v[26:27], v[10:11], v[20:23]
	ds_read2_b64 v[24:27], v28 offset0:80 offset1:84
	v_mfma_f32_16x16x16f16 v[8:11], v[40:41], v[10:11], v[12:15]
	s_nop 7
	ds_read2_b64 v[12:15], v17 offset0:16 offset1:20
	s_waitcnt lgkmcnt(0)
	v_mfma_f32_16x16x16f16 v[20:23], v[12:13], v[4:5], v[20:23]
	v_mfma_f32_16x16x16f16 v[8:11], v[24:25], v[4:5], v[8:11]
	;; [unrolled: 1-line block ×4, first 2 shown]
	s_nop 7
	ds_read2_b64 v[20:23], v28 offset0:88 offset1:92
	ds_read2_b64 v[8:11], v17 offset0:24 offset1:28
	s_waitcnt lgkmcnt(0)
	v_mfma_f32_16x16x16f16 v[12:15], v[8:9], v[0:1], v[12:15]
	v_add_u32_e32 v17, 0, v96
	v_lshl_add_u32 v24, v98, 2, v17
	v_lshl_add_u32 v8, v99, 2, v17
	;; [unrolled: 1-line block ×4, first 2 shown]
	s_barrier
	v_mfma_f32_16x16x16f16 v[4:7], v[20:21], v[0:1], v[4:7]
	ds_read_b32 v17, v17 offset:17408
	ds_read_b32 v21, v24 offset:17408
	;; [unrolled: 1-line block ×4, first 2 shown]
	v_cndmask_b32_e32 v0, v91, v103, vcc
	v_lshlrev_b32_e32 v40, 2, v0
	v_cmp_lt_i32_e32 vcc, v94, v92
	s_waitcnt lgkmcnt(3)
	v_cvt_f32_f16_e32 v0, v17
	v_mfma_f32_16x16x16f16 v[8:11], v[10:11], v[2:3], v[12:15]
	v_cvt_f32_f16_sdwa v1, v17 dst_sel:DWORD dst_unused:UNUSED_PAD src0_sel:WORD_1
	v_mov_b32_e32 v17, 0x7f800000
	v_mfma_f32_16x16x16f16 v[2:5], v[22:23], v[2:3], v[4:7]
	s_waitcnt lgkmcnt(1)
	s_nop 2
	v_cvt_f32_f16_e32 v14, v20
	v_cvt_f32_f16_sdwa v15, v20 dst_sel:DWORD dst_unused:UNUSED_PAD src0_sel:WORD_1
	v_cvt_f32_f16_e32 v20, v21
	v_cvt_f32_f16_sdwa v21, v21 dst_sel:DWORD dst_unused:UNUSED_PAD src0_sel:WORD_1
	s_waitcnt lgkmcnt(0)
	v_cvt_f32_f16_e32 v12, v24
	v_cvt_f32_f16_sdwa v13, v24 dst_sel:DWORD dst_unused:UNUSED_PAD src0_sel:WORD_1
	v_pk_add_f32 v[6:7], v[8:9], v[20:21]
	v_pk_add_f32 v[0:1], v[4:5], v[0:1]
	;; [unrolled: 1-line block ×3, first 2 shown]
	v_add_f32_e32 v14, 0x40051340, v6
	v_add_f32_e32 v15, 0x40051340, v7
	v_pk_add_f32 v[2:3], v[2:3], v[12:13]
	v_add_f32_e32 v12, 0x40051340, v4
	v_add_f32_e32 v13, 0x40051340, v5
	v_max3_f32 v14, v16, v14, v15
	v_add_f32_e32 v10, 0x40051340, v2
	v_add_f32_e32 v11, 0x40051340, v3
	v_max3_f32 v12, v14, v12, v13
	;; [unrolled: 3-line block ×3, first 2 shown]
	v_max3_f32 v8, v10, v8, v9
	ds_bpermute_b32 v9, v40, v8
	v_cndmask_b32_e32 v10, v91, v94, vcc
	v_lshlrev_b32_e32 v39, 2, v10
	s_waitcnt lgkmcnt(0)
	v_max_f32_e32 v9, v9, v9
	v_max_f32_e32 v8, v8, v9
	ds_bpermute_b32 v9, v39, v8
	s_waitcnt lgkmcnt(0)
	v_max_f32_e32 v9, v9, v9
	v_max_f32_e32 v38, v8, v9
	v_pk_add_f32 v[6:7], v[6:7], v[38:39] op_sel_hi:[1,0] neg_lo:[0,1] neg_hi:[0,1]
	v_mul_f32_e32 v8, 0x3fb8aa3b, v7
	v_fma_f32 v10, v7, s4, -v8
	v_rndne_f32_e32 v11, v8
	v_fmac_f32_e32 v10, 0x32a5705f, v7
	v_sub_f32_e32 v8, v8, v11
	v_add_f32_e32 v8, v8, v10
	v_cvt_i32_f32_e32 v11, v11
	v_exp_f32_e32 v8, v8
	v_mul_f32_e32 v9, 0x3fb8aa3b, v6
	v_fma_f32 v12, v6, s4, -v9
	v_rndne_f32_e32 v13, v9
	v_pk_add_f32 v[14:15], v[4:5], v[38:39] op_sel_hi:[1,0] neg_lo:[0,1] neg_hi:[0,1]
	v_ldexp_f32 v5, v8, v11
	v_cmp_ngt_f32_e32 vcc, s2, v7
	v_fmac_f32_e32 v12, 0x32a5705f, v6
	v_sub_f32_e32 v9, v9, v13
	v_mul_f32_e32 v4, 0x3fb8aa3b, v15
	v_cndmask_b32_e32 v5, 0, v5, vcc
	v_cmp_nlt_f32_e32 vcc, s3, v7
	v_add_f32_e32 v9, v9, v12
	v_cndmask_b32_e32 v20, v17, v5, vcc
	v_fma_f32 v5, v15, s4, -v4
	v_rndne_f32_e32 v7, v4
	v_cvt_i32_f32_e32 v13, v13
	v_exp_f32_e32 v9, v9
	v_fmac_f32_e32 v5, 0x32a5705f, v15
	v_sub_f32_e32 v4, v4, v7
	v_add_f32_e32 v4, v4, v5
	v_exp_f32_e32 v4, v4
	v_cvt_i32_f32_e32 v5, v7
	v_ldexp_f32 v8, v9, v13
	v_cmp_ngt_f32_e32 vcc, s2, v6
	v_cndmask_b32_e32 v7, 0, v8, vcc
	v_cmp_nlt_f32_e32 vcc, s3, v6
	v_cndmask_b32_e32 v21, v17, v7, vcc
	v_ldexp_f32 v4, v4, v5
	v_cmp_ngt_f32_e32 vcc, s2, v15
	v_pk_add_f32 v[22:23], v[2:3], v[38:39] op_sel_hi:[1,0] neg_lo:[0,1] neg_hi:[0,1]
	v_cndmask_b32_e32 v4, 0, v4, vcc
	v_cmp_nlt_f32_e32 vcc, s3, v15
	v_mul_f32_e32 v2, 0x3fb8aa3b, v23
	v_cndmask_b32_e32 v24, v17, v4, vcc
	v_fma_f32 v3, v23, s4, -v2
	v_rndne_f32_e32 v4, v2
	v_fmac_f32_e32 v3, 0x32a5705f, v23
	v_sub_f32_e32 v2, v2, v4
	v_add_f32_e32 v2, v2, v3
	v_exp_f32_e32 v25, v2
	v_lshlrev_b64 v[2:3], 2, v[30:31]
	v_cvt_i32_f32_e32 v41, v4
	v_mov_b32_e32 v4, s1
	v_add_co_u32_e32 v2, vcc, s0, v2
	v_addc_co_u32_e32 v3, vcc, v4, v3, vcc
	v_add_co_u32_e32 v26, vcc, v2, v18
	v_addc_co_u32_e32 v27, vcc, v3, v19, vcc
	v_lshlrev_b64 v[2:3], 2, v[32:33]
	v_add_co_u32_e32 v2, vcc, s0, v2
	v_addc_co_u32_e32 v3, vcc, v4, v3, vcc
	v_add_co_u32_e32 v28, vcc, v2, v18
	v_mul_f32_e32 v5, 0x3fb8aa3b, v14
	v_addc_co_u32_e32 v29, vcc, v3, v19, vcc
	v_lshlrev_b64 v[2:3], 2, v[34:35]
	v_fma_f32 v6, v14, s4, -v5
	v_rndne_f32_e32 v7, v5
	v_add_co_u32_e32 v2, vcc, s0, v2
	v_fmac_f32_e32 v6, 0x32a5705f, v14
	v_sub_f32_e32 v5, v5, v7
	v_addc_co_u32_e32 v3, vcc, v4, v3, vcc
	v_add_f32_e32 v5, v5, v6
	v_add_co_u32_e32 v30, vcc, v2, v18
	v_exp_f32_e32 v5, v5
	v_cvt_i32_f32_e32 v6, v7
	v_addc_co_u32_e32 v31, vcc, v3, v19, vcc
	v_lshlrev_b64 v[2:3], 2, v[36:37]
	v_add_co_u32_e32 v2, vcc, s0, v2
	v_addc_co_u32_e32 v3, vcc, v4, v3, vcc
	v_add_co_u32_e32 v18, vcc, v2, v18
	v_ldexp_f32 v15, v5, v6
	v_addc_co_u32_e32 v19, vcc, v3, v19, vcc
	global_load_dwordx4 v[2:5], v[26:27], off
	global_load_dwordx4 v[6:9], v[28:29], off
	global_load_dwordx4 v[10:13], v[30:31], off
	global_load_dwordx4 v[34:37], v[18:19], off
	v_cmp_ngt_f32_e32 vcc, s2, v14
	v_cndmask_b32_e32 v15, 0, v15, vcc
	v_cmp_nlt_f32_e32 vcc, s3, v14
	v_cndmask_b32_e32 v26, v17, v15, vcc
	v_mul_f32_e32 v15, 0x3fb8aa3b, v22
	v_fma_f32 v18, v22, s4, -v15
	v_rndne_f32_e32 v19, v15
	v_fmac_f32_e32 v18, 0x32a5705f, v22
	v_sub_f32_e32 v15, v15, v19
	v_add_f32_e32 v15, v15, v18
	v_exp_f32_e32 v15, v15
	v_cvt_i32_f32_e32 v18, v19
	v_ldexp_f32 v14, v25, v41
	v_cmp_ngt_f32_e32 vcc, s2, v23
	v_cndmask_b32_e32 v14, 0, v14, vcc
	v_cmp_nlt_f32_e32 vcc, s3, v23
	v_pk_add_f32 v[0:1], v[0:1], v[38:39] op_sel_hi:[1,0] neg_lo:[0,1] neg_hi:[0,1]
	v_cndmask_b32_e32 v25, v17, v14, vcc
	v_ldexp_f32 v14, v15, v18
	v_mul_f32_e32 v15, 0x3fb8aa3b, v1
	v_fma_f32 v18, v1, s4, -v15
	v_rndne_f32_e32 v19, v15
	v_fmac_f32_e32 v18, 0x32a5705f, v1
	v_sub_f32_e32 v15, v15, v19
	v_add_f32_e32 v15, v15, v18
	v_exp_f32_e32 v15, v15
	v_cvt_i32_f32_e32 v18, v19
	v_cmp_ngt_f32_e32 vcc, s2, v22
	v_cndmask_b32_e32 v14, 0, v14, vcc
	v_cmp_nlt_f32_e32 vcc, s3, v22
	v_cndmask_b32_e32 v27, v17, v14, vcc
	v_ldexp_f32 v14, v15, v18
	v_mul_f32_e32 v15, 0x3fb8aa3b, v0
	v_fma_f32 v18, v0, s4, -v15
	v_rndne_f32_e32 v19, v15
	v_fmac_f32_e32 v18, 0x32a5705f, v0
	v_sub_f32_e32 v15, v15, v19
	v_sub_f32_e32 v16, v16, v38
	v_add_f32_e32 v15, v15, v18
	v_cvt_i32_f32_e32 v18, v19
	v_mul_f32_e32 v19, 0x3fb8aa3b, v16
	v_fma_f32 v22, v16, s4, -v19
	v_rndne_f32_e32 v23, v19
	v_fmac_f32_e32 v22, 0x32a5705f, v16
	v_sub_f32_e32 v19, v19, v23
	v_add_f32_e32 v19, v19, v22
	v_exp_f32_e32 v19, v19
	v_cvt_i32_f32_e32 v22, v23
	v_cmp_ngt_f32_e32 vcc, s2, v1
	v_cndmask_b32_e32 v14, 0, v14, vcc
	v_exp_f32_e32 v15, v15
	v_cmp_nlt_f32_e32 vcc, s3, v1
	v_cndmask_b32_e32 v30, v17, v14, vcc
	v_ldexp_f32 v14, v19, v22
	v_cmp_ngt_f32_e32 vcc, s2, v16
	v_cndmask_b32_e32 v14, 0, v14, vcc
	v_cmp_nlt_f32_e32 vcc, s3, v16
	s_mov_b32 s0, 0xc1a00000
	v_cndmask_b32_e32 v14, v17, v14, vcc
	v_cmp_le_f32_e32 vcc, s0, v16
	v_ldexp_f32 v1, v15, v18
	v_cndmask_b32_e32 v31, 0, v14, vcc
	v_cmp_ngt_f32_e32 vcc, s2, v0
	v_cndmask_b32_e32 v1, 0, v1, vcc
	v_cmp_nlt_f32_e32 vcc, s3, v0
	v_cvt_f16_f32_e32 v0, v20
	v_cvt_f16_f32_e32 v14, v21
	;; [unrolled: 1-line block ×5, first 2 shown]
	v_pack_b32_f16 v28, v14, v0
	s_waitcnt vmcnt(3)
	ds_write_b128 v48, v[2:5]
	s_waitcnt vmcnt(2)
	ds_write_b128 v49, v[6:9]
	;; [unrolled: 2-line block ×4, first 2 shown]
	v_add_u32_e32 v0, 0, v84
	v_lshlrev_b32_e32 v7, 1, v82
	v_lshlrev_b32_e32 v6, 1, v80
	v_add_u32_e32 v5, v0, v7
	v_pack_b32_f16 v29, v16, v15
	s_waitcnt lgkmcnt(0)
	s_barrier
	v_add_u32_e32 v3, v0, v6
	v_add3_u32 v4, v0, v66, v64
	v_add3_u32 v8, v0, v68, v64
	s_mov_b32 s0, 0x5040100
	ds_read_u16 v9, v5
	ds_read_u16 v10, v5 offset:32
	ds_read_u16 v11, v5 offset:64
	ds_read_u16 v15, v5 offset:96
	ds_read_u16 v19, v5 offset:128
	ds_read_u16 v37, v5 offset:160
	ds_read_u16 v41, v5 offset:192
	ds_read_u16 v46, v5 offset:224
	ds_read_u16 v5, v8
	ds_read_u16 v12, v8 offset:32
	ds_read_u16 v13, v8 offset:64
	;; [unrolled: 1-line block ×7, first 2 shown]
	v_cndmask_b32_e32 v32, v17, v1, vcc
	v_pk_mul_f16 v1, v33, v107 op_sel_hi:[0,1]
	v_pk_mul_f16 v17, v33, v105 op_sel_hi:[0,1]
	s_waitcnt lgkmcnt(7)
	v_perm_b32 v5, v5, v9, s0
	ds_read_u16 v8, v3
	ds_read_u16 v23, v3 offset:32
	ds_read_u16 v34, v3 offset:64
	;; [unrolled: 1-line block ×15, first 2 shown]
	s_waitcnt lgkmcnt(7)
	v_perm_b32 v4, v3, v8, s0
	v_cvt_f32_f16_e32 v0, v1
	v_cvt_f32_f16_sdwa v1, v1 dst_sel:DWORD dst_unused:UNUSED_PAD src0_sel:WORD_1
	v_cvt_f32_f16_e32 v2, v17
	v_cvt_f32_f16_sdwa v3, v17 dst_sel:DWORD dst_unused:UNUSED_PAD src0_sel:WORD_1
	v_pk_mul_f16 v18, v33, v106 op_sel_hi:[0,1]
	v_cvt_f16_f32_e32 v14, v25
	v_mfma_f32_16x16x16f16 v[0:3], v[4:5], v[28:29], v[0:3]
	v_add_u32_e32 v4, 0, v69
	v_add_u32_e32 v6, v4, v6
	v_add3_u32 v42, v4, v66, v64
	v_add_u32_e32 v5, v4, v7
	v_add3_u32 v4, v4, v68, v64
	ds_read_u16 v7, v5
	ds_read_u16 v64, v5 offset:32
	ds_read_u16 v66, v5 offset:64
	ds_read_u16 v68, v5 offset:96
	ds_read_u16 v69, v5 offset:128
	ds_read_u16 v82, v5 offset:160
	ds_read_u16 v84, v5 offset:192
	ds_read_u16 v86, v5 offset:224
	ds_read_u16 v5, v4
	ds_read_u16 v87, v4 offset:32
	ds_read_u16 v88, v4 offset:64
	ds_read_u16 v89, v4 offset:96
	ds_read_u16 v90, v4 offset:128
	ds_read_u16 v91, v4 offset:160
	ds_read_u16 v92, v4 offset:192
	ds_read_u16 v93, v4 offset:224
	;; [unrolled: 8-line block ×3, first 2 shown]
	ds_read_u16 v6, v42 offset:272
	ds_read_u16 v101, v42 offset:304
	;; [unrolled: 1-line block ×8, first 2 shown]
	v_cvt_f16_f32_e32 v0, v0
	v_cvt_f16_f32_e32 v1, v1
	;; [unrolled: 1-line block ×7, first 2 shown]
	s_waitcnt lgkmcnt(14)
	v_perm_b32 v5, v5, v7, s0
	s_waitcnt lgkmcnt(7)
	v_perm_b32 v4, v6, v4, s0
	v_cvt_f32_f16_e32 v0, v0
	v_cvt_f32_f16_e32 v1, v1
	v_cvt_f32_f16_e32 v2, v2
	v_cvt_f32_f16_e32 v3, v3
	v_pk_mul_f16 v7, v33, v85 op_sel_hi:[0,1]
	v_pack_b32_f16 v42, v8, v14
	v_pack_b32_f16 v43, v17, v9
	v_perm_b32 v9, v12, v10, s0
	v_perm_b32 v8, v51, v23, s0
	v_mfma_f32_16x16x16f16 v[0:3], v[4:5], v[42:43], v[0:3]
	v_cvt_f32_f16_e32 v4, v18
	v_cvt_f32_f16_sdwa v5, v18 dst_sel:DWORD dst_unused:UNUSED_PAD src0_sel:WORD_1
	v_cvt_f32_f16_e32 v6, v7
	v_cvt_f32_f16_sdwa v7, v7 dst_sel:DWORD dst_unused:UNUSED_PAD src0_sel:WORD_1
	v_pk_mul_f16 v10, v33, v83 op_sel_hi:[0,1]
	v_pk_mul_f16 v14, v33, v81 op_sel_hi:[0,1]
	v_perm_b32 v13, v13, v11, s0
	v_mfma_f32_16x16x16f16 v[4:7], v[8:9], v[28:29], v[4:7]
	v_perm_b32 v9, v87, v64, s0
	s_waitcnt lgkmcnt(6)
	v_perm_b32 v8, v101, v94, s0
	v_perm_b32 v12, v52, v34, s0
	v_cvt_f32_f16_sdwa v11, v14 dst_sel:DWORD dst_unused:UNUSED_PAD src0_sel:WORD_1
	v_pk_mul_f16 v18, v33, v78 op_sel_hi:[0,1]
	v_perm_b32 v17, v16, v15, s0
	v_perm_b32 v16, v53, v35, s0
	s_nop 2
	v_cvt_f16_f32_e32 v4, v4
	v_cvt_f16_f32_e32 v5, v5
	;; [unrolled: 1-line block ×4, first 2 shown]
	v_cvt_f32_f16_e32 v4, v4
	v_cvt_f32_f16_e32 v5, v5
	;; [unrolled: 1-line block ×4, first 2 shown]
	v_cvt_f32_f16_sdwa v15, v18 dst_sel:DWORD dst_unused:UNUSED_PAD src0_sel:WORD_1
	v_pk_mul_f16 v34, v33, v76 op_sel_hi:[0,1]
	v_mfma_f32_16x16x16f16 v[4:7], v[8:9], v[42:43], v[4:7]
	v_cvt_f32_f16_e32 v8, v10
	v_cvt_f32_f16_sdwa v9, v10 dst_sel:DWORD dst_unused:UNUSED_PAD src0_sel:WORD_1
	v_cvt_f32_f16_e32 v10, v14
	v_pk_mul_f16 v14, v33, v79 op_sel_hi:[0,1]
	v_perm_b32 v23, v22, v19, s0
	v_perm_b32 v22, v54, v36, s0
	v_cvt_f32_f16_sdwa v19, v34 dst_sel:DWORD dst_unused:UNUSED_PAD src0_sel:WORD_1
	v_mfma_f32_16x16x16f16 v[8:11], v[12:13], v[28:29], v[8:11]
	v_perm_b32 v13, v88, v66, s0
	s_waitcnt lgkmcnt(5)
	v_perm_b32 v12, v102, v95, s0
	v_pk_mul_f16 v35, v33, v75 op_sel_hi:[0,1]
	v_pk_mul_f16 v51, v33, v74 op_sel_hi:[0,1]
	v_cvt_f32_f16_e32 v36, v51
	v_perm_b32 v45, v45, v41, s0
	s_waitcnt lgkmcnt(0)
	s_nop 2
	v_cvt_f16_f32_e32 v8, v8
	v_cvt_f16_f32_e32 v9, v9
	;; [unrolled: 1-line block ×4, first 2 shown]
	v_cvt_f32_f16_e32 v8, v8
	v_cvt_f32_f16_e32 v9, v9
	;; [unrolled: 1-line block ×4, first 2 shown]
	s_barrier
	s_nop 0
	v_mfma_f32_16x16x16f16 v[8:11], v[12:13], v[42:43], v[8:11]
	v_cvt_f32_f16_e32 v12, v14
	v_cvt_f32_f16_sdwa v13, v14 dst_sel:DWORD dst_unused:UNUSED_PAD src0_sel:WORD_1
	v_cvt_f32_f16_e32 v14, v18
	v_pk_mul_f16 v18, v33, v77 op_sel_hi:[0,1]
	s_nop 0
	v_mfma_f32_16x16x16f16 v[12:15], v[16:17], v[28:29], v[12:15]
	v_perm_b32 v17, v89, v68, s0
	v_perm_b32 v16, v103, v96, s0
	s_nop 7
	s_nop 0
	v_cvt_f16_f32_e32 v12, v12
	v_cvt_f16_f32_e32 v13, v13
	;; [unrolled: 1-line block ×4, first 2 shown]
	v_cvt_f32_f16_e32 v12, v12
	v_cvt_f32_f16_e32 v13, v13
	;; [unrolled: 1-line block ×4, first 2 shown]
	s_nop 1
	v_mfma_f32_16x16x16f16 v[12:15], v[16:17], v[42:43], v[12:15]
	v_cvt_f32_f16_e32 v16, v18
	v_cvt_f32_f16_sdwa v17, v18 dst_sel:DWORD dst_unused:UNUSED_PAD src0_sel:WORD_1
	v_cvt_f32_f16_e32 v18, v34
	v_cvt_f32_f16_e32 v34, v35
	v_cvt_f32_f16_sdwa v35, v35 dst_sel:DWORD dst_unused:UNUSED_PAD src0_sel:WORD_1
	v_mfma_f32_16x16x16f16 v[16:19], v[22:23], v[28:29], v[16:19]
	v_perm_b32 v23, v90, v69, s0
	v_perm_b32 v22, v104, v97, s0
	s_nop 7
	s_nop 0
	v_cvt_f16_f32_e32 v16, v16
	v_cvt_f16_f32_e32 v17, v17
	;; [unrolled: 1-line block ×4, first 2 shown]
	v_cvt_f32_f16_e32 v16, v16
	v_cvt_f32_f16_e32 v17, v17
	;; [unrolled: 1-line block ×4, first 2 shown]
	s_nop 1
	v_mfma_f32_16x16x16f16 v[16:19], v[22:23], v[42:43], v[16:19]
	v_perm_b32 v23, v44, v37, s0
	v_perm_b32 v22, v55, v48, s0
	v_cvt_f32_f16_sdwa v37, v51 dst_sel:DWORD dst_unused:UNUSED_PAD src0_sel:WORD_1
	v_pk_mul_f16 v44, v33, v73 op_sel_hi:[0,1]
	v_add_f32_e32 v48, v21, v20
	v_pk_mul_f16 v51, v33, v72 op_sel_hi:[0,1]
	v_add_f32_e32 v26, v26, v48
	v_mfma_f32_16x16x16f16 v[34:37], v[22:23], v[28:29], v[34:37]
	v_add_f32_e32 v24, v24, v26
	v_add_f32_e32 v24, v27, v24
	;; [unrolled: 1-line block ×5, first 2 shown]
	v_fmac_f32_e32 v41, v56, v31
	v_perm_b32 v32, v107, v100, s0
	s_nop 3
	v_cvt_f16_f32_e32 v22, v34
	v_cvt_f16_f32_e32 v23, v35
	v_cvt_f16_f32_e32 v36, v36
	v_cvt_f16_f32_e32 v37, v37
	v_cvt_f32_f16_e32 v34, v22
	v_cvt_f32_f16_e32 v35, v23
	v_perm_b32 v23, v91, v82, s0
	v_perm_b32 v22, v105, v98, s0
	v_cvt_f32_f16_e32 v36, v36
	v_cvt_f32_f16_e32 v37, v37
	s_nop 1
	v_mfma_f32_16x16x16f16 v[20:23], v[22:23], v[42:43], v[34:37]
	s_nop 6
	v_cvt_f32_f16_e32 v34, v44
	v_cvt_f32_f16_sdwa v35, v44 dst_sel:DWORD dst_unused:UNUSED_PAD src0_sel:WORD_1
	v_perm_b32 v44, v57, v49, s0
	v_cvt_f32_f16_e32 v36, v51
	v_cvt_f32_f16_sdwa v37, v51 dst_sel:DWORD dst_unused:UNUSED_PAD src0_sel:WORD_1
	s_nop 1
	v_mfma_f32_16x16x16f16 v[34:37], v[44:45], v[28:29], v[34:37]
	v_pk_mul_f16 v44, v33, v71 op_sel_hi:[0,1]
	v_pk_mul_f16 v33, v33, v70 op_sel_hi:[0,1]
	v_perm_b32 v45, v47, v46, s0
	s_nop 7
	v_cvt_f16_f32_e32 v26, v34
	v_cvt_f16_f32_e32 v27, v35
	;; [unrolled: 1-line block ×4, first 2 shown]
	v_cvt_f32_f16_e32 v34, v26
	v_cvt_f32_f16_e32 v35, v27
	v_perm_b32 v27, v92, v84, s0
	v_perm_b32 v26, v106, v99, s0
	v_cvt_f32_f16_e32 v36, v36
	v_cvt_f32_f16_e32 v37, v37
	s_nop 1
	v_mfma_f32_16x16x16f16 v[24:27], v[26:27], v[42:43], v[34:37]
	s_nop 6
	v_cvt_f32_f16_e32 v34, v44
	v_cvt_f32_f16_sdwa v35, v44 dst_sel:DWORD dst_unused:UNUSED_PAD src0_sel:WORD_1
	v_perm_b32 v44, v80, v50, s0
	v_cvt_f32_f16_e32 v36, v33
	v_cvt_f32_f16_sdwa v37, v33 dst_sel:DWORD dst_unused:UNUSED_PAD src0_sel:WORD_1
	v_perm_b32 v33, v93, v86, s0
	v_cmp_gt_u32_e64 s[0:1], 16, v58
	v_mfma_f32_16x16x16f16 v[28:31], v[44:45], v[28:29], v[34:37]
	s_nop 6
	ds_bpermute_b32 v34, v40, v41
	s_nop 2
	v_cvt_f16_f32_e32 v28, v28
	v_cvt_f16_f32_e32 v29, v29
	;; [unrolled: 1-line block ×4, first 2 shown]
	v_cvt_f32_f16_e32 v28, v28
	v_cvt_f32_f16_e32 v29, v29
	;; [unrolled: 1-line block ×4, first 2 shown]
	s_nop 1
	v_mfma_f32_16x16x16f16 v[28:31], v[32:33], v[42:43], v[28:31]
	s_waitcnt lgkmcnt(0)
	v_add_f32_e32 v32, v41, v34
	ds_bpermute_b32 v33, v39, v32
	s_and_saveexec_b64 s[2:3], s[0:1]
	s_cbranch_execz .LBB24_316
; %bb.315:
	s_waitcnt lgkmcnt(0)
	v_add_f32_e32 v32, v32, v33
	v_or_b32_e32 v33, v62, v58
	s_movk_i32 s4, 0x110
	v_mad_i32_i24 v33, v33, s4, 0
	ds_write2_b32 v33, v38, v32 offset0:64 offset1:65
.LBB24_316:
	s_or_b64 exec, exec, s[2:3]
	v_cmp_eq_u32_e32 vcc, 0, v67
	v_cmp_ne_u32_e64 s[2:3], 0, v67
	s_waitcnt lgkmcnt(0)
	s_barrier
	s_and_saveexec_b64 s[4:5], s[2:3]
	s_xor_b64 s[2:3], exec, s[4:5]
	s_cbranch_execz .LBB24_318
; %bb.317:
	s_barrier
	s_waitcnt lgkmcnt(0)
                                        ; implicit-def: $vgpr65
                                        ; implicit-def: $vgpr39
.LBB24_318:
	s_andn2_saveexec_b64 s[4:5], s[2:3]
	s_cbranch_execz .LBB24_324
; %bb.319:
	v_and_b32_e32 v32, 31, v58
	v_add_u32_e32 v33, v62, v32
	s_movk_i32 s2, 0x110
	v_mad_i32_i24 v32, v33, s2, 0
	ds_read_b64 v[36:37], v32 offset:256
	s_mov_b32 s2, 0x3fb8aa3b
	s_mov_b32 s6, 0x42b17218
	s_waitcnt lgkmcnt(0)
	s_barrier
	ds_bpermute_b32 v32, v39, v36
	v_max_f32_e32 v34, v36, v36
	s_waitcnt lgkmcnt(0)
	v_max_f32_e32 v32, v32, v32
	v_max_f32_e32 v32, v34, v32
	v_sub_f32_e32 v34, v36, v32
	v_mul_f32_e32 v35, 0x3fb8aa3b, v34
	v_fma_f32 v36, v34, s2, -v35
	v_rndne_f32_e32 v38, v35
	v_fmac_f32_e32 v36, 0x32a5705f, v34
	v_sub_f32_e32 v35, v35, v38
	v_add_f32_e32 v35, v35, v36
	v_cvt_i32_f32_e32 v38, v38
	v_exp_f32_e32 v35, v35
	s_mov_b32 s2, 0xc2ce8ed0
	v_cmp_ngt_f32_e64 s[2:3], s2, v34
	v_mov_b32_e32 v36, 0x7f800000
	v_ldexp_f32 v35, v35, v38
	v_cndmask_b32_e64 v35, 0, v35, s[2:3]
	v_cmp_nlt_f32_e64 s[2:3], s6, v34
	v_cndmask_b32_e64 v34, v36, v35, s[2:3]
	v_mul_f32_e32 v35, v37, v34
	ds_bpermute_b32 v35, v39, v35
	v_cmp_gt_u32_e64 s[2:3], 32, v58
	s_waitcnt lgkmcnt(0)
	v_fmac_f32_e32 v35, v37, v34
	s_and_saveexec_b64 s[8:9], s[2:3]
	s_cbranch_execz .LBB24_321
; %bb.320:
	v_mul_i32_i24_e32 v33, 0x110, v33
	v_add_u32_e32 v33, 0, v33
	ds_write_b64 v33, v[34:35] offset:256
.LBB24_321:
	s_or_b64 exec, exec, s[8:9]
	s_and_saveexec_b64 s[2:3], s[0:1]
	s_cbranch_execz .LBB24_323
; %bb.322:
	s_add_i32 s0, s43, s49
	s_lshl_b32 s0, s0, 5
	s_mov_b32 s1, 0
	s_lshl_b64 s[0:1], s[0:1], 3
	s_add_u32 s0, s26, s0
	v_or_b32_e32 v33, v65, v58
	s_addc_u32 s1, s27, s1
	v_lshlrev_b32_e32 v34, 3, v33
	v_mov_b32_e32 v33, v35
	global_store_dwordx2 v34, v[32:33], s[0:1]
.LBB24_323:
	s_or_b64 exec, exec, s[2:3]
.LBB24_324:
	s_or_b64 exec, exec, s[4:5]
	v_cvt_f16_f32_e32 v0, v0
	v_cvt_f16_f32_e32 v1, v1
	v_cvt_f16_f32_e32 v2, v2
	v_cvt_f16_f32_e32 v3, v3
	v_cvt_f16_f32_e32 v4, v4
	v_cvt_f16_f32_e32 v6, v6
	v_cvt_f16_f32_e32 v7, v7
	v_cvt_f16_f32_e32 v5, v5
	v_pack_b32_f16 v2, v2, v3
	v_pack_b32_f16 v0, v0, v1
	v_pack_b32_f16 v1, v6, v7
	v_pack_b32_f16 v3, v4, v5
	v_cvt_f16_f32_e32 v4, v8
	v_cvt_f16_f32_e32 v5, v9
	v_cvt_f16_f32_e32 v6, v10
	v_cvt_f16_f32_e32 v7, v11
	v_cvt_f16_f32_e32 v8, v12
	v_cvt_f16_f32_e32 v9, v14
	v_cvt_f16_f32_e32 v10, v15
	v_cvt_f16_f32_e32 v11, v13
	v_pack_b32_f16 v6, v6, v7
	v_pack_b32_f16 v4, v4, v5
	v_pack_b32_f16 v5, v9, v10
	v_pack_b32_f16 v7, v8, v11
	;; [unrolled: 12-line block ×3, first 2 shown]
	v_cvt_f16_f32_e32 v14, v26
	v_cvt_f16_f32_e32 v15, v27
	;; [unrolled: 1-line block ×8, first 2 shown]
	v_pack_b32_f16 v14, v14, v15
	v_pack_b32_f16 v15, v16, v19
	v_or_b32_e32 v16, v62, v59
	s_movk_i32 s0, 0x44
	v_mad_i32_i24 v16, v16, s0, v60
	s_mov_b32 s3, 0
	v_lshl_add_u32 v16, v16, 2, 0
	v_pack_b32_f16 v12, v12, v13
	v_pack_b32_f16 v13, v17, v18
	ds_write2_b32 v16, v0, v2 offset1:1
	ds_write2_b32 v16, v3, v1 offset0:8 offset1:9
	ds_write2_b32 v16, v4, v6 offset0:16 offset1:17
	;; [unrolled: 1-line block ×7, first 2 shown]
	s_waitcnt lgkmcnt(0)
	s_barrier
	s_and_saveexec_b64 s[0:1], vcc
	s_cbranch_execz .LBB24_326
; %bb.325:
	s_lshl_b32 s2, s43, 6
	s_lshl_b64 s[4:5], s[2:3], 3
	s_add_u32 s6, s26, s4
	v_bfe_u32 v8, v63, 1, 4
	s_movk_i32 s4, 0x3e0
	v_and_or_b32 v0, v63, s4, v8
	s_movk_i32 s4, 0x110
	v_mad_u32_u24 v2, v0, s4, 0
	v_lshlrev_b32_e32 v9, 2, v58
	v_add_u32_e32 v0, v2, v9
	ds_read2st64_b32 v[0:1], v0 offset1:17
	ds_read2st64_b32 v[2:3], v2 offset0:1 offset1:18
	s_addc_u32 s5, s27, s5
	s_lshl_b32 s2, s49, 11
	s_lshl_b64 s[2:3], s[2:3], 3
	s_waitcnt lgkmcnt(1)
	v_cvt_f32_f16_e32 v4, v0
	v_cvt_f32_f16_sdwa v5, v0 dst_sel:DWORD dst_unused:UNUSED_PAD src0_sel:WORD_1
	v_cvt_f32_f16_e32 v0, v1
	v_cvt_f32_f16_sdwa v1, v1 dst_sel:DWORD dst_unused:UNUSED_PAD src0_sel:WORD_1
	s_add_u32 s2, s6, s2
	s_waitcnt lgkmcnt(0)
	v_pk_fma_f32 v[4:5], v[2:3], v[4:5], 0 op_sel_hi:[0,1,0]
	v_mov_b32_e32 v2, v3
	v_pk_fma_f32 v[0:1], v[2:3], v[0:1], v[4:5] op_sel_hi:[0,1,1]
	v_add_u32_e32 v4, 2, v61
	s_addc_u32 s3, s5, s3
	v_lshlrev_b32_e32 v2, 1, v4
	v_and_b32_e32 v3, 15, v4
	s_movk_i32 s5, 0x7e0
	v_and_or_b32 v2, v2, s5, v3
	v_mad_u32_u24 v5, v2, s4, 0
	v_add_u32_e32 v2, v5, v9
	v_lshlrev_b32_e32 v6, 5, v63
	ds_read2st64_b32 v[2:3], v2 offset1:17
	v_add_lshl_u32 v6, v6, v58, 3
	v_add_u32_e32 v11, 4, v61
	global_store_dwordx2 v6, v[0:1], s[2:3]
	v_lshlrev_b32_e32 v6, 1, v11
	v_and_b32_e32 v7, 15, v11
	v_and_or_b32 v6, v6, s5, v7
	v_lshlrev_b32_e32 v4, 6, v4
	ds_read2st64_b32 v[0:1], v5 offset0:1 offset1:18
	v_mad_u32_u24 v12, v6, s4, 0
	v_add_lshl_u32 v10, v4, v58, 3
	s_waitcnt lgkmcnt(1)
	v_cvt_f32_f16_e32 v4, v2
	v_cvt_f32_f16_sdwa v5, v2 dst_sel:DWORD dst_unused:UNUSED_PAD src0_sel:WORD_1
	v_add_u32_e32 v6, v12, v9
	v_cvt_f32_f16_e32 v2, v3
	v_cvt_f32_f16_sdwa v3, v3 dst_sel:DWORD dst_unused:UNUSED_PAD src0_sel:WORD_1
	ds_read2st64_b32 v[6:7], v6 offset1:17
	s_waitcnt lgkmcnt(1)
	v_pk_fma_f32 v[4:5], v[0:1], v[4:5], 0 op_sel_hi:[0,1,0]
	v_mov_b32_e32 v0, v1
	v_pk_fma_f32 v[0:1], v[0:1], v[2:3], v[4:5] op_sel_hi:[0,1,1]
	ds_read2st64_b32 v[2:3], v12 offset0:1 offset1:18
	s_waitcnt lgkmcnt(1)
	v_cvt_f32_f16_e32 v4, v6
	v_cvt_f32_f16_sdwa v5, v6 dst_sel:DWORD dst_unused:UNUSED_PAD src0_sel:WORD_1
	global_store_dwordx2 v10, v[0:1], s[2:3]
	v_lshlrev_b32_e32 v0, 6, v11
	v_add_lshl_u32 v10, v0, v58, 3
	s_waitcnt lgkmcnt(0)
	v_pk_fma_f32 v[0:1], v[2:3], v[4:5], 0 op_sel_hi:[0,1,0]
	v_mov_b32_e32 v2, v3
	v_add_u32_e32 v3, 6, v61
	v_cvt_f32_f16_e32 v4, v7
	v_cvt_f32_f16_sdwa v5, v7 dst_sel:DWORD dst_unused:UNUSED_PAD src0_sel:WORD_1
	v_lshlrev_b32_e32 v6, 1, v3
	v_and_b32_e32 v7, 15, v3
	v_and_or_b32 v6, v6, s5, v7
	v_mad_u32_u24 v11, v6, s4, 0
	v_add_u32_e32 v6, v11, v9
	ds_read2st64_b32 v[6:7], v6 offset1:17
	v_pk_fma_f32 v[0:1], v[2:3], v[4:5], v[0:1] op_sel_hi:[0,1,1]
	global_store_dwordx2 v10, v[0:1], s[2:3]
	ds_read2st64_b32 v[0:1], v11 offset0:1 offset1:18
	v_lshlrev_b32_e32 v10, 6, v3
	s_waitcnt lgkmcnt(1)
	v_cvt_f32_f16_e32 v2, v6
	v_cvt_f32_f16_sdwa v3, v6 dst_sel:DWORD dst_unused:UNUSED_PAD src0_sel:WORD_1
	v_cvt_f32_f16_e32 v4, v7
	v_cvt_f32_f16_sdwa v5, v7 dst_sel:DWORD dst_unused:UNUSED_PAD src0_sel:WORD_1
	v_add_lshl_u32 v6, v10, v58, 3
	s_waitcnt lgkmcnt(0)
	v_pk_fma_f32 v[2:3], v[0:1], v[2:3], 0 op_sel_hi:[0,1,0]
	v_mov_b32_e32 v0, v1
	v_pk_fma_f32 v[0:1], v[0:1], v[4:5], v[2:3] op_sel_hi:[0,1,1]
	v_add_u32_e32 v4, 8, v61
	v_lshlrev_b32_e32 v2, 1, v4
	v_and_b32_e32 v3, 15, v4
	v_and_or_b32 v2, v2, s5, v3
	v_mad_u32_u24 v5, v2, s4, 0
	v_add_u32_e32 v2, v5, v9
	ds_read2st64_b32 v[2:3], v2 offset1:17
	v_add_u32_e32 v11, 10, v61
	global_store_dwordx2 v6, v[0:1], s[2:3]
	v_lshlrev_b32_e32 v6, 1, v11
	v_and_b32_e32 v7, 15, v11
	v_and_or_b32 v6, v6, s5, v7
	v_lshlrev_b32_e32 v4, 6, v4
	ds_read2st64_b32 v[0:1], v5 offset0:1 offset1:18
	v_mad_u32_u24 v12, v6, s4, 0
	v_add_lshl_u32 v10, v4, v58, 3
	s_waitcnt lgkmcnt(1)
	v_cvt_f32_f16_e32 v4, v2
	v_cvt_f32_f16_sdwa v5, v2 dst_sel:DWORD dst_unused:UNUSED_PAD src0_sel:WORD_1
	v_add_u32_e32 v6, v12, v9
	v_cvt_f32_f16_e32 v2, v3
	v_cvt_f32_f16_sdwa v3, v3 dst_sel:DWORD dst_unused:UNUSED_PAD src0_sel:WORD_1
	ds_read2st64_b32 v[6:7], v6 offset1:17
	s_waitcnt lgkmcnt(1)
	v_pk_fma_f32 v[4:5], v[0:1], v[4:5], 0 op_sel_hi:[0,1,0]
	v_mov_b32_e32 v0, v1
	v_pk_fma_f32 v[0:1], v[0:1], v[2:3], v[4:5] op_sel_hi:[0,1,1]
	ds_read2st64_b32 v[2:3], v12 offset0:1 offset1:18
	s_waitcnt lgkmcnt(1)
	v_cvt_f32_f16_e32 v4, v6
	v_cvt_f32_f16_sdwa v5, v6 dst_sel:DWORD dst_unused:UNUSED_PAD src0_sel:WORD_1
	global_store_dwordx2 v10, v[0:1], s[2:3]
	v_lshlrev_b32_e32 v0, 6, v11
	v_add_lshl_u32 v10, v0, v58, 3
	s_waitcnt lgkmcnt(0)
	v_pk_fma_f32 v[0:1], v[2:3], v[4:5], 0 op_sel_hi:[0,1,0]
	v_mov_b32_e32 v2, v3
	v_add_u32_e32 v3, 12, v61
	v_cvt_f32_f16_e32 v4, v7
	v_cvt_f32_f16_sdwa v5, v7 dst_sel:DWORD dst_unused:UNUSED_PAD src0_sel:WORD_1
	v_lshlrev_b32_e32 v6, 1, v3
	v_and_b32_e32 v7, 15, v3
	v_and_or_b32 v6, v6, s5, v7
	v_mad_u32_u24 v11, v6, s4, 0
	v_add_u32_e32 v6, v11, v9
	ds_read2st64_b32 v[6:7], v6 offset1:17
	v_pk_fma_f32 v[0:1], v[2:3], v[4:5], v[0:1] op_sel_hi:[0,1,1]
	global_store_dwordx2 v10, v[0:1], s[2:3]
	ds_read2st64_b32 v[0:1], v11 offset0:1 offset1:18
	v_lshlrev_b32_e32 v10, 6, v3
	s_waitcnt lgkmcnt(1)
	v_cvt_f32_f16_e32 v2, v6
	v_cvt_f32_f16_sdwa v3, v6 dst_sel:DWORD dst_unused:UNUSED_PAD src0_sel:WORD_1
	v_cvt_f32_f16_e32 v4, v7
	v_cvt_f32_f16_sdwa v5, v7 dst_sel:DWORD dst_unused:UNUSED_PAD src0_sel:WORD_1
	v_add_lshl_u32 v6, v10, v58, 3
	s_waitcnt lgkmcnt(0)
	v_pk_fma_f32 v[2:3], v[0:1], v[2:3], 0 op_sel_hi:[0,1,0]
	v_mov_b32_e32 v0, v1
	v_pk_fma_f32 v[0:1], v[0:1], v[4:5], v[2:3] op_sel_hi:[0,1,1]
	v_add_u32_e32 v4, 14, v61
	v_lshlrev_b32_e32 v2, 1, v4
	v_and_b32_e32 v3, 15, v4
	v_and_or_b32 v2, v2, s5, v3
	v_mad_u32_u24 v5, v2, s4, 0
	v_add_u32_e32 v2, v5, v9
	ds_read2st64_b32 v[2:3], v2 offset1:17
	v_add_u32_e32 v11, 16, v61
	global_store_dwordx2 v6, v[0:1], s[2:3]
	v_lshlrev_b32_e32 v6, 1, v11
	v_and_or_b32 v6, v6, s5, v8
	v_lshlrev_b32_e32 v4, 6, v4
	ds_read2st64_b32 v[0:1], v5 offset0:1 offset1:18
	v_mad_u32_u24 v8, v6, s4, 0
	v_add_lshl_u32 v10, v4, v58, 3
	s_waitcnt lgkmcnt(1)
	v_cvt_f32_f16_e32 v4, v2
	v_cvt_f32_f16_sdwa v5, v2 dst_sel:DWORD dst_unused:UNUSED_PAD src0_sel:WORD_1
	v_add_u32_e32 v6, v8, v9
	v_cvt_f32_f16_e32 v2, v3
	v_cvt_f32_f16_sdwa v3, v3 dst_sel:DWORD dst_unused:UNUSED_PAD src0_sel:WORD_1
	ds_read2st64_b32 v[6:7], v6 offset1:17
	s_waitcnt lgkmcnt(1)
	v_pk_fma_f32 v[4:5], v[0:1], v[4:5], 0 op_sel_hi:[0,1,0]
	v_mov_b32_e32 v0, v1
	v_pk_fma_f32 v[0:1], v[0:1], v[2:3], v[4:5] op_sel_hi:[0,1,1]
	ds_read2st64_b32 v[2:3], v8 offset0:1 offset1:18
	s_waitcnt lgkmcnt(1)
	v_cvt_f32_f16_e32 v4, v6
	v_cvt_f32_f16_sdwa v5, v6 dst_sel:DWORD dst_unused:UNUSED_PAD src0_sel:WORD_1
	global_store_dwordx2 v10, v[0:1], s[2:3]
	v_lshlrev_b32_e32 v0, 6, v11
	v_add_lshl_u32 v8, v0, v58, 3
	s_waitcnt lgkmcnt(0)
	v_pk_fma_f32 v[0:1], v[2:3], v[4:5], 0 op_sel_hi:[0,1,0]
	v_mov_b32_e32 v2, v3
	v_add_u32_e32 v3, 18, v61
	v_cvt_f32_f16_e32 v4, v7
	v_cvt_f32_f16_sdwa v5, v7 dst_sel:DWORD dst_unused:UNUSED_PAD src0_sel:WORD_1
	v_lshlrev_b32_e32 v6, 1, v3
	v_and_b32_e32 v7, 15, v3
	v_and_or_b32 v6, v6, s5, v7
	v_mad_u32_u24 v10, v6, s4, 0
	v_add_u32_e32 v6, v10, v9
	ds_read2st64_b32 v[6:7], v6 offset1:17
	v_pk_fma_f32 v[0:1], v[2:3], v[4:5], v[0:1] op_sel_hi:[0,1,1]
	global_store_dwordx2 v8, v[0:1], s[2:3]
	ds_read2st64_b32 v[0:1], v10 offset0:1 offset1:18
	v_lshlrev_b32_e32 v8, 6, v3
	s_waitcnt lgkmcnt(1)
	v_cvt_f32_f16_e32 v2, v6
	v_cvt_f32_f16_sdwa v3, v6 dst_sel:DWORD dst_unused:UNUSED_PAD src0_sel:WORD_1
	v_cvt_f32_f16_e32 v4, v7
	v_cvt_f32_f16_sdwa v5, v7 dst_sel:DWORD dst_unused:UNUSED_PAD src0_sel:WORD_1
	v_add_lshl_u32 v6, v8, v58, 3
	s_waitcnt lgkmcnt(0)
	v_pk_fma_f32 v[2:3], v[0:1], v[2:3], 0 op_sel_hi:[0,1,0]
	v_mov_b32_e32 v0, v1
	v_pk_fma_f32 v[0:1], v[0:1], v[4:5], v[2:3] op_sel_hi:[0,1,1]
	v_add_u32_e32 v4, 20, v61
	v_lshlrev_b32_e32 v2, 1, v4
	v_and_b32_e32 v3, 15, v4
	v_and_or_b32 v2, v2, s5, v3
	v_mad_u32_u24 v5, v2, s4, 0
	v_add_u32_e32 v2, v5, v9
	ds_read2st64_b32 v[2:3], v2 offset1:17
	v_add_u32_e32 v10, 22, v61
	global_store_dwordx2 v6, v[0:1], s[2:3]
	v_lshlrev_b32_e32 v6, 1, v10
	v_and_b32_e32 v7, 15, v10
	v_and_or_b32 v6, v6, s5, v7
	v_lshlrev_b32_e32 v4, 6, v4
	ds_read2st64_b32 v[0:1], v5 offset0:1 offset1:18
	v_mad_u32_u24 v11, v6, s4, 0
	v_add_lshl_u32 v8, v4, v58, 3
	s_waitcnt lgkmcnt(1)
	v_cvt_f32_f16_e32 v4, v2
	v_cvt_f32_f16_sdwa v5, v2 dst_sel:DWORD dst_unused:UNUSED_PAD src0_sel:WORD_1
	v_add_u32_e32 v6, v11, v9
	v_cvt_f32_f16_e32 v2, v3
	v_cvt_f32_f16_sdwa v3, v3 dst_sel:DWORD dst_unused:UNUSED_PAD src0_sel:WORD_1
	ds_read2st64_b32 v[6:7], v6 offset1:17
	s_waitcnt lgkmcnt(1)
	v_pk_fma_f32 v[4:5], v[0:1], v[4:5], 0 op_sel_hi:[0,1,0]
	v_mov_b32_e32 v0, v1
	v_pk_fma_f32 v[0:1], v[0:1], v[2:3], v[4:5] op_sel_hi:[0,1,1]
	ds_read2st64_b32 v[2:3], v11 offset0:1 offset1:18
	s_waitcnt lgkmcnt(1)
	v_cvt_f32_f16_e32 v4, v6
	v_cvt_f32_f16_sdwa v5, v6 dst_sel:DWORD dst_unused:UNUSED_PAD src0_sel:WORD_1
	global_store_dwordx2 v8, v[0:1], s[2:3]
	v_lshlrev_b32_e32 v0, 6, v10
	v_add_lshl_u32 v8, v0, v58, 3
	s_waitcnt lgkmcnt(0)
	v_pk_fma_f32 v[0:1], v[2:3], v[4:5], 0 op_sel_hi:[0,1,0]
	v_mov_b32_e32 v2, v3
	v_add_u32_e32 v3, 24, v61
	v_cvt_f32_f16_e32 v4, v7
	v_cvt_f32_f16_sdwa v5, v7 dst_sel:DWORD dst_unused:UNUSED_PAD src0_sel:WORD_1
	v_lshlrev_b32_e32 v6, 1, v3
	v_and_b32_e32 v7, 15, v3
	v_and_or_b32 v6, v6, s5, v7
	v_mad_u32_u24 v10, v6, s4, 0
	v_add_u32_e32 v6, v10, v9
	ds_read2st64_b32 v[6:7], v6 offset1:17
	v_pk_fma_f32 v[0:1], v[2:3], v[4:5], v[0:1] op_sel_hi:[0,1,1]
	global_store_dwordx2 v8, v[0:1], s[2:3]
	ds_read2st64_b32 v[0:1], v10 offset0:1 offset1:18
	v_lshlrev_b32_e32 v8, 6, v3
	s_waitcnt lgkmcnt(1)
	v_cvt_f32_f16_e32 v2, v6
	v_cvt_f32_f16_sdwa v3, v6 dst_sel:DWORD dst_unused:UNUSED_PAD src0_sel:WORD_1
	v_cvt_f32_f16_e32 v4, v7
	v_cvt_f32_f16_sdwa v5, v7 dst_sel:DWORD dst_unused:UNUSED_PAD src0_sel:WORD_1
	v_add_lshl_u32 v6, v8, v58, 3
	s_waitcnt lgkmcnt(0)
	v_pk_fma_f32 v[2:3], v[0:1], v[2:3], 0 op_sel_hi:[0,1,0]
	v_mov_b32_e32 v0, v1
	v_pk_fma_f32 v[0:1], v[0:1], v[4:5], v[2:3] op_sel_hi:[0,1,1]
	v_add_u32_e32 v4, 26, v61
	v_lshlrev_b32_e32 v2, 1, v4
	v_and_b32_e32 v3, 15, v4
	v_and_or_b32 v2, v2, s5, v3
	v_mad_u32_u24 v5, v2, s4, 0
	v_add_u32_e32 v2, v5, v9
	ds_read2st64_b32 v[2:3], v2 offset1:17
	v_add_u32_e32 v10, 28, v61
	global_store_dwordx2 v6, v[0:1], s[2:3]
	v_lshlrev_b32_e32 v6, 1, v10
	v_and_b32_e32 v7, 15, v10
	v_and_or_b32 v6, v6, s5, v7
	v_lshlrev_b32_e32 v4, 6, v4
	ds_read2st64_b32 v[0:1], v5 offset0:1 offset1:18
	v_mad_u32_u24 v11, v6, s4, 0
	v_add_lshl_u32 v8, v4, v58, 3
	s_waitcnt lgkmcnt(1)
	v_cvt_f32_f16_e32 v4, v2
	v_cvt_f32_f16_sdwa v5, v2 dst_sel:DWORD dst_unused:UNUSED_PAD src0_sel:WORD_1
	v_add_u32_e32 v6, v11, v9
	v_cvt_f32_f16_e32 v2, v3
	v_cvt_f32_f16_sdwa v3, v3 dst_sel:DWORD dst_unused:UNUSED_PAD src0_sel:WORD_1
	ds_read2st64_b32 v[6:7], v6 offset1:17
	s_waitcnt lgkmcnt(1)
	v_pk_fma_f32 v[4:5], v[0:1], v[4:5], 0 op_sel_hi:[0,1,0]
	v_mov_b32_e32 v0, v1
	v_pk_fma_f32 v[0:1], v[0:1], v[2:3], v[4:5] op_sel_hi:[0,1,1]
	ds_read2st64_b32 v[2:3], v11 offset0:1 offset1:18
	s_waitcnt lgkmcnt(1)
	v_cvt_f32_f16_e32 v4, v6
	v_cvt_f32_f16_sdwa v5, v6 dst_sel:DWORD dst_unused:UNUSED_PAD src0_sel:WORD_1
	global_store_dwordx2 v8, v[0:1], s[2:3]
	v_lshlrev_b32_e32 v0, 6, v10
	v_add_lshl_u32 v8, v0, v58, 3
	s_waitcnt lgkmcnt(0)
	v_pk_fma_f32 v[0:1], v[2:3], v[4:5], 0 op_sel_hi:[0,1,0]
	v_mov_b32_e32 v2, v3
	v_add_u32_e32 v3, 30, v61
	v_cvt_f32_f16_e32 v4, v7
	v_cvt_f32_f16_sdwa v5, v7 dst_sel:DWORD dst_unused:UNUSED_PAD src0_sel:WORD_1
	v_lshlrev_b32_e32 v6, 1, v3
	v_and_b32_e32 v7, 15, v3
	v_and_or_b32 v6, v6, s5, v7
	v_mad_u32_u24 v10, v6, s4, 0
	v_add_u32_e32 v6, v10, v9
	ds_read2st64_b32 v[6:7], v6 offset1:17
	v_pk_fma_f32 v[0:1], v[2:3], v[4:5], v[0:1] op_sel_hi:[0,1,1]
	global_store_dwordx2 v8, v[0:1], s[2:3]
	ds_read2st64_b32 v[0:1], v10 offset0:1 offset1:18
	v_lshlrev_b32_e32 v8, 6, v3
	s_waitcnt lgkmcnt(1)
	v_cvt_f32_f16_e32 v2, v6
	v_cvt_f32_f16_sdwa v3, v6 dst_sel:DWORD dst_unused:UNUSED_PAD src0_sel:WORD_1
	v_cvt_f32_f16_e32 v4, v7
	v_cvt_f32_f16_sdwa v5, v7 dst_sel:DWORD dst_unused:UNUSED_PAD src0_sel:WORD_1
	v_add_lshl_u32 v6, v8, v58, 3
	s_waitcnt lgkmcnt(0)
	v_pk_fma_f32 v[2:3], v[0:1], v[2:3], 0 op_sel_hi:[0,1,0]
	v_mov_b32_e32 v0, v1
	v_pk_fma_f32 v[0:1], v[0:1], v[4:5], v[2:3] op_sel_hi:[0,1,1]
	global_store_dwordx2 v6, v[0:1], s[2:3]
.LBB24_326:
	s_or_b64 exec, exec, s[0:1]
	s_barrier
	s_endpgm
	.section	.rodata,"a",@progbits
	.p2align	6, 0x0
	.amdhsa_kernel _ZL18flash_attn_ext_f16ILi128ELi128ELi16ELi2ELb0ELb0EEvPKcS1_S1_S1_S1_PKiPfP15HIP_vector_typeIfLj2EEffffjfiS5_IjLj3EEiiiiiiiiiiiliiliiiiil
		.amdhsa_group_segment_fixed_size 0
		.amdhsa_private_segment_fixed_size 0
		.amdhsa_kernarg_size 464
		.amdhsa_user_sgpr_count 6
		.amdhsa_user_sgpr_private_segment_buffer 1
		.amdhsa_user_sgpr_dispatch_ptr 0
		.amdhsa_user_sgpr_queue_ptr 0
		.amdhsa_user_sgpr_kernarg_segment_ptr 1
		.amdhsa_user_sgpr_dispatch_id 0
		.amdhsa_user_sgpr_flat_scratch_init 0
		.amdhsa_user_sgpr_kernarg_preload_length 0
		.amdhsa_user_sgpr_kernarg_preload_offset 0
		.amdhsa_user_sgpr_private_segment_size 0
		.amdhsa_uses_dynamic_stack 0
		.amdhsa_system_sgpr_private_segment_wavefront_offset 0
		.amdhsa_system_sgpr_workgroup_id_x 1
		.amdhsa_system_sgpr_workgroup_id_y 0
		.amdhsa_system_sgpr_workgroup_id_z 0
		.amdhsa_system_sgpr_workgroup_info 0
		.amdhsa_system_vgpr_workitem_id 1
		.amdhsa_next_free_vgpr 256
		.amdhsa_next_free_sgpr 96
		.amdhsa_accum_offset 256
		.amdhsa_reserve_vcc 1
		.amdhsa_reserve_flat_scratch 0
		.amdhsa_float_round_mode_32 0
		.amdhsa_float_round_mode_16_64 0
		.amdhsa_float_denorm_mode_32 3
		.amdhsa_float_denorm_mode_16_64 3
		.amdhsa_dx10_clamp 1
		.amdhsa_ieee_mode 1
		.amdhsa_fp16_overflow 0
		.amdhsa_tg_split 0
		.amdhsa_exception_fp_ieee_invalid_op 0
		.amdhsa_exception_fp_denorm_src 0
		.amdhsa_exception_fp_ieee_div_zero 0
		.amdhsa_exception_fp_ieee_overflow 0
		.amdhsa_exception_fp_ieee_underflow 0
		.amdhsa_exception_fp_ieee_inexact 0
		.amdhsa_exception_int_div_zero 0
	.end_amdhsa_kernel
	.section	.text._ZL18flash_attn_ext_f16ILi128ELi128ELi16ELi2ELb0ELb0EEvPKcS1_S1_S1_S1_PKiPfP15HIP_vector_typeIfLj2EEffffjfiS5_IjLj3EEiiiiiiiiiiiliiliiiiil,"axG",@progbits,_ZL18flash_attn_ext_f16ILi128ELi128ELi16ELi2ELb0ELb0EEvPKcS1_S1_S1_S1_PKiPfP15HIP_vector_typeIfLj2EEffffjfiS5_IjLj3EEiiiiiiiiiiiliiliiiiil,comdat
.Lfunc_end24:
	.size	_ZL18flash_attn_ext_f16ILi128ELi128ELi16ELi2ELb0ELb0EEvPKcS1_S1_S1_S1_PKiPfP15HIP_vector_typeIfLj2EEffffjfiS5_IjLj3EEiiiiiiiiiiiliiliiiiil, .Lfunc_end24-_ZL18flash_attn_ext_f16ILi128ELi128ELi16ELi2ELb0ELb0EEvPKcS1_S1_S1_S1_PKiPfP15HIP_vector_typeIfLj2EEffffjfiS5_IjLj3EEiiiiiiiiiiiliiliiiiil
                                        ; -- End function
	.section	.AMDGPU.csdata,"",@progbits
; Kernel info:
; codeLenInByte = 47692
; NumSgprs: 100
; NumVgprs: 256
; NumAgprs: 0
; TotalNumVgprs: 256
; ScratchSize: 0
; MemoryBound: 0
; FloatMode: 240
; IeeeMode: 1
; LDSByteSize: 0 bytes/workgroup (compile time only)
; SGPRBlocks: 12
; VGPRBlocks: 31
; NumSGPRsForWavesPerEU: 100
; NumVGPRsForWavesPerEU: 256
; AccumOffset: 256
; Occupancy: 2
; WaveLimiterHint : 0
; COMPUTE_PGM_RSRC2:SCRATCH_EN: 0
; COMPUTE_PGM_RSRC2:USER_SGPR: 6
; COMPUTE_PGM_RSRC2:TRAP_HANDLER: 0
; COMPUTE_PGM_RSRC2:TGID_X_EN: 1
; COMPUTE_PGM_RSRC2:TGID_Y_EN: 0
; COMPUTE_PGM_RSRC2:TGID_Z_EN: 0
; COMPUTE_PGM_RSRC2:TIDIG_COMP_CNT: 1
; COMPUTE_PGM_RSRC3_GFX90A:ACCUM_OFFSET: 63
; COMPUTE_PGM_RSRC3_GFX90A:TG_SPLIT: 0
	.section	.text._ZL18flash_attn_ext_f16ILi128ELi128ELi16ELi2ELb1ELb0EEvPKcS1_S1_S1_S1_PKiPfP15HIP_vector_typeIfLj2EEffffjfiS5_IjLj3EEiiiiiiiiiiiliiliiiiil,"axG",@progbits,_ZL18flash_attn_ext_f16ILi128ELi128ELi16ELi2ELb1ELb0EEvPKcS1_S1_S1_S1_PKiPfP15HIP_vector_typeIfLj2EEffffjfiS5_IjLj3EEiiiiiiiiiiiliiliiiiil,comdat
	.globl	_ZL18flash_attn_ext_f16ILi128ELi128ELi16ELi2ELb1ELb0EEvPKcS1_S1_S1_S1_PKiPfP15HIP_vector_typeIfLj2EEffffjfiS5_IjLj3EEiiiiiiiiiiiliiliiiiil ; -- Begin function _ZL18flash_attn_ext_f16ILi128ELi128ELi16ELi2ELb1ELb0EEvPKcS1_S1_S1_S1_PKiPfP15HIP_vector_typeIfLj2EEffffjfiS5_IjLj3EEiiiiiiiiiiiliiliiiiil
	.p2align	8
	.type	_ZL18flash_attn_ext_f16ILi128ELi128ELi16ELi2ELb1ELb0EEvPKcS1_S1_S1_S1_PKiPfP15HIP_vector_typeIfLj2EEffffjfiS5_IjLj3EEiiiiiiiiiiiliiliiiiil,@function
_ZL18flash_attn_ext_f16ILi128ELi128ELi16ELi2ELb1ELb0EEvPKcS1_S1_S1_S1_PKiPfP15HIP_vector_typeIfLj2EEffffjfiS5_IjLj3EEiiiiiiiiiiiliiliiiiil: ; @_ZL18flash_attn_ext_f16ILi128ELi128ELi16ELi2ELb1ELb0EEvPKcS1_S1_S1_S1_PKiPfP15HIP_vector_typeIfLj2EEffffjfiS5_IjLj3EEiiiiiiiiiiiliiliiiiil
; %bb.0:
	s_mov_b64 s[98:99], s[2:3]
	s_mov_b64 s[96:97], s[0:1]
	s_load_dwordx2 s[2:3], s[4:5], 0x80
	s_load_dwordx4 s[28:31], s[4:5], 0x64
	s_add_u32 s96, s96, s7
	s_addc_u32 s97, s97, 0
	s_mov_b32 s51, s6
	s_waitcnt lgkmcnt(0)
	s_abs_i32 s1, s3
	v_cvt_f32_u32_e32 v1, s1
	s_sub_i32 s8, 0, s1
	s_abs_i32 s7, s29
	s_xor_b32 s6, s29, s3
	v_rcp_iflag_f32_e32 v1, v1
	s_ashr_i32 s6, s6, 31
                                        ; implicit-def: $vgpr255 : SGPR spill to VGPR lane
	s_load_dword s41, s[4:5], 0xd0
	s_mov_b32 s0, 0
	v_mul_f32_e32 v1, 0x4f7ffffe, v1
	v_cvt_u32_f32_e32 v1, v1
	v_cvt_f32_ubyte0_e32 v3, 0
	v_readfirstlane_b32 s9, v1
	s_mul_i32 s8, s8, s9
	s_mul_hi_u32 s8, s9, s8
	s_add_i32 s9, s9, s8
	s_mul_hi_u32 s8, s7, s9
	s_mul_i32 s9, s8, s1
	s_sub_i32 s7, s7, s9
	s_add_i32 s10, s8, 1
	s_sub_i32 s9, s7, s1
	s_cmp_ge_u32 s7, s1
	s_cselect_b32 s8, s10, s8
	s_cselect_b32 s7, s9, s7
	s_add_i32 s9, s8, 1
	s_cmp_ge_u32 s7, s1
	s_cselect_b32 s1, s9, s8
	s_add_i32 s2, s2, 63
	s_xor_b32 s1, s1, s6
	s_ashr_i32 s7, s2, 31
	s_sub_i32 s80, s1, s6
	s_lshr_b32 s1, s7, 26
	s_add_i32 s2, s2, s1
	s_add_i32 s1, s28, 15
	s_lshr_b32 s6, s1, 4
	s_add_i32 s1, s80, 1
	s_ashr_i32 s85, s2, 6
	s_lshr_b32 s2, s1, 31
	s_add_i32 s1, s1, s2
	s_ashr_i32 s1, s1, 1
	v_writelane_b32 v255, s6, 0
	s_mul_i32 s2, s6, s85
	v_writelane_b32 v255, s2, 1
	s_mul_i32 s1, s2, s1
	;; [unrolled: 2-line block ×3, first 2 shown]
	s_mul_i32 s6, s1, s30
	s_ashr_i32 s7, s6, 31
	s_waitcnt lgkmcnt(0)
	v_cvt_f32_u32_e32 v1, s41
	v_writelane_b32 v255, s1, 3
	s_mul_i32 s1, s7, s51
	s_mul_hi_u32 s2, s6, s51
	s_add_i32 s1, s2, s1
	s_mul_i32 s8, s6, s51
	s_cmp_lg_u64 s[0:1], 0
	s_cbranch_scc0 .LBB25_2
; %bb.1:
	v_madmk_f32 v2, v3, 0x4f800000, v1
	v_rcp_f32_e32 v2, v2
	s_sub_u32 s0, 0, s41
	s_subb_u32 s9, 0, 0
	s_mov_b64 s[2:3], 0
	v_mul_f32_e32 v2, 0x5f7ffffc, v2
	v_mul_f32_e32 v4, 0x2f800000, v2
	v_trunc_f32_e32 v4, v4
	v_madmk_f32 v2, v4, 0xcf800000, v2
	v_cvt_u32_f32_e32 v4, v4
	v_cvt_u32_f32_e32 v2, v2
	v_readfirstlane_b32 s10, v4
	v_readfirstlane_b32 s11, v2
	s_mul_hi_u32 s13, s0, s11
	s_mul_i32 s14, s0, s10
	s_mul_i32 s12, s9, s11
	s_add_i32 s13, s13, s14
	s_add_i32 s13, s13, s12
	s_mul_i32 s15, s0, s11
	s_mul_hi_u32 s12, s11, s13
	s_mul_i32 s14, s11, s13
	s_mul_hi_u32 s11, s11, s15
	s_add_u32 s11, s11, s14
	s_addc_u32 s12, 0, s12
	s_mul_hi_u32 s16, s10, s15
	s_mul_i32 s15, s10, s15
	s_add_u32 s11, s11, s15
	s_mul_hi_u32 s14, s10, s13
	s_addc_u32 s11, s12, s16
	s_addc_u32 s12, s14, 0
	s_mul_i32 s13, s10, s13
	s_add_u32 s11, s11, s13
	s_addc_u32 s12, 0, s12
	v_add_co_u32_e32 v2, vcc, s11, v2
	s_cmp_lg_u64 vcc, 0
	s_addc_u32 s10, s10, s12
	v_readfirstlane_b32 s12, v2
	s_mul_i32 s11, s0, s10
	s_mul_hi_u32 s13, s0, s12
	s_add_i32 s11, s13, s11
	s_mul_i32 s9, s9, s12
	s_add_i32 s11, s11, s9
	s_mul_i32 s0, s0, s12
	s_mul_hi_u32 s13, s10, s0
	s_mul_i32 s14, s10, s0
	s_mul_i32 s16, s12, s11
	s_mul_hi_u32 s0, s12, s0
	s_mul_hi_u32 s15, s12, s11
	s_add_u32 s0, s0, s16
	s_addc_u32 s12, 0, s15
	s_add_u32 s0, s0, s14
	s_mul_hi_u32 s9, s10, s11
	s_addc_u32 s0, s12, s13
	s_addc_u32 s9, s9, 0
	s_mul_i32 s11, s10, s11
	s_add_u32 s0, s0, s11
	s_addc_u32 s9, 0, s9
	v_add_co_u32_e32 v2, vcc, s0, v2
	s_cmp_lg_u64 vcc, 0
	s_addc_u32 s9, s10, s9
	s_ashr_i32 s10, s1, 31
	s_add_u32 s0, s8, s10
	s_mov_b32 s11, s10
	s_addc_u32 s1, s1, s10
	s_xor_b64 s[0:1], s[0:1], s[10:11]
	v_readfirstlane_b32 s14, v2
	s_mul_i32 s13, s0, s9
	s_mul_hi_u32 s15, s0, s14
	s_mul_hi_u32 s12, s0, s9
	s_add_u32 s13, s15, s13
	s_addc_u32 s12, 0, s12
	s_mul_hi_u32 s16, s1, s14
	s_mul_i32 s14, s1, s14
	s_add_u32 s13, s13, s14
	s_mul_hi_u32 s15, s1, s9
	s_addc_u32 s12, s12, s16
	s_addc_u32 s13, s15, 0
	s_mul_i32 s9, s1, s9
	s_add_u32 s9, s12, s9
	s_addc_u32 s12, 0, s13
	s_add_u32 s13, s9, 1
	s_addc_u32 s14, s12, 0
	s_add_u32 s15, s9, 2
	s_mul_i32 s17, s41, s12
	s_mul_hi_u32 s18, s41, s9
	s_addc_u32 s16, s12, 0
	s_add_i32 s18, s18, s17
	s_mul_i32 s17, s41, s9
	v_mov_b32_e32 v2, s17
	v_sub_co_u32_e32 v2, vcc, s0, v2
	s_cmp_lg_u64 vcc, 0
	s_subb_u32 s0, s1, s18
	v_subrev_co_u32_e32 v4, vcc, s41, v2
	s_cmp_lg_u64 vcc, 0
	s_subb_u32 s1, s0, 0
	v_readfirstlane_b32 s17, v4
	s_cmp_ge_u32 s17, s41
	s_cselect_b32 s17, -1, 0
	s_cmp_eq_u32 s1, 0
	s_cselect_b32 s1, s17, -1
	s_cmp_lg_u32 s1, 0
	s_cselect_b32 s1, s16, s14
	v_readfirstlane_b32 s14, v2
	s_cselect_b32 s13, s15, s13
	s_cmp_ge_u32 s14, s41
	s_cselect_b32 s14, -1, 0
	s_cmp_eq_u32 s0, 0
	s_cselect_b32 s0, s14, -1
	s_cmp_lg_u32 s0, 0
	s_cselect_b32 s1, s1, s12
	s_cselect_b32 s0, s13, s9
	s_xor_b64 s[0:1], s[0:1], s[10:11]
	s_sub_u32 s54, s0, s10
	s_branch .LBB25_3
.LBB25_2:
	s_mov_b64 s[2:3], -1
                                        ; implicit-def: $sgpr54_sgpr55
.LBB25_3:
	s_load_dwordx2 s[0:1], s[4:5], 0x74
	v_cvt_f32_u32_e32 v2, s41
	s_andn2_b64 vcc, exec, s[2:3]
	s_waitcnt lgkmcnt(0)
	v_writelane_b32 v255, s0, 4
	v_writelane_b32 v255, s1, 5
	s_cbranch_vccnz .LBB25_5
; %bb.4:
	v_rcp_iflag_f32_e32 v4, v2
	s_sub_i32 s0, 0, s41
	v_mul_f32_e32 v4, 0x4f7ffffe, v4
	v_cvt_u32_f32_e32 v4, v4
	v_readfirstlane_b32 s1, v4
	s_mul_i32 s0, s0, s1
	s_mul_hi_u32 s0, s1, s0
	s_add_i32 s1, s1, s0
	s_mul_hi_u32 s0, s8, s1
	s_mul_i32 s2, s0, s41
	s_sub_i32 s2, s8, s2
	s_add_i32 s1, s0, 1
	s_sub_i32 s3, s2, s41
	s_cmp_ge_u32 s2, s41
	s_cselect_b32 s0, s1, s0
	s_cselect_b32 s2, s3, s2
	s_add_i32 s1, s0, 1
	s_cmp_ge_u32 s2, s41
	s_cselect_b32 s54, s1, s0
.LBB25_5:
	s_add_i32 s0, s51, 1
	s_mul_i32 s1, s7, s0
	s_mul_hi_u32 s2, s6, s0
	s_add_i32 s3, s2, s1
	s_mov_b32 s2, 0
	s_cmp_lg_u64 s[2:3], 0
	s_mul_i32 s2, s6, s0
	s_cbranch_scc0 .LBB25_440
; %bb.6:
	v_madmk_f32 v1, v3, 0x4f800000, v1
	v_rcp_f32_e32 v1, v1
	s_sub_u32 s6, 0, s41
	s_subb_u32 s7, 0, 0
	v_mul_f32_e32 v1, 0x5f7ffffc, v1
	v_mul_f32_e32 v3, 0x2f800000, v1
	v_trunc_f32_e32 v3, v3
	v_madmk_f32 v1, v3, 0xcf800000, v1
	v_cvt_u32_f32_e32 v3, v3
	v_cvt_u32_f32_e32 v1, v1
	v_readfirstlane_b32 s8, v3
	v_readfirstlane_b32 s9, v1
	s_mul_hi_u32 s11, s6, s9
	s_mul_i32 s12, s6, s8
	s_mul_i32 s10, s7, s9
	s_add_i32 s11, s11, s12
	s_add_i32 s11, s11, s10
	s_mul_i32 s13, s6, s9
	s_mul_hi_u32 s10, s9, s11
	s_mul_i32 s12, s9, s11
	s_mul_hi_u32 s9, s9, s13
	s_add_u32 s9, s9, s12
	s_addc_u32 s10, 0, s10
	s_mul_hi_u32 s14, s8, s13
	s_mul_i32 s13, s8, s13
	s_add_u32 s9, s9, s13
	s_mul_hi_u32 s12, s8, s11
	s_addc_u32 s9, s10, s14
	s_addc_u32 s10, s12, 0
	s_mul_i32 s11, s8, s11
	s_add_u32 s9, s9, s11
	s_addc_u32 s10, 0, s10
	v_add_co_u32_e32 v1, vcc, s9, v1
	s_cmp_lg_u64 vcc, 0
	s_addc_u32 s8, s8, s10
	v_readfirstlane_b32 s10, v1
	s_mul_i32 s9, s6, s8
	s_mul_hi_u32 s11, s6, s10
	s_add_i32 s9, s11, s9
	s_mul_i32 s7, s7, s10
	s_add_i32 s9, s9, s7
	s_mul_i32 s6, s6, s10
	s_mul_hi_u32 s11, s8, s6
	s_mul_i32 s12, s8, s6
	s_mul_i32 s14, s10, s9
	s_mul_hi_u32 s6, s10, s6
	s_mul_hi_u32 s13, s10, s9
	s_add_u32 s6, s6, s14
	s_addc_u32 s10, 0, s13
	s_add_u32 s6, s6, s12
	s_mul_hi_u32 s7, s8, s9
	s_addc_u32 s6, s10, s11
	s_addc_u32 s7, s7, 0
	s_mul_i32 s9, s8, s9
	s_add_u32 s6, s6, s9
	s_addc_u32 s7, 0, s7
	v_add_co_u32_e32 v1, vcc, s6, v1
	s_cmp_lg_u64 vcc, 0
	s_addc_u32 s10, s8, s7
	s_ashr_i32 s6, s3, 31
	s_add_u32 s8, s2, s6
	s_mov_b32 s7, s6
	s_addc_u32 s9, s3, s6
	s_xor_b64 s[8:9], s[8:9], s[6:7]
	v_readfirstlane_b32 s12, v1
	s_mul_i32 s11, s8, s10
	s_mul_hi_u32 s13, s8, s12
	s_mul_hi_u32 s3, s8, s10
	s_add_u32 s11, s13, s11
	s_addc_u32 s3, 0, s3
	s_mul_hi_u32 s14, s9, s12
	s_mul_i32 s12, s9, s12
	s_add_u32 s11, s11, s12
	s_mul_hi_u32 s13, s9, s10
	s_addc_u32 s3, s3, s14
	s_addc_u32 s11, s13, 0
	s_mul_i32 s10, s9, s10
	s_add_u32 s3, s3, s10
	s_addc_u32 s10, 0, s11
	s_add_u32 s11, s3, 1
	s_addc_u32 s12, s10, 0
	s_add_u32 s13, s3, 2
	s_mul_i32 s15, s41, s10
	s_mul_hi_u32 s16, s41, s3
	s_addc_u32 s14, s10, 0
	s_add_i32 s16, s16, s15
	s_mul_i32 s15, s41, s3
	v_mov_b32_e32 v1, s15
	v_sub_co_u32_e32 v1, vcc, s8, v1
	s_cmp_lg_u64 vcc, 0
	s_subb_u32 s8, s9, s16
	v_subrev_co_u32_e32 v3, vcc, s41, v1
	s_cmp_lg_u64 vcc, 0
	s_subb_u32 s9, s8, 0
	v_readfirstlane_b32 s15, v3
	s_cmp_ge_u32 s15, s41
	s_cselect_b32 s15, -1, 0
	s_cmp_eq_u32 s9, 0
	s_cselect_b32 s9, s15, -1
	s_cmp_lg_u32 s9, 0
	s_cselect_b32 s9, s14, s12
	v_readfirstlane_b32 s12, v1
	s_cselect_b32 s11, s13, s11
	s_cmp_ge_u32 s12, s41
	s_cselect_b32 s12, -1, 0
	s_cmp_eq_u32 s8, 0
	s_cselect_b32 s8, s12, -1
	s_cmp_lg_u32 s8, 0
	s_cselect_b32 s9, s9, s10
	s_cselect_b32 s8, s11, s3
	s_xor_b64 s[8:9], s[8:9], s[6:7]
	s_sub_u32 s58, s8, s6
	s_load_dwordx2 s[42:43], s[4:5], 0x5c
	s_cbranch_execnz .LBB25_8
.LBB25_7:
	v_rcp_iflag_f32_e32 v1, v2
	s_sub_i32 s0, 0, s41
	v_mul_f32_e32 v1, 0x4f7ffffe, v1
	v_cvt_u32_f32_e32 v1, v1
	v_readfirstlane_b32 s1, v1
	s_mul_i32 s0, s0, s1
	s_mul_hi_u32 s0, s1, s0
	s_add_i32 s1, s1, s0
	s_mul_hi_u32 s0, s2, s1
	s_mul_i32 s3, s0, s41
	s_sub_i32 s2, s2, s3
	s_add_i32 s1, s0, 1
	s_sub_i32 s3, s2, s41
	s_cmp_ge_u32 s2, s41
	s_cselect_b32 s0, s1, s0
	s_cselect_b32 s2, s3, s2
	s_add_i32 s1, s0, 1
	s_cmp_ge_u32 s2, s41
	s_cselect_b32 s58, s1, s0
.LBB25_8:
	s_abs_i32 s59, s85
	v_cvt_f32_u32_e32 v1, s59
	v_readlane_b32 s2, v255, 4
	s_ashr_i32 s52, s2, 3
	s_sub_i32 s2, 0, s59
	v_rcp_iflag_f32_e32 v1, v1
	s_load_dwordx16 s[12:27], s[4:5], 0x0
	s_load_dword s6, s[4:5], 0x40
	s_load_dword s34, s[4:5], 0x54
	s_load_dwordx2 s[0:1], s[4:5], 0x8c
	s_load_dwordx4 s[36:39], s[4:5], 0x98
	s_load_dwordx2 s[46:47], s[4:5], 0xa8
	s_load_dwordx2 s[10:11], s[4:5], 0xb8
	;; [unrolled: 1-line block ×3, first 2 shown]
	v_readlane_b32 s3, v255, 5
	s_waitcnt lgkmcnt(0)
	v_writelane_b32 v255, s0, 6
	v_mul_f32_e32 v1, 0x4f7ffffe, v1
	v_cvt_u32_f32_e32 v1, v1
	v_writelane_b32 v255, s1, 7
	s_abs_i32 s1, s54
	s_ashr_i32 s33, s31, 3
	v_readfirstlane_b32 s50, v1
	s_mul_i32 s2, s2, s50
	s_mul_hi_u32 s2, s50, s2
	s_add_i32 s50, s50, s2
	s_mul_hi_u32 s2, s1, s50
	s_mul_i32 s2, s2, s59
	s_sub_i32 s1, s1, s2
	s_ashr_i32 s40, s0, 2
	s_ashr_i32 s44, s11, 1
	;; [unrolled: 1-line block ×5, first 2 shown]
	s_sub_i32 s2, s1, s59
	s_cmp_ge_u32 s1, s59
	s_cselect_b32 s1, s2, s1
	s_sub_i32 s2, s1, s59
	s_cmp_ge_u32 s1, s59
	s_cselect_b32 s1, s2, s1
	s_xor_b32 s1, s1, s0
	s_sub_i32 s76, s1, s0
	s_sub_i32 s0, s58, s54
	s_add_i32 s2, s0, s76
	s_min_i32 s62, s85, s2
	s_cmp_gt_i32 s58, s54
	s_cselect_b64 s[8:9], -1, 0
	s_cmp_le_i32 s58, s54
	v_cvt_f16_f32_e32 v1, s6
	s_cselect_b64 s[0:1], -1, 0
	s_cmp_gt_i32 s85, s2
	s_cselect_b64 s[2:3], -1, 0
	s_or_b64 s[0:1], s[2:3], s[0:1]
	v_bfe_u32 v69, v0, 10, 10
	s_mov_b32 s61, 0
	s_and_b64 vcc, exec, s[0:1]
	v_pack_b32_f16 v75, v1, v1
	v_lshlrev_b32_e32 v71, 3, v69
	v_and_b32_e32 v73, 1, v69
	v_lshrrev_b32_e32 v67, 1, v69
	v_add_u32_e32 v84, 4, v69
	v_add_u32_e32 v83, 8, v69
	;; [unrolled: 1-line block ×7, first 2 shown]
	s_cbranch_vccz .LBB25_11
; %bb.9:
	s_andn2_b64 vcc, exec, s[8:9]
	s_cbranch_vccz .LBB25_404
.LBB25_10:
	s_endpgm
.LBB25_11:
	v_and_b32_e32 v26, 0x3ff, v0
	v_lshrrev_b32_e32 v4, 3, v26
	v_and_b32_e32 v1, 15, v26
	v_and_b32_e32 v4, 30, v4
	v_mul_u32_u24_e32 v2, 0x110, v1
	v_lshlrev_b32_e32 v5, 2, v4
	v_add3_u32 v85, 0, v2, v5
	v_lshrrev_b32_e32 v2, 4, v26
	v_lshl_add_u32 v10, v69, 2, v2
	v_lshlrev_b32_e32 v2, 2, v26
	v_and_b32_e32 v2, 60, v2
	v_mul_u32_u24_e32 v5, 0x110, v10
	v_lshlrev_b32_e32 v6, 2, v2
	v_and_b32_e32 v3, 0x7f0, v71
	v_lshlrev_b32_e32 v18, 4, v69
	v_add3_u32 v86, 0, v5, v6
	v_lshrrev_b32_e32 v5, 2, v26
	s_cmp_eq_u64 s[20:21], 0
	v_and_b32_e32 v11, 16, v18
	v_and_b32_e32 v6, 60, v5
	v_and_or_b32 v8, v26, 14, v3
	v_writelane_b32 v255, s41, 8
	s_cselect_b64 s[0:1], -1, 0
	s_movk_i32 s2, 0x90
	v_lshrrev_b32_e32 v8, 1, v8
	v_add_u16_e32 v9, v6, v11
	v_writelane_b32 v255, s0, 9
	s_cmp_lg_u64 s[22:23], 0
	v_add_u32_e32 v7, v6, v11
	v_mad_u32_u24 v8, v8, s2, 0
	v_lshrrev_b16_e32 v9, 1, v9
	v_writelane_b32 v255, s1, 10
	s_cselect_b64 s[0:1], -1, 0
	v_lshl_add_u32 v87, v9, 2, v8
	v_lshl_add_u32 v12, v7, 1, v8
	v_and_b32_e32 v7, 8, v71
	v_mul_u32_u24_e32 v8, 0x88, v6
	s_movk_i32 s4, 0x220
	v_writelane_b32 v255, s0, 11
	v_or_b32_e32 v8, v8, v1
	v_mul_u32_u24_e32 v9, 0x110, v6
	v_or_b32_e32 v5, 3, v5
	v_mul_u32_u24_e32 v13, 0x220, v7
	v_mad_u32_u24 v14, v7, s4, 0
	v_lshlrev_b32_e32 v15, 1, v1
	v_writelane_b32 v255, s1, 12
	s_movk_i32 s0, 0x110
	v_mul_u32_u24_e32 v5, 0x110, v5
	v_lshlrev_b32_e32 v8, 1, v8
	v_add3_u32 v89, v14, v9, v15
	v_add3_u32 v9, 0, 32, v13
	v_add_u32_e32 v88, v14, v8
	v_add3_u32 v90, v14, v5, v15
	v_add_u32_e32 v91, v9, v8
	v_mad_u32_u24 v14, v6, s0, v9
	v_add3_u32 v93, v9, v5, v15
	v_add3_u32 v9, 0, 64, v13
	s_add_i32 s5, 0, 0x60
	v_add_u32_e32 v94, v9, v8
	v_mad_u32_u24 v13, v6, s0, v9
	v_add3_u32 v96, v9, v5, v15
	v_mov_b32_e32 v9, s5
	s_movk_i32 s3, 0x2200
	v_mad_u32_u24 v9, v7, s4, v9
	s_add_i32 s5, 0, 0x80
	v_add3_u32 v95, v13, v15, s3
	v_add_u32_e32 v97, v9, v8
	v_mad_u32_u24 v13, v6, s0, v9
	v_add3_u32 v99, v9, v5, v15
	v_mov_b32_e32 v9, s5
	v_mad_u32_u24 v9, v7, s4, v9
	s_add_i32 s5, 0, 0xa0
	v_add3_u32 v98, v13, v15, s3
	v_add_u32_e32 v100, v9, v8
	v_mad_u32_u24 v13, v6, s0, v9
	v_add3_u32 v102, v9, v5, v15
	v_mov_b32_e32 v9, s5
	;; [unrolled: 7-line block ×4, first 2 shown]
	v_mad_u32_u24 v7, v7, s4, v9
	s_lshl_b32 s60, s51, 5
	s_ashr_i32 s45, s44, 31
	s_ashr_i32 s41, s40, 31
	s_lshl_b32 s1, s40, 4
	s_ashr_i32 s31, s30, 31
	s_lshl_b32 s2, s30, 4
	v_mad_u32_u24 v6, v6, s0, v7
	v_add3_u32 v111, v7, v5, v15
	s_lshl_b64 s[4:5], s[60:61], 3
	v_or_b32_e32 v5, v71, v26
	v_add3_u32 v92, v14, v15, s3
	v_add3_u32 v107, v13, v15, s3
	v_add3_u32 v110, v6, v15, s3
	s_add_u32 s3, s26, s4
	v_lshlrev_b32_e32 v5, 3, v5
	s_movk_i32 s6, 0x44
	v_add_co_u32_e32 v28, vcc, s3, v5
	v_or_b32_e32 v5, v18, v1
	v_add_u32_e32 v20, 2, v67
	v_mad_u32_u24 v19, v5, s6, v4
	v_lshlrev_b32_e32 v4, 1, v20
	v_and_b32_e32 v5, 15, v20
	s_movk_i32 s7, 0x1e0
	v_add_u32_e32 v22, 4, v67
	v_and_or_b32 v21, v4, s7, v5
	v_lshlrev_b32_e32 v4, 1, v22
	v_and_b32_e32 v5, 15, v22
	v_add_u32_e32 v24, 6, v67
	v_and_or_b32 v23, v4, s7, v5
	v_lshlrev_b32_e32 v4, 1, v24
	v_and_b32_e32 v5, 15, v24
	;; [unrolled: 4-line block ×4, first 2 shown]
	v_add_u32_e32 v33, 12, v67
	v_mad_u32_u24 v51, v69, s6, v26
	v_and_or_b32 v32, v4, s7, v5
	v_lshlrev_b32_e32 v4, 1, v33
	v_and_b32_e32 v5, 15, v33
	v_add_u32_e32 v35, 14, v67
	v_lshl_add_u32 v119, v51, 2, 0
	v_or_b32_e32 v51, v18, v26
	v_and_or_b32 v34, v4, s7, v5
	v_lshlrev_b32_e32 v4, 1, v35
	v_and_b32_e32 v5, 15, v35
	v_add_u32_e32 v37, 18, v67
	v_mul_u32_u24_e32 v120, 0x110, v51
	v_and_b32_e32 v51, 31, v26
	v_and_or_b32 v36, v4, s7, v5
	v_lshlrev_b32_e32 v4, 1, v37
	v_and_b32_e32 v5, 15, v37
	v_add_u32_e32 v39, 20, v67
	v_or_b32_e32 v18, v18, v51
	v_lshl_add_u32 v122, v19, 2, 0
	v_add_u32_e32 v19, 16, v67
	v_and_or_b32 v38, v4, s7, v5
	v_lshlrev_b32_e32 v4, 1, v39
	v_and_b32_e32 v5, 15, v39
	v_add_u32_e32 v41, 22, v67
	s_movk_i32 s11, 0xe0
	v_mul_u32_u24_e32 v121, 0x110, v18
	v_bfe_u32 v18, v69, 1, 4
	v_lshlrev_b32_e32 v52, 1, v19
	v_and_or_b32 v40, v4, s7, v5
	v_lshlrev_b32_e32 v4, 1, v41
	v_and_b32_e32 v5, 15, v41
	v_add_u32_e32 v43, 24, v67
	v_and_or_b32 v52, v52, s7, v18
	v_and_or_b32 v18, v69, s11, v18
	v_writelane_b32 v255, s51, 13
	v_and_or_b32 v42, v4, s7, v5
	v_lshlrev_b32_e32 v4, 1, v43
	v_and_b32_e32 v5, 15, v43
	v_add_u32_e32 v45, 26, v67
	v_mul_u32_u24_e32 v123, 0x110, v18
	v_mad_u32_u24 v18, v18, s6, v26
	v_and_or_b32 v44, v4, s7, v5
	v_lshlrev_b32_e32 v4, 1, v45
	v_and_b32_e32 v5, 15, v45
	v_add_u32_e32 v47, 28, v67
	v_readlane_b32 s55, v255, 3
	v_lshl_add_u32 v124, v18, 2, 0
	v_mad_u32_u24 v18, v21, s6, v26
	s_addc_u32 s4, s27, s5
	v_and_or_b32 v46, v4, s7, v5
	v_lshlrev_b32_e32 v4, 1, v47
	v_and_b32_e32 v5, 15, v47
	s_abs_i32 s57, s55
	v_lshl_add_u32 v127, v18, 2, 0
	v_mad_u32_u24 v18, v23, s6, v26
	v_and_or_b32 v48, v4, s7, v5
	v_cvt_f32_u32_e32 v4, s57
	v_lshl_add_u32 v130, v18, 2, 0
	v_mad_u32_u24 v18, v25, s6, v26
	v_lshl_add_u32 v133, v18, 2, 0
	v_mad_u32_u24 v18, v30, s6, v26
	;; [unrolled: 2-line block ×3, first 2 shown]
	v_readlane_b32 s53, v255, 2
	v_lshl_add_u32 v139, v18, 2, 0
	v_mad_u32_u24 v18, v34, s6, v26
	v_rcp_iflag_f32_e32 v4, v4
	s_abs_i32 s86, s53
	v_lshl_add_u32 v142, v18, 2, 0
	v_mad_u32_u24 v18, v36, s6, v26
	v_add_u32_e32 v109, v7, v8
	v_cvt_f32_u32_e32 v7, s86
	v_lshl_add_u32 v145, v18, 2, 0
	v_mad_u32_u24 v18, v52, s6, v26
	v_lshl_add_u32 v148, v18, 2, 0
	v_mul_u32_u24_e32 v18, 0x110, v38
	v_mov_b32_e32 v6, s4
	v_add_u32_e32 v49, 30, v67
	v_readlane_b32 s51, v255, 1
	buffer_store_dword v18, off, s[96:99], 0 ; 4-byte Folded Spill
	v_mad_u32_u24 v18, v38, s6, v26
	v_addc_co_u32_e32 v29, vcc, 0, v6, vcc
	v_lshlrev_b32_e32 v5, 1, v49
	v_and_b32_e32 v6, 15, v49
	v_mul_f32_e32 v4, 0x4f7ffffe, v4
	s_abs_i32 s87, s51
	s_abs_i32 s88, s10
	v_lshl_add_u32 v152, v18, 2, 0
	v_mad_u32_u24 v18, v40, s6, v26
	v_and_or_b32 v50, v5, s7, v6
	v_cvt_u32_f32_e32 v4, v4
	v_rcp_iflag_f32_e32 v5, v7
	v_cvt_f32_u32_e32 v6, s87
	v_cvt_f32_u32_e32 v7, s88
	v_lshl_add_u32 v155, v18, 2, 0
	v_mad_u32_u24 v18, v42, s6, v26
	v_lshl_add_u32 v158, v18, 2, 0
	v_mad_u32_u24 v18, v44, s6, v26
	v_lshl_add_u32 v161, v18, 2, 0
	v_mad_u32_u24 v18, v46, s6, v26
	v_lshl_add_u32 v164, v18, 2, 0
	v_mad_u32_u24 v18, v48, s6, v26
	s_mov_b32 s4, s10
	v_readfirstlane_b32 s8, v4
	v_rcp_iflag_f32_e32 v4, v6
	v_rcp_iflag_f32_e32 v6, v7
	v_lshlrev_b32_e32 v113, 2, v2
	v_lshrrev_b32_e32 v2, 5, v26
	v_lshl_add_u32 v167, v18, 2, 0
	v_mad_u32_u24 v18, v50, s6, v26
	v_writelane_b32 v255, s4, 14
	v_lshl_add_u32 v115, v69, 1, v2
	v_mul_lo_u32 v2, s40, v10
	v_mul_lo_u32 v10, s30, v10
	v_lshl_add_u32 v166, v18, 2, 0
	v_lshlrev_b32_e32 v18, 2, v51
	v_writelane_b32 v255, s5, 15
	v_mul_u32_u24_e32 v116, 0x110, v11
	v_ashrrev_i32_e32 v11, 31, v10
	v_cmp_gt_u32_e64 s[64:65], 32, v26
	v_lshrrev_b32_e32 v146, 1, v19
	v_mov_b32_e32 v19, s19
	v_add_co_u32_e32 v170, vcc, s18, v18
	v_add_u32_e32 v117, 64, v12
	v_add_u32_e32 v118, 0x44, v12
	;; [unrolled: 1-line block ×3, first 2 shown]
	v_writelane_b32 v255, s64, 16
	v_mul_u32_u24_e32 v135, 0x110, v30
	v_lshrrev_b32_e32 v137, 1, v31
	v_addc_co_u32_e32 v171, vcc, 0, v19, vcc
	v_lshlrev_b64 v[30:31], 2, v[10:11]
	v_mul_f32_e32 v4, 0x4f7ffffe, v4
	v_mul_f32_e32 v6, 0x4f7ffffe, v6
	v_ashrrev_i32_e32 v13, 31, v12
	v_writelane_b32 v255, s65, 17
	s_ashr_i32 s6, s55, 31
	v_mov_b32_e32 v10, s17
	v_add_co_u32_e32 v172, vcc, s16, v30
	v_mul_f32_e32 v5, 0x4f7ffffe, v5
	v_cvt_u32_f32_e32 v4, v4
	v_cvt_u32_f32_e32 v6, v6
	v_add_u32_e32 v14, s2, v12
	v_mul_u32_u24_e32 v138, 0x110, v32
	v_lshrrev_b32_e32 v140, 1, v33
	v_writelane_b32 v255, s6, 18
	s_sub_i32 s6, 0, s57
	v_addc_co_u32_e32 v173, vcc, v10, v31, vcc
	v_lshlrev_b64 v[32:33], 2, v[12:13]
	v_cvt_u32_f32_e32 v5, v5
	v_ashrrev_i32_e32 v15, 31, v14
	s_mul_i32 s6, s6, s8
	v_add_co_u32_e32 v174, vcc, s16, v32
	v_add_u32_e32 v16, s2, v14
	v_mul_u32_u24_e32 v141, 0x110, v34
	v_lshrrev_b32_e32 v143, 1, v35
	s_mul_hi_u32 s6, s8, s6
	v_addc_co_u32_e32 v175, vcc, v10, v33, vcc
	v_lshlrev_b64 v[34:35], 2, v[14:15]
	s_sub_i32 s3, 0, s88
	v_ashrrev_i32_e32 v17, 31, v16
	s_add_i32 s6, s8, s6
	v_add_co_u32_e32 v176, vcc, s16, v34
	v_readfirstlane_b32 s10, v4
	v_mul_lo_u32 v4, s3, v6
	v_mul_u32_u24_e32 v144, 0x110, v36
	v_lshrrev_b32_e32 v149, 1, v37
	v_writelane_b32 v255, s6, 19
	s_ashr_i32 s6, s53, 31
	v_addc_co_u32_e32 v177, vcc, v10, v35, vcc
	v_lshlrev_b64 v[36:37], 2, v[16:17]
	v_readfirstlane_b32 s9, v5
	v_mul_hi_u32 v4, v6, v4
	v_mad_u32_u24 v114, v3, s0, v85
	v_ashrrev_i32_e32 v3, 31, v2
	v_writelane_b32 v255, s6, 20
	s_sub_i32 s6, 0, s86
	v_add_co_u32_e32 v178, vcc, s16, v36
	v_add_u32_e32 v112, v6, v4
	v_add_u32_e32 v4, s1, v2
	v_lshrrev_b32_e32 v151, 1, v39
	s_mul_i32 s6, s6, s9
	v_addc_co_u32_e32 v179, vcc, v10, v37, vcc
	v_lshlrev_b64 v[38:39], 2, v[2:3]
	v_ashrrev_i32_e32 v5, 31, v4
	s_mul_hi_u32 s6, s9, s6
	v_mov_b32_e32 v2, s15
	v_add_co_u32_e32 v180, vcc, s14, v38
	v_add_u32_e32 v6, s1, v4
	v_mul_u32_u24_e32 v154, 0x110, v40
	v_lshrrev_b32_e32 v150, 1, v41
	s_add_i32 s6, s9, s6
	v_addc_co_u32_e32 v181, vcc, v2, v39, vcc
	v_lshlrev_b64 v[40:41], 2, v[4:5]
	v_ashrrev_i32_e32 v7, 31, v6
	v_writelane_b32 v255, s6, 21
	s_ashr_i32 s6, s51, 31
	v_add_co_u32_e32 v182, vcc, s14, v40
	v_add_u32_e32 v8, s1, v6
	v_mul_u32_u24_e32 v157, 0x110, v42
	v_lshrrev_b32_e32 v153, 1, v43
	v_writelane_b32 v255, s6, 22
	s_sub_i32 s6, 0, s87
	v_addc_co_u32_e32 v183, vcc, v2, v41, vcc
	v_lshlrev_b64 v[42:43], 2, v[6:7]
	v_ashrrev_i32_e32 v9, 31, v8
	s_mul_i32 s6, s6, s10
	v_add_co_u32_e32 v184, vcc, s14, v42
	v_mul_u32_u24_e32 v160, 0x110, v44
	v_lshrrev_b32_e32 v156, 1, v45
	s_mul_hi_u32 s6, s10, s6
	v_addc_co_u32_e32 v185, vcc, v2, v43, vcc
	v_lshlrev_b64 v[44:45], 2, v[8:9]
	s_add_i32 s6, s10, s6
	v_add_co_u32_e32 v186, vcc, s14, v44
	v_writelane_b32 v255, s6, 23
	s_lshl_b64 s[6:7], s[44:45], 1
	v_addc_co_u32_e32 v187, vcc, v2, v45, vcc
	v_mbcnt_lo_u32_b32 v2, -1, 0
	v_writelane_b32 v255, s6, 24
	v_mbcnt_hi_u32_b32 v188, -1, v2
	v_lshlrev_b32_e32 v2, 1, v26
	v_mul_u32_u24_e32 v163, 0x110, v46
	v_writelane_b32 v255, s7, 25
	v_and_b32_e32 v46, 62, v2
	s_movk_i32 s90, 0x80
	v_cmp_eq_u32_e64 s[0:1], 0, v73
	v_cmp_eq_u32_e64 s[2:3], 1, v73
	v_cmp_gt_u32_e64 s[4:5], 16, v26
	v_lshrrev_b32_e32 v125, 1, v20
	v_mul_u32_u24_e32 v126, 0x110, v21
	v_lshrrev_b32_e32 v128, 1, v22
	v_mul_u32_u24_e32 v129, 0x110, v23
	;; [unrolled: 2-line block ×6, first 2 shown]
	s_mov_b32 s35, s34
	s_lshl_b64 s[68:69], s[30:31], 8
	s_lshl_b64 s[70:71], s[40:41], 8
	s_mov_b32 s45, 0x3f200000
	s_mov_b32 s67, 0x3fb8aa3b
	;; [unrolled: 1-line block ×4, first 2 shown]
	s_brev_b32 s6, -2
	s_mov_b32 s89, 0xc1a00000
	s_mov_b32 s66, 0x5040100
	v_mov_b32_e32 v189, 0
	v_mul_u32_u24_e32 v190, 0x90, v115
	v_add_u32_e32 v191, 8, v115
	v_lshl_add_u32 v192, v46, 1, 0
	v_add_u32_e32 v193, 0x1100, v86
	v_add_u32_e32 v194, 0x2200, v86
	;; [unrolled: 1-line block ×18, first 2 shown]
	v_lshrrev_b32_e32 v211, 1, v84
	v_lshrrev_b32_e32 v212, 1, v83
	;; [unrolled: 1-line block ×8, first 2 shown]
	v_lshlrev_b32_e32 v48, 4, v1
	v_mov_b32_e32 v219, 0xbd5c1c4e
	v_mov_b32_e32 v220, 0x3e088382
	;; [unrolled: 1-line block ×4, first 2 shown]
	v_and_b32_e32 v50, 1, v26
	v_bfe_u32 v52, v69, 1, 1
	v_writelane_b32 v255, s52, 26
	v_mad_u64_u32 v[54:55], s[8:9], v73, s52, v[26:27]
	s_branch .LBB25_14
.LBB25_12:                              ;   in Loop: Header=BB25_14 Depth=1
	s_or_b64 exec, exec, s[72:73]
	s_barrier
.LBB25_13:                              ;   in Loop: Header=BB25_14 Depth=1
	s_add_i32 s8, s54, s85
	s_abs_i32 s10, s8
	s_mul_hi_u32 s11, s10, s50
	s_mul_i32 s11, s11, s59
	s_sub_i32 s10, s10, s11
	s_ashr_i32 s9, s8, 31
	s_sub_i32 s11, s10, s59
	s_cmp_ge_u32 s10, s59
	s_cselect_b32 s10, s11, s10
	s_sub_i32 s11, s10, s59
	s_cmp_ge_u32 s10, s59
	s_cselect_b32 s10, s11, s10
	s_xor_b32 s10, s10, s9
	s_sub_i32 s9, s9, s10
	s_add_i32 s54, s8, s9
	s_sub_i32 s10, s58, s54
	s_min_i32 s62, s85, s10
	s_cmp_gt_i32 s58, s54
	s_cselect_b64 s[8:9], -1, 0
	s_cmp_le_i32 s85, s10
	s_cselect_b64 s[10:11], -1, 0
	s_and_b64 s[10:11], s[10:11], s[8:9]
	s_mov_b32 s76, 0
	s_and_b64 vcc, exec, s[10:11]
	s_cbranch_vccz .LBB25_403
.LBB25_14:                              ; =>This Loop Header: Depth=1
                                        ;     Child Loop BB25_249 Depth 2
                                        ;     Child Loop BB25_55 Depth 2
	s_ashr_i32 s8, s54, 31
	v_readlane_b32 s9, v255, 18
	s_xor_b32 s8, s8, s9
	s_abs_i32 s9, s54
	v_readlane_b32 s10, v255, 19
	s_mul_hi_u32 s10, s9, s10
	s_mul_i32 s11, s10, s57
	s_sub_i32 s9, s9, s11
	s_add_i32 s11, s10, 1
	s_sub_i32 s51, s9, s57
	s_cmp_ge_u32 s9, s57
	s_cselect_b32 s10, s11, s10
	s_cselect_b32 s9, s51, s9
	s_add_i32 s11, s10, 1
	s_cmp_ge_u32 s9, s57
	s_cselect_b32 s9, s11, s10
	s_xor_b32 s9, s9, s8
	s_sub_i32 s8, s9, s8
	v_readlane_b32 s9, v255, 3
	s_mul_i32 s9, s8, s9
	s_sub_i32 s10, s54, s9
	s_ashr_i32 s9, s10, 31
	v_readlane_b32 s11, v255, 20
	s_xor_b32 s9, s9, s11
	s_abs_i32 s11, s10
	v_readlane_b32 s51, v255, 21
	s_mul_hi_u32 s51, s11, s51
	s_mul_i32 s52, s51, s86
	s_sub_i32 s11, s11, s52
	s_add_i32 s52, s51, 1
	s_sub_i32 s53, s11, s86
	s_cmp_ge_u32 s11, s86
	s_cselect_b32 s51, s52, s51
	s_cselect_b32 s11, s53, s11
	s_add_i32 s52, s51, 1
	s_cmp_ge_u32 s11, s86
	s_cselect_b32 s11, s52, s51
	s_xor_b32 s11, s11, s9
	s_sub_i32 s9, s11, s9
	v_readlane_b32 s11, v255, 2
	s_mul_i32 s11, s9, s11
	s_sub_i32 s11, s10, s11
	;; [unrolled: 21-line block ×3, first 2 shown]
	s_ashr_i32 s51, s11, 31
	s_abs_i32 s11, s11
	s_mul_hi_u32 s52, s11, s50
	s_mul_i32 s53, s52, s59
	s_sub_i32 s11, s11, s53
	s_xor_b32 s51, s51, s38
	s_add_i32 s53, s52, 1
	s_sub_i32 s56, s11, s59
	s_cmp_ge_u32 s11, s59
	s_cselect_b32 s52, s53, s52
	s_cselect_b32 s11, s56, s11
	s_add_i32 s53, s52, 1
	s_cmp_ge_u32 s11, s59
	s_cselect_b32 s11, s53, s52
	v_readlane_b32 s52, v255, 11
	s_xor_b32 s11, s11, s51
	v_readlane_b32 s53, v255, 12
	s_andn2_b64 vcc, exec, s[52:53]
	s_sub_i32 s53, s11, s51
	s_cbranch_vccnz .LBB25_16
; %bb.15:                               ;   in Loop: Header=BB25_14 Depth=1
	v_readlane_b32 s11, v255, 0
	s_mul_i32 s11, s8, s11
	s_add_i32 s64, s53, s11
	s_ashr_i32 s65, s64, 31
	s_lshl_b64 s[64:65], s[64:65], 2
	s_add_u32 s64, s22, s64
	s_addc_u32 s65, s23, s65
	global_load_dword v1, v189, s[64:65]
	s_waitcnt vmcnt(0)
	v_readfirstlane_b32 s11, v1
	s_ashr_i32 s51, s11, 31
	s_lshr_b32 s51, s51, 26
	s_add_i32 s11, s11, s51
	s_ashr_i32 s11, s11, 6
	s_min_i32 s62, s62, s11
.LBB25_16:                              ;   in Loop: Header=BB25_14 Depth=1
	v_readlane_b32 s64, v255, 4
	v_readlane_b32 s65, v255, 5
	s_mul_i32 s51, s9, s80
	s_lshl_b32 s11, s10, 1
	s_mul_i32 s10, s8, s65
	s_add_i32 s72, s11, s51
	s_ashr_i32 s51, s10, 31
	s_add_u32 s10, s12, s10
	s_mul_i32 s52, s72, s64
	s_addc_u32 s51, s13, s51
	s_ashr_i32 s60, s52, 31
	s_add_u32 s56, s10, s52
	s_addc_u32 s52, s51, s60
	s_ashr_i32 s63, s8, 31
	s_mul_i32 s10, s8, s37
	s_mul_hi_u32 s51, s8, s36
	s_add_i32 s10, s51, s10
	s_mul_i32 s51, s63, s36
	v_readlane_b32 s74, v255, 6
	s_add_i32 s64, s10, s51
	s_mul_i32 s65, s8, s36
	v_readlane_b32 s75, v255, 7
	s_add_u32 s10, s14, s65
	s_mul_i32 s91, s9, s75
	s_addc_u32 s51, s15, s64
	s_ashr_i32 s92, s91, 31
	s_add_u32 s84, s10, s91
	s_addc_u32 s81, s51, s92
	s_abs_i32 s10, s8
	v_mul_hi_u32 v1, s10, v112
	v_mul_lo_u32 v1, v1, s88
	v_sub_u32_e32 v1, s10, v1
	s_mul_i32 s10, s28, s29
	v_subrev_u32_e32 v2, s88, v1
	v_cmp_le_u32_e32 vcc, s88, v1
	s_mul_i32 s10, s10, s8
	v_cndmask_b32_e32 v1, v1, v2, vcc
	s_add_i32 s10, s72, s10
	v_subrev_u32_e32 v2, s88, v1
	v_cmp_le_u32_e32 vcc, s88, v1
	s_lshl_b32 s60, s10, 6
	v_cndmask_b32_e32 v1, v1, v2, vcc
	s_lshl_b64 s[74:75], s[60:61], 3
	v_xor_b32_e32 v1, s63, v1
	s_add_u32 s51, s24, s74
	s_mul_i32 s60, s8, s47
	s_mul_hi_u32 s73, s8, s46
	v_subrev_u32_e32 v1, s63, v1
	s_addc_u32 s10, s25, s75
	s_add_i32 s60, s73, s60
	s_mul_i32 s63, s63, s46
	s_add_i32 s60, s60, s63
	s_mul_i32 s93, s8, s46
	s_add_u32 s8, s16, s93
	s_mul_i32 s94, s9, s39
	s_addc_u32 s63, s17, s60
	s_ashr_i32 s95, s94, 31
	s_add_u32 s82, s8, s94
	s_addc_u32 s83, s63, s95
	s_ashr_i32 s73, s72, 31
	s_lshl_b64 s[8:9], s[72:73], 2
	v_ashrrev_i32_e32 v2, 31, v1
	v_mul_lo_u32 v3, v1, s49
	v_mul_hi_u32 v4, v1, s48
	s_add_u32 s63, s20, s8
	v_add_u32_e32 v3, v4, v3
	v_mul_lo_u32 v2, v2, s48
	v_mul_lo_u32 v56, v1, s48
	s_addc_u32 s72, s21, s9
	v_readlane_b32 s8, v255, 9
	v_add_u32_e32 v57, v3, v2
	v_mov_b32_e32 v1, s19
	v_add_co_u32_e32 v224, vcc, s18, v56
	v_readlane_b32 s9, v255, 10
	v_addc_co_u32_e32 v223, vcc, v1, v57, vcc
	s_and_b64 s[8:9], s[8:9], exec
	v_or_b32_e32 v27, s11, v73
	s_cselect_b32 s73, 0, s72
	s_cselect_b32 s72, 0, s63
	s_cmp_lg_u32 s76, 0
	v_cmp_gt_i32_e32 vcc, s80, v27
	s_cbranch_scc0 .LBB25_51
; %bb.17:                               ;   in Loop: Header=BB25_14 Depth=1
	s_lshl_b32 s63, s53, 4
	v_add_u32_e32 v1, s63, v67
	v_cmp_le_i32_e64 s[8:9], s28, v1
	s_xor_b64 s[74:75], vcc, -1
	s_or_b64 s[8:9], s[8:9], s[74:75]
	s_and_saveexec_b64 s[78:79], s[8:9]
	s_xor_b64 s[8:9], exec, s[78:79]
	s_cbranch_execz .LBB25_19
; %bb.18:                               ;   in Loop: Header=BB25_14 Depth=1
	ds_write_b32 v119, v189
                                        ; implicit-def: $vgpr1
.LBB25_19:                              ;   in Loop: Header=BB25_14 Depth=1
	s_andn2_saveexec_b64 s[8:9], s[8:9]
	s_cbranch_execz .LBB25_21
; %bb.20:                               ;   in Loop: Header=BB25_14 Depth=1
	v_mad_u64_u32 v[2:3], s[78:79], v1, s33, v[54:55]
	v_ashrrev_i32_e32 v3, 31, v2
	v_lshlrev_b64 v[2:3], 3, v[2:3]
	v_mov_b32_e32 v1, s52
	v_add_co_u32_e32 v2, vcc, s56, v2
	v_addc_co_u32_e32 v3, vcc, v1, v3, vcc
	global_load_dwordx2 v[2:3], v[2:3], off
	s_waitcnt vmcnt(0)
	v_cvt_f16_f32_e32 v1, v2
	v_cvt_f16_f32_e32 v2, v3
	v_pack_b32_f16 v1, v1, v2
	v_pk_mul_f16 v1, v75, v1
	ds_write_b32 v119, v1
.LBB25_21:                              ;   in Loop: Header=BB25_14 Depth=1
	s_or_b64 exec, exec, s[8:9]
	v_add_u32_e32 v1, s63, v211
	v_cmp_le_i32_e32 vcc, s28, v1
	s_or_b64 s[8:9], vcc, s[74:75]
	s_and_saveexec_b64 s[78:79], s[8:9]
	s_xor_b64 s[8:9], exec, s[78:79]
	s_cbranch_execz .LBB25_23
; %bb.22:                               ;   in Loop: Header=BB25_14 Depth=1
	ds_write_b32 v119, v189 offset:1088
                                        ; implicit-def: $vgpr1
.LBB25_23:                              ;   in Loop: Header=BB25_14 Depth=1
	s_andn2_saveexec_b64 s[8:9], s[8:9]
	s_cbranch_execz .LBB25_25
; %bb.24:                               ;   in Loop: Header=BB25_14 Depth=1
	v_mad_u64_u32 v[2:3], s[78:79], v1, s33, v[54:55]
	v_ashrrev_i32_e32 v3, 31, v2
	v_lshlrev_b64 v[2:3], 3, v[2:3]
	v_mov_b32_e32 v1, s52
	v_add_co_u32_e32 v2, vcc, s56, v2
	v_addc_co_u32_e32 v3, vcc, v1, v3, vcc
	global_load_dwordx2 v[2:3], v[2:3], off
	s_waitcnt vmcnt(0)
	v_cvt_f16_f32_e32 v1, v2
	v_cvt_f16_f32_e32 v2, v3
	v_pack_b32_f16 v1, v1, v2
	v_pk_mul_f16 v1, v75, v1
	ds_write_b32 v119, v1 offset:1088
.LBB25_25:                              ;   in Loop: Header=BB25_14 Depth=1
	s_or_b64 exec, exec, s[8:9]
	v_add_u32_e32 v1, s63, v212
	v_cmp_le_i32_e32 vcc, s28, v1
	s_or_b64 s[8:9], vcc, s[74:75]
	s_and_saveexec_b64 s[78:79], s[8:9]
	s_xor_b64 s[8:9], exec, s[78:79]
	s_cbranch_execz .LBB25_27
; %bb.26:                               ;   in Loop: Header=BB25_14 Depth=1
	ds_write_b32 v119, v189 offset:2176
                                        ; implicit-def: $vgpr1
.LBB25_27:                              ;   in Loop: Header=BB25_14 Depth=1
	s_andn2_saveexec_b64 s[8:9], s[8:9]
	s_cbranch_execz .LBB25_29
; %bb.28:                               ;   in Loop: Header=BB25_14 Depth=1
	v_mad_u64_u32 v[2:3], s[78:79], v1, s33, v[54:55]
	v_ashrrev_i32_e32 v3, 31, v2
	v_lshlrev_b64 v[2:3], 3, v[2:3]
	v_mov_b32_e32 v1, s52
	v_add_co_u32_e32 v2, vcc, s56, v2
	v_addc_co_u32_e32 v3, vcc, v1, v3, vcc
	global_load_dwordx2 v[2:3], v[2:3], off
	s_waitcnt vmcnt(0)
	v_cvt_f16_f32_e32 v1, v2
	v_cvt_f16_f32_e32 v2, v3
	v_pack_b32_f16 v1, v1, v2
	v_pk_mul_f16 v1, v75, v1
	ds_write_b32 v119, v1 offset:2176
.LBB25_29:                              ;   in Loop: Header=BB25_14 Depth=1
	;; [unrolled: 28-line block ×7, first 2 shown]
	s_or_b64 exec, exec, s[8:9]
	s_waitcnt lgkmcnt(0)
	s_barrier
	ds_read2_b64 v[14:17], v114 offset1:4
	ds_read2_b64 v[10:13], v114 offset0:8 offset1:12
	ds_read2_b64 v[6:9], v114 offset0:16 offset1:20
	;; [unrolled: 1-line block ×3, first 2 shown]
	s_add_i32 s77, s62, -1
	v_add_u32_e32 v20, s63, v115
	v_add_u32_e32 v18, s63, v191
	s_cmp_gt_i32 s77, s76
	v_mul_hi_u32 v21, s42, v20
	v_mul_hi_u32 v19, s42, v18
	s_waitcnt lgkmcnt(0)
	s_barrier
	s_cbranch_scc1 .LBB25_52
; %bb.50:                               ;   in Loop: Header=BB25_14 Depth=1
	v_add_u32_e32 v1, v20, v21
	v_lshrrev_b32_e32 v1, s43, v1
	v_mul_lo_u32 v1, v1, s28
	v_sub_u32_e32 v1, v20, v1
	v_mad_i64_i32 v[58:59], s[8:9], v1, s44, 0
	v_add_u32_e32 v1, v18, v19
	v_lshrrev_b32_e32 v1, s43, v1
	v_mul_lo_u32 v1, v1, s28
	v_sub_u32_e32 v1, v18, v1
	v_mad_i64_i32 v[60:61], s[8:9], v1, s44, 0
	s_mov_b64 s[8:9], 0
	s_mov_b32 s74, 0xfeffffff
	s_mov_b32 s78, 0
	s_mov_b32 s75, 0
	s_branch .LBB25_53
.LBB25_51:                              ;   in Loop: Header=BB25_14 Depth=1
	s_cbranch_execz .LBB25_13
	s_branch .LBB25_212
.LBB25_52:                              ;   in Loop: Header=BB25_14 Depth=1
	s_mov_b64 s[8:9], -1
                                        ; implicit-def: $sgpr75
                                        ; implicit-def: $sgpr78
                                        ; implicit-def: $sgpr74
                                        ; implicit-def: $vgpr58_vgpr59
                                        ; implicit-def: $vgpr60_vgpr61
.LBB25_53:                              ;   in Loop: Header=BB25_14 Depth=1
	s_andn2_b64 vcc, exec, s[8:9]
	v_mov_b32_e32 v1, s75
	v_mov_b32_e32 v23, s78
	;; [unrolled: 1-line block ×18, first 2 shown]
	s_cbranch_vccnz .LBB25_89
; %bb.54:                               ;   in Loop: Header=BB25_14 Depth=1
	v_lshlrev_b32_e32 v1, 1, v46
	v_add_co_u32_e32 v64, vcc, v224, v1
	v_add_u32_e32 v1, v20, v21
	v_lshrrev_b32_e32 v1, s43, v1
	v_mul_lo_u32 v1, v1, s28
	v_sub_u32_e32 v1, v20, v1
	v_mad_i64_i32 v[58:59], s[8:9], v1, s44, 0
	v_add_u32_e32 v1, v18, v19
	v_lshrrev_b32_e32 v1, s43, v1
	v_mul_lo_u32 v1, v1, s28
	v_sub_u32_e32 v1, v18, v1
	v_mad_i64_i32 v[60:61], s[8:9], v1, s44, 0
	v_and_b32_e32 v1, 64, v188
	v_addc_co_u32_e32 v65, vcc, 0, v223, vcc
	v_add_u32_e32 v1, 64, v1
	v_xor_b32_e32 v18, 32, v188
	v_cmp_lt_i32_e32 vcc, v18, v1
	v_cndmask_b32_e32 v18, v188, v18, vcc
	v_lshlrev_b32_e32 v70, 2, v18
	v_xor_b32_e32 v18, 16, v188
	v_cmp_lt_i32_e32 vcc, v18, v1
	v_cndmask_b32_e32 v1, v188, v18, vcc
	v_mov_b32_e32 v226, 0
	v_lshlrev_b32_e32 v72, 2, v1
	s_lshl_b32 s8, s76, 6
	v_mov_b32_e32 v228, 0
	v_mov_b32_e32 v229, 0xfeffffff
	;; [unrolled: 1-line block ×17, first 2 shown]
.LBB25_55:                              ;   Parent Loop BB25_14 Depth=1
                                        ; =>  This Inner Loop Header: Depth=2
	s_ashr_i32 s9, s8, 31
	s_lshl_b64 s[74:75], s[8:9], 1
	v_add_co_u32_e32 v20, vcc, s74, v64
	v_mov_b32_e32 v18, s75
	v_addc_co_u32_e32 v21, vcc, v65, v18, vcc
	v_lshlrev_b64 v[18:19], 1, v[58:59]
	v_add_co_u32_e32 v18, vcc, v20, v18
	v_addc_co_u32_e32 v19, vcc, v21, v19, vcc
	global_load_dword v18, v[18:19], off
	v_add_u32_e32 v22, v192, v190
	s_mul_hi_i32 s75, s8, s40
	s_mul_i32 s74, s8, s40
	s_lshl_b64 s[74:75], s[74:75], 2
	s_add_u32 s9, s84, s74
	s_addc_u32 s74, s81, s75
	v_add_u32_e32 v168, v85, v116
	s_waitcnt vmcnt(0)
	ds_write_b32 v22, v18 offset:17408
	v_lshlrev_b64 v[18:19], 1, v[60:61]
	v_add_co_u32_e32 v18, vcc, v20, v18
	v_addc_co_u32_e32 v19, vcc, v21, v19, vcc
	global_load_dword v18, v[18:19], off
	v_mov_b32_e32 v19, s74
	s_waitcnt vmcnt(0)
	ds_write_b32 v22, v18 offset:18560
	v_add_co_u32_e32 v18, vcc, s9, v38
	v_addc_co_u32_e32 v19, vcc, v19, v39, vcc
	v_add_co_u32_e32 v18, vcc, v18, v113
	v_addc_co_u32_e32 v19, vcc, 0, v19, vcc
	global_load_dwordx4 v[18:21], v[18:19], off
	s_waitcnt vmcnt(0)
	ds_write_b128 v86, v[18:21]
	v_add_co_u32_e32 v18, vcc, s9, v40
	v_mov_b32_e32 v19, s74
	v_addc_co_u32_e32 v19, vcc, v19, v41, vcc
	v_add_co_u32_e32 v18, vcc, v18, v113
	v_addc_co_u32_e32 v19, vcc, 0, v19, vcc
	global_load_dwordx4 v[18:21], v[18:19], off
	s_waitcnt vmcnt(0)
	ds_write_b128 v193, v[18:21]
	v_add_co_u32_e32 v18, vcc, s9, v42
	v_mov_b32_e32 v19, s74
	;; [unrolled: 8-line block ×3, first 2 shown]
	v_addc_co_u32_e32 v19, vcc, v19, v45, vcc
	v_add_co_u32_e32 v18, vcc, v18, v113
	v_addc_co_u32_e32 v19, vcc, 0, v19, vcc
	global_load_dwordx4 v[18:21], v[18:19], off
	s_waitcnt vmcnt(0)
	ds_write_b128 v195, v[18:21]
	s_waitcnt lgkmcnt(0)
	s_barrier
	ds_read2_b64 v[18:21], v168 offset1:4
	s_waitcnt lgkmcnt(0)
	v_mfma_f32_16x16x16f16 v[22:25], v[18:19], v[14:15], 0
	v_mfma_f32_16x16x16f16 v[18:21], v[20:21], v[16:17], v[22:25]
	s_nop 7
	s_nop 1
	ds_read2_b64 v[22:25], v168 offset0:8 offset1:12
	s_waitcnt lgkmcnt(0)
	v_mfma_f32_16x16x16f16 v[18:21], v[22:23], v[10:11], v[18:21]
	v_mfma_f32_16x16x16f16 v[18:21], v[24:25], v[12:13], v[18:21]
	ds_read2_b64 v[22:25], v168 offset0:16 offset1:20
	s_waitcnt lgkmcnt(0)
	v_mfma_f32_16x16x16f16 v[18:21], v[22:23], v[6:7], v[18:21]
	v_mfma_f32_16x16x16f16 v[18:21], v[24:25], v[8:9], v[18:21]
	ds_read2_b64 v[22:25], v168 offset0:24 offset1:28
	v_add_u32_e32 v168, 0x2000, v168
	s_waitcnt lgkmcnt(0)
	v_mfma_f32_16x16x16f16 v[18:21], v[22:23], v[2:3], v[18:21]
	v_mfma_f32_16x16x16f16 v[18:21], v[24:25], v[4:5], v[18:21]
	ds_read2_b64 v[22:25], v168 offset0:64 offset1:68
	s_waitcnt lgkmcnt(0)
	v_mfma_f32_16x16x16f16 v[230:233], v[22:23], v[14:15], 0
	s_nop 7
	v_cmp_nlt_f32_e64 s[74:75], |v18|, s45
	v_mfma_f32_16x16x16f16 v[22:25], v[24:25], v[16:17], v[230:233]
	s_nop 6
	ds_read2_b64 v[230:233], v168 offset0:72 offset1:76
	s_waitcnt lgkmcnt(0)
	v_mfma_f32_16x16x16f16 v[22:25], v[230:231], v[10:11], v[22:25]
	v_mfma_f32_16x16x16f16 v[22:25], v[232:233], v[12:13], v[22:25]
	ds_read2_b64 v[230:233], v168 offset0:80 offset1:84
	s_waitcnt lgkmcnt(0)
	v_mfma_f32_16x16x16f16 v[22:25], v[230:231], v[6:7], v[22:25]
	v_mfma_f32_16x16x16f16 v[22:25], v[232:233], v[8:9], v[22:25]
	ds_read2_b64 v[230:233], v168 offset0:88 offset1:92
	s_waitcnt lgkmcnt(0)
	s_barrier
	v_mfma_f32_16x16x16f16 v[22:25], v[230:231], v[2:3], v[22:25]
                                        ; implicit-def: $vgpr230
	v_mfma_f32_16x16x16f16 v[22:25], v[232:233], v[4:5], v[22:25]
	s_and_saveexec_b64 s[78:79], s[74:75]
	s_xor_b64 s[74:75], exec, s[78:79]
	s_cbranch_execz .LBB25_57
; %bb.56:                               ;   in Loop: Header=BB25_55 Depth=2
	v_add_f32_e64 v168, |v18|, |v18|
	v_mul_f32_e32 v230, 0x3fb8aa3b, v168
	v_rndne_f32_e32 v231, v230
	v_sub_f32_e32 v232, v230, v231
	v_fma_f32 v230, v168, s67, -v230
	v_fmac_f32_e32 v230, 0x32a5705f, v168
	v_add_f32_e32 v230, v232, v230
	v_cvt_i32_f32_e32 v231, v231
	v_exp_f32_e32 v230, v230
	v_cmp_ngt_f32_e32 vcc, s55, v168
	v_ldexp_f32 v230, v230, v231
	v_cndmask_b32_e32 v230, 0, v230, vcc
	v_cmp_nlt_f32_e32 vcc, s7, v168
	v_cndmask_b32_e32 v168, v222, v230, vcc
	v_add_f32_e32 v168, 1.0, v168
	v_rcp_f32_e32 v168, v168
	v_fma_f32 v230, v168, -2.0, 1.0
.LBB25_57:                              ;   in Loop: Header=BB25_55 Depth=2
	s_andn2_saveexec_b64 s[74:75], s[74:75]
; %bb.58:                               ;   in Loop: Header=BB25_55 Depth=2
	v_mul_f32_e32 v168, v18, v18
	v_mov_b32_e32 v230, 0x3ca908c9
	v_fmac_f32_e32 v230, 0xbbbac73d, v168
	v_fma_f32 v230, v168, v230, v219
	v_fma_f32 v230, v168, v230, v220
	;; [unrolled: 1-line block ×3, first 2 shown]
	v_mul_f32_e64 v230, |v18|, v230
	v_fma_f32 v230, v168, v230, |v18|
; %bb.59:                               ;   in Loop: Header=BB25_55 Depth=2
	s_or_b64 exec, exec, s[74:75]
	v_cmp_nlt_f32_e64 s[74:75], |v19|, s45
                                        ; implicit-def: $vgpr231
	s_and_saveexec_b64 s[78:79], s[74:75]
	s_xor_b64 s[74:75], exec, s[78:79]
	s_cbranch_execz .LBB25_61
; %bb.60:                               ;   in Loop: Header=BB25_55 Depth=2
	v_add_f32_e64 v168, |v19|, |v19|
	v_mul_f32_e32 v231, 0x3fb8aa3b, v168
	v_rndne_f32_e32 v232, v231
	v_sub_f32_e32 v233, v231, v232
	v_fma_f32 v231, v168, s67, -v231
	v_fmac_f32_e32 v231, 0x32a5705f, v168
	v_add_f32_e32 v231, v233, v231
	v_cvt_i32_f32_e32 v232, v232
	v_exp_f32_e32 v231, v231
	v_cmp_ngt_f32_e32 vcc, s55, v168
	v_ldexp_f32 v231, v231, v232
	v_cndmask_b32_e32 v231, 0, v231, vcc
	v_cmp_nlt_f32_e32 vcc, s7, v168
	v_cndmask_b32_e32 v168, v222, v231, vcc
	v_add_f32_e32 v168, 1.0, v168
	v_rcp_f32_e32 v168, v168
	v_fma_f32 v231, v168, -2.0, 1.0
.LBB25_61:                              ;   in Loop: Header=BB25_55 Depth=2
	s_andn2_saveexec_b64 s[74:75], s[74:75]
; %bb.62:                               ;   in Loop: Header=BB25_55 Depth=2
	v_mul_f32_e32 v168, v19, v19
	v_mov_b32_e32 v231, 0x3ca908c9
	v_fmac_f32_e32 v231, 0xbbbac73d, v168
	v_fma_f32 v231, v168, v231, v219
	v_fma_f32 v231, v168, v231, v220
	;; [unrolled: 1-line block ×3, first 2 shown]
	v_mul_f32_e64 v231, |v19|, v231
	v_fma_f32 v231, v168, v231, |v19|
; %bb.63:                               ;   in Loop: Header=BB25_55 Depth=2
	s_or_b64 exec, exec, s[74:75]
	v_cmp_nlt_f32_e64 s[74:75], |v20|, s45
                                        ; implicit-def: $vgpr232
	s_and_saveexec_b64 s[78:79], s[74:75]
	s_xor_b64 s[74:75], exec, s[78:79]
	s_cbranch_execz .LBB25_65
; %bb.64:                               ;   in Loop: Header=BB25_55 Depth=2
	v_add_f32_e64 v168, |v20|, |v20|
	v_mul_f32_e32 v232, 0x3fb8aa3b, v168
	v_rndne_f32_e32 v233, v232
	v_sub_f32_e32 v234, v232, v233
	v_fma_f32 v232, v168, s67, -v232
	v_fmac_f32_e32 v232, 0x32a5705f, v168
	v_add_f32_e32 v232, v234, v232
	v_cvt_i32_f32_e32 v233, v233
	v_exp_f32_e32 v232, v232
	v_cmp_ngt_f32_e32 vcc, s55, v168
	v_ldexp_f32 v232, v232, v233
	v_cndmask_b32_e32 v232, 0, v232, vcc
	v_cmp_nlt_f32_e32 vcc, s7, v168
	v_cndmask_b32_e32 v168, v222, v232, vcc
	v_add_f32_e32 v168, 1.0, v168
	v_rcp_f32_e32 v168, v168
	v_fma_f32 v232, v168, -2.0, 1.0
.LBB25_65:                              ;   in Loop: Header=BB25_55 Depth=2
	s_andn2_saveexec_b64 s[74:75], s[74:75]
; %bb.66:                               ;   in Loop: Header=BB25_55 Depth=2
	v_mul_f32_e32 v168, v20, v20
	v_mov_b32_e32 v232, 0x3ca908c9
	v_fmac_f32_e32 v232, 0xbbbac73d, v168
	v_fma_f32 v232, v168, v232, v219
	v_fma_f32 v232, v168, v232, v220
	;; [unrolled: 1-line block ×3, first 2 shown]
	v_mul_f32_e64 v232, |v20|, v232
	v_fma_f32 v232, v168, v232, |v20|
; %bb.67:                               ;   in Loop: Header=BB25_55 Depth=2
	s_or_b64 exec, exec, s[74:75]
	v_cmp_nlt_f32_e64 s[74:75], |v21|, s45
                                        ; implicit-def: $vgpr233
	s_and_saveexec_b64 s[78:79], s[74:75]
	s_xor_b64 s[74:75], exec, s[78:79]
	s_cbranch_execz .LBB25_69
; %bb.68:                               ;   in Loop: Header=BB25_55 Depth=2
	v_add_f32_e64 v168, |v21|, |v21|
	v_mul_f32_e32 v233, 0x3fb8aa3b, v168
	v_rndne_f32_e32 v234, v233
	v_sub_f32_e32 v235, v233, v234
	v_fma_f32 v233, v168, s67, -v233
	v_fmac_f32_e32 v233, 0x32a5705f, v168
	v_add_f32_e32 v233, v235, v233
	v_cvt_i32_f32_e32 v234, v234
	v_exp_f32_e32 v233, v233
	v_cmp_ngt_f32_e32 vcc, s55, v168
	v_ldexp_f32 v233, v233, v234
	v_cndmask_b32_e32 v233, 0, v233, vcc
	v_cmp_nlt_f32_e32 vcc, s7, v168
	v_cndmask_b32_e32 v168, v222, v233, vcc
	v_add_f32_e32 v168, 1.0, v168
	v_rcp_f32_e32 v168, v168
	v_fma_f32 v233, v168, -2.0, 1.0
.LBB25_69:                              ;   in Loop: Header=BB25_55 Depth=2
	s_andn2_saveexec_b64 s[74:75], s[74:75]
; %bb.70:                               ;   in Loop: Header=BB25_55 Depth=2
	v_mul_f32_e32 v168, v21, v21
	v_mov_b32_e32 v233, 0x3ca908c9
	v_fmac_f32_e32 v233, 0xbbbac73d, v168
	v_fma_f32 v233, v168, v233, v219
	v_fma_f32 v233, v168, v233, v220
	v_fma_f32 v233, v168, v233, v221
	v_mul_f32_e64 v233, |v21|, v233
	v_fma_f32 v233, v168, v233, |v21|
; %bb.71:                               ;   in Loop: Header=BB25_55 Depth=2
	s_or_b64 exec, exec, s[74:75]
	v_cmp_nlt_f32_e64 s[74:75], |v22|, s45
                                        ; implicit-def: $vgpr234
	s_and_saveexec_b64 s[78:79], s[74:75]
	s_xor_b64 s[74:75], exec, s[78:79]
	s_cbranch_execz .LBB25_73
; %bb.72:                               ;   in Loop: Header=BB25_55 Depth=2
	v_add_f32_e64 v168, |v22|, |v22|
	v_mul_f32_e32 v234, 0x3fb8aa3b, v168
	v_rndne_f32_e32 v235, v234
	v_sub_f32_e32 v236, v234, v235
	v_fma_f32 v234, v168, s67, -v234
	v_fmac_f32_e32 v234, 0x32a5705f, v168
	v_add_f32_e32 v234, v236, v234
	v_cvt_i32_f32_e32 v235, v235
	v_exp_f32_e32 v234, v234
	v_cmp_ngt_f32_e32 vcc, s55, v168
	v_ldexp_f32 v234, v234, v235
	v_cndmask_b32_e32 v234, 0, v234, vcc
	v_cmp_nlt_f32_e32 vcc, s7, v168
	v_cndmask_b32_e32 v168, v222, v234, vcc
	v_add_f32_e32 v168, 1.0, v168
	v_rcp_f32_e32 v168, v168
	v_fma_f32 v234, v168, -2.0, 1.0
.LBB25_73:                              ;   in Loop: Header=BB25_55 Depth=2
	s_andn2_saveexec_b64 s[74:75], s[74:75]
; %bb.74:                               ;   in Loop: Header=BB25_55 Depth=2
	v_mul_f32_e32 v168, v22, v22
	v_mov_b32_e32 v234, 0x3ca908c9
	v_fmac_f32_e32 v234, 0xbbbac73d, v168
	v_fma_f32 v234, v168, v234, v219
	v_fma_f32 v234, v168, v234, v220
	;; [unrolled: 1-line block ×3, first 2 shown]
	v_mul_f32_e64 v234, |v22|, v234
	v_fma_f32 v234, v168, v234, |v22|
; %bb.75:                               ;   in Loop: Header=BB25_55 Depth=2
	s_or_b64 exec, exec, s[74:75]
	v_cmp_nlt_f32_e64 s[74:75], |v23|, s45
                                        ; implicit-def: $vgpr235
	s_and_saveexec_b64 s[78:79], s[74:75]
	s_xor_b64 s[74:75], exec, s[78:79]
	s_cbranch_execz .LBB25_77
; %bb.76:                               ;   in Loop: Header=BB25_55 Depth=2
	v_add_f32_e64 v168, |v23|, |v23|
	v_mul_f32_e32 v235, 0x3fb8aa3b, v168
	v_rndne_f32_e32 v236, v235
	v_sub_f32_e32 v237, v235, v236
	v_fma_f32 v235, v168, s67, -v235
	v_fmac_f32_e32 v235, 0x32a5705f, v168
	v_add_f32_e32 v235, v237, v235
	v_cvt_i32_f32_e32 v236, v236
	v_exp_f32_e32 v235, v235
	v_cmp_ngt_f32_e32 vcc, s55, v168
	v_ldexp_f32 v235, v235, v236
	v_cndmask_b32_e32 v235, 0, v235, vcc
	v_cmp_nlt_f32_e32 vcc, s7, v168
	v_cndmask_b32_e32 v168, v222, v235, vcc
	v_add_f32_e32 v168, 1.0, v168
	v_rcp_f32_e32 v168, v168
	v_fma_f32 v235, v168, -2.0, 1.0
.LBB25_77:                              ;   in Loop: Header=BB25_55 Depth=2
	s_andn2_saveexec_b64 s[74:75], s[74:75]
; %bb.78:                               ;   in Loop: Header=BB25_55 Depth=2
	v_mul_f32_e32 v168, v23, v23
	v_mov_b32_e32 v235, 0x3ca908c9
	v_fmac_f32_e32 v235, 0xbbbac73d, v168
	v_fma_f32 v235, v168, v235, v219
	v_fma_f32 v235, v168, v235, v220
	;; [unrolled: 1-line block ×3, first 2 shown]
	v_mul_f32_e64 v235, |v23|, v235
	v_fma_f32 v235, v168, v235, |v23|
; %bb.79:                               ;   in Loop: Header=BB25_55 Depth=2
	s_or_b64 exec, exec, s[74:75]
	v_cmp_nlt_f32_e64 s[74:75], |v24|, s45
                                        ; implicit-def: $vgpr236
	s_and_saveexec_b64 s[78:79], s[74:75]
	s_xor_b64 s[74:75], exec, s[78:79]
	s_cbranch_execz .LBB25_81
; %bb.80:                               ;   in Loop: Header=BB25_55 Depth=2
	v_add_f32_e64 v168, |v24|, |v24|
	v_mul_f32_e32 v236, 0x3fb8aa3b, v168
	v_rndne_f32_e32 v237, v236
	v_sub_f32_e32 v238, v236, v237
	v_fma_f32 v236, v168, s67, -v236
	v_fmac_f32_e32 v236, 0x32a5705f, v168
	v_add_f32_e32 v236, v238, v236
	v_cvt_i32_f32_e32 v237, v237
	v_exp_f32_e32 v236, v236
	v_cmp_ngt_f32_e32 vcc, s55, v168
	v_ldexp_f32 v236, v236, v237
	v_cndmask_b32_e32 v236, 0, v236, vcc
	v_cmp_nlt_f32_e32 vcc, s7, v168
	v_cndmask_b32_e32 v168, v222, v236, vcc
	v_add_f32_e32 v168, 1.0, v168
	v_rcp_f32_e32 v168, v168
	v_fma_f32 v236, v168, -2.0, 1.0
.LBB25_81:                              ;   in Loop: Header=BB25_55 Depth=2
	s_andn2_saveexec_b64 s[74:75], s[74:75]
; %bb.82:                               ;   in Loop: Header=BB25_55 Depth=2
	v_mul_f32_e32 v168, v24, v24
	v_mov_b32_e32 v236, 0x3ca908c9
	v_fmac_f32_e32 v236, 0xbbbac73d, v168
	v_fma_f32 v236, v168, v236, v219
	v_fma_f32 v236, v168, v236, v220
	;; [unrolled: 1-line block ×3, first 2 shown]
	v_mul_f32_e64 v236, |v24|, v236
	v_fma_f32 v236, v168, v236, |v24|
; %bb.83:                               ;   in Loop: Header=BB25_55 Depth=2
	s_or_b64 exec, exec, s[74:75]
	v_cmp_nlt_f32_e64 s[74:75], |v25|, s45
                                        ; implicit-def: $vgpr237
	s_and_saveexec_b64 s[78:79], s[74:75]
	s_xor_b64 s[74:75], exec, s[78:79]
	s_cbranch_execz .LBB25_85
; %bb.84:                               ;   in Loop: Header=BB25_55 Depth=2
	v_add_f32_e64 v168, |v25|, |v25|
	v_mul_f32_e32 v237, 0x3fb8aa3b, v168
	v_rndne_f32_e32 v238, v237
	v_sub_f32_e32 v239, v237, v238
	v_fma_f32 v237, v168, s67, -v237
	v_fmac_f32_e32 v237, 0x32a5705f, v168
	v_add_f32_e32 v237, v239, v237
	v_cvt_i32_f32_e32 v238, v238
	v_exp_f32_e32 v237, v237
	v_cmp_ngt_f32_e32 vcc, s55, v168
	v_ldexp_f32 v237, v237, v238
	v_cndmask_b32_e32 v237, 0, v237, vcc
	v_cmp_nlt_f32_e32 vcc, s7, v168
	v_cndmask_b32_e32 v168, v222, v237, vcc
	v_add_f32_e32 v168, 1.0, v168
	v_rcp_f32_e32 v168, v168
	v_fma_f32 v237, v168, -2.0, 1.0
.LBB25_85:                              ;   in Loop: Header=BB25_55 Depth=2
	s_andn2_saveexec_b64 s[74:75], s[74:75]
; %bb.86:                               ;   in Loop: Header=BB25_55 Depth=2
	v_mul_f32_e32 v168, v25, v25
	v_mov_b32_e32 v237, 0x3ca908c9
	v_fmac_f32_e32 v237, 0xbbbac73d, v168
	v_fma_f32 v237, v168, v237, v219
	v_fma_f32 v237, v168, v237, v220
	;; [unrolled: 1-line block ×3, first 2 shown]
	v_mul_f32_e64 v237, |v25|, v237
	v_fma_f32 v237, v168, v237, |v25|
; %bb.87:                               ;   in Loop: Header=BB25_55 Depth=2
	s_or_b64 exec, exec, s[74:75]
	v_add_u32_e32 v168, 0x4400, v87
	v_bfi_b32 v22, s6, v234, v22
	v_bfi_b32 v19, s6, v231, v19
	;; [unrolled: 1-line block ×3, first 2 shown]
	ds_read2_b32 v[230:231], v168 offset1:1
	ds_read_b32 v168, v117 offset:17408
	ds_read_b32 v234, v118 offset:17408
	v_bfi_b32 v21, s6, v233, v21
	v_bfi_b32 v20, s6, v232, v20
	s_waitcnt lgkmcnt(2)
	v_cvt_f32_f16_e32 v232, v230
	v_cvt_f32_f16_sdwa v233, v230 dst_sel:DWORD dst_unused:UNUSED_PAD src0_sel:WORD_1
	v_bfi_b32 v25, s6, v237, v25
	v_bfi_b32 v24, s6, v236, v24
	;; [unrolled: 1-line block ×3, first 2 shown]
	v_pk_fma_f32 v[18:19], v[18:19], s[34:35], v[232:233]
	v_add_f32_e32 v230, 0x40051340, v18
	v_add_f32_e32 v232, 0x40051340, v19
	v_max3_f32 v230, v229, v230, v232
	s_waitcnt lgkmcnt(0)
	v_cvt_f32_f16_sdwa v233, v234 dst_sel:DWORD dst_unused:UNUSED_PAD src0_sel:WORD_1
	v_cvt_f32_f16_e32 v232, v234
	s_mul_hi_i32 s75, s8, s30
	s_mul_i32 s74, s8, s30
	s_lshl_b64 s[74:75], s[74:75], 2
	v_pk_fma_f32 v[24:25], v[24:25], s[34:35], v[232:233]
	v_cvt_f32_f16_sdwa v233, v168 dst_sel:DWORD dst_unused:UNUSED_PAD src0_sel:WORD_1
	v_cvt_f32_f16_e32 v232, v168
	v_add_f32_e32 v234, 0x40051340, v24
	v_add_f32_e32 v235, 0x40051340, v25
	s_add_u32 s9, s82, s74
	v_pk_fma_f32 v[232:233], v[22:23], s[34:35], v[232:233]
	v_cvt_f32_f16_e32 v22, v231
	v_cvt_f32_f16_sdwa v23, v231 dst_sel:DWORD dst_unused:UNUSED_PAD src0_sel:WORD_1
	v_add_f32_e32 v168, 0x40051340, v232
	v_add_f32_e32 v236, 0x40051340, v233
	s_addc_u32 s74, s83, s75
	v_pk_fma_f32 v[20:21], v[20:21], s[34:35], v[22:23]
	v_add_f32_e32 v22, 0x40051340, v20
	v_add_f32_e32 v23, 0x40051340, v21
	v_max3_f32 v22, v230, v22, v23
	v_max3_f32 v22, v22, v168, v236
	;; [unrolled: 1-line block ×3, first 2 shown]
	ds_bpermute_b32 v23, v70, v22
	s_add_i32 s76, s76, 1
	s_add_i32 s8, s8, 64
	s_cmp_lt_i32 s76, s77
	s_waitcnt lgkmcnt(0)
	v_max_f32_e32 v23, v23, v23
	v_max_f32_e32 v22, v22, v23
	ds_bpermute_b32 v23, v72, v22
	s_waitcnt lgkmcnt(0)
	v_max_f32_e32 v23, v23, v23
	v_max_f32_e32 v22, v22, v23
	v_pk_add_f32 v[18:19], v[18:19], v[22:23] op_sel_hi:[1,0] neg_lo:[0,1] neg_hi:[0,1]
	v_mul_f32_e32 v23, 0x3fb8aa3b, v19
	v_fma_f32 v168, v19, s67, -v23
	v_rndne_f32_e32 v230, v23
	v_fmac_f32_e32 v168, 0x32a5705f, v19
	v_sub_f32_e32 v23, v23, v230
	v_add_f32_e32 v23, v23, v168
	v_exp_f32_e32 v23, v23
	v_cvt_i32_f32_e32 v168, v230
	v_cmp_ngt_f32_e32 vcc, s55, v19
	v_ldexp_f32 v23, v23, v168
	v_cndmask_b32_e32 v23, 0, v23, vcc
	v_cmp_nlt_f32_e32 vcc, s7, v19
	v_mul_f32_e32 v19, 0x3fb8aa3b, v18
	v_cndmask_b32_e32 v168, v222, v23, vcc
	v_fma_f32 v23, v18, s67, -v19
	v_rndne_f32_e32 v230, v19
	v_fmac_f32_e32 v23, 0x32a5705f, v18
	v_sub_f32_e32 v19, v19, v230
	v_add_f32_e32 v19, v19, v23
	v_exp_f32_e32 v19, v19
	v_cvt_i32_f32_e32 v23, v230
	v_cmp_ngt_f32_e32 vcc, s55, v18
	v_ldexp_f32 v19, v19, v23
	v_cndmask_b32_e32 v19, 0, v19, vcc
	v_cmp_nlt_f32_e32 vcc, s7, v18
	v_cndmask_b32_e32 v230, v222, v19, vcc
	v_pk_add_f32 v[18:19], v[20:21], v[22:23] op_sel_hi:[1,0] neg_lo:[0,1] neg_hi:[0,1]
	v_mul_f32_e32 v20, 0x3fb8aa3b, v19
	v_fma_f32 v21, v19, s67, -v20
	v_rndne_f32_e32 v23, v20
	v_fmac_f32_e32 v21, 0x32a5705f, v19
	v_sub_f32_e32 v20, v20, v23
	v_add_f32_e32 v20, v20, v21
	v_exp_f32_e32 v20, v20
	v_cvt_i32_f32_e32 v21, v23
	v_cmp_ngt_f32_e32 vcc, s55, v19
	v_ldexp_f32 v20, v20, v21
	v_cndmask_b32_e32 v20, 0, v20, vcc
	v_cmp_nlt_f32_e32 vcc, s7, v19
	v_mul_f32_e32 v19, 0x3fb8aa3b, v18
	v_cndmask_b32_e32 v21, v222, v20, vcc
	v_fma_f32 v20, v18, s67, -v19
	v_rndne_f32_e32 v23, v19
	v_fmac_f32_e32 v20, 0x32a5705f, v18
	v_sub_f32_e32 v19, v19, v23
	v_add_f32_e32 v19, v19, v20
	v_exp_f32_e32 v19, v19
	v_cvt_i32_f32_e32 v20, v23
	v_cmp_ngt_f32_e32 vcc, s55, v18
	v_ldexp_f32 v19, v19, v20
	v_cndmask_b32_e32 v19, 0, v19, vcc
	v_cmp_nlt_f32_e32 vcc, s7, v18
	v_cndmask_b32_e32 v231, v222, v19, vcc
	;; [unrolled: 27-line block ×3, first 2 shown]
	v_pk_add_f32 v[18:19], v[24:25], v[22:23] op_sel_hi:[1,0] neg_lo:[0,1] neg_hi:[0,1]
	v_mul_f32_e32 v20, 0x3fb8aa3b, v19
	v_fma_f32 v23, v19, s67, -v20
	v_rndne_f32_e32 v24, v20
	v_fmac_f32_e32 v23, 0x32a5705f, v19
	v_sub_f32_e32 v20, v20, v24
	v_add_f32_e32 v20, v20, v23
	v_exp_f32_e32 v20, v20
	v_cvt_i32_f32_e32 v23, v24
	v_cmp_ngt_f32_e32 vcc, s55, v19
	v_ldexp_f32 v20, v20, v23
	v_cndmask_b32_e32 v20, 0, v20, vcc
	v_cmp_nlt_f32_e32 vcc, s7, v19
	v_cndmask_b32_e32 v19, v222, v20, vcc
	v_mul_f32_e32 v20, 0x3fb8aa3b, v18
	v_fma_f32 v23, v18, s67, -v20
	v_rndne_f32_e32 v24, v20
	v_fmac_f32_e32 v23, 0x32a5705f, v18
	v_sub_f32_e32 v20, v20, v24
	v_add_f32_e32 v20, v20, v23
	v_exp_f32_e32 v20, v20
	v_cvt_i32_f32_e32 v23, v24
	v_cmp_ngt_f32_e32 vcc, s55, v18
	v_ldexp_f32 v20, v20, v23
	v_cndmask_b32_e32 v20, 0, v20, vcc
	v_cmp_nlt_f32_e32 vcc, s7, v18
	v_add_f32_e32 v18, v230, v168
	v_add_f32_e32 v18, v231, v18
	;; [unrolled: 1-line block ×4, first 2 shown]
	v_cndmask_b32_e32 v234, v222, v20, vcc
	v_add_f32_e32 v18, v232, v18
	v_add_f32_e32 v18, v234, v18
	;; [unrolled: 1-line block ×3, first 2 shown]
	v_sub_f32_e32 v18, v229, v22
	v_mul_f32_e32 v20, 0x3fb8aa3b, v18
	v_fma_f32 v24, v18, s67, -v20
	v_rndne_f32_e32 v25, v20
	v_fmac_f32_e32 v24, 0x32a5705f, v18
	v_sub_f32_e32 v20, v20, v25
	v_add_f32_e32 v20, v20, v24
	v_exp_f32_e32 v20, v20
	v_cvt_i32_f32_e32 v24, v25
	v_cmp_ngt_f32_e32 vcc, s55, v18
	v_cvt_f16_f32_e32 v19, v19
	v_ldexp_f32 v20, v20, v24
	v_cndmask_b32_e32 v20, 0, v20, vcc
	v_cmp_nlt_f32_e32 vcc, s7, v18
	v_cndmask_b32_e32 v20, v222, v20, vcc
	v_cmp_le_f32_e32 vcc, s89, v18
	v_cndmask_b32_e32 v18, 0, v20, vcc
	v_fmac_f32_e32 v23, v228, v18
	v_cvt_f16_f32_e32 v18, v18
	v_cvt_f16_f32_e32 v20, v168
	;; [unrolled: 1-line block ×3, first 2 shown]
	v_mov_b32_e32 v228, s74
	v_pk_mul_f16 v47, v18, v47 op_sel_hi:[0,1]
	v_pk_mul_f16 v1, v18, v1 op_sel_hi:[0,1]
	;; [unrolled: 1-line block ×16, first 2 shown]
	v_cvt_f16_f32_e32 v18, v230
	v_mov_b32_e32 v226, s74
	v_pack_b32_f16 v20, v18, v20
	v_cvt_f16_f32_e32 v18, v21
	v_cvt_f16_f32_e32 v21, v231
	v_pack_b32_f16 v21, v21, v18
	v_cvt_f16_f32_e32 v18, v232
	v_pack_b32_f16 v18, v168, v18
	;; [unrolled: 2-line block ×3, first 2 shown]
	v_add_co_u32_e32 v168, vcc, s9, v30
	v_addc_co_u32_e32 v227, vcc, v226, v31, vcc
	v_add_co_u32_e32 v226, vcc, v168, v113
	v_addc_co_u32_e32 v227, vcc, 0, v227, vcc
	;; [unrolled: 2-line block ×4, first 2 shown]
	v_add_co_u32_e32 v168, vcc, s9, v34
	v_mov_b32_e32 v228, s74
	v_addc_co_u32_e32 v228, vcc, v228, v35, vcc
	v_add_co_u32_e32 v232, vcc, v168, v113
	v_addc_co_u32_e32 v233, vcc, 0, v228, vcc
	v_add_co_u32_e32 v168, vcc, s9, v36
	v_mov_b32_e32 v228, s74
	v_addc_co_u32_e32 v228, vcc, v228, v37, vcc
	v_add_co_u32_e32 v234, vcc, v168, v113
	v_addc_co_u32_e32 v235, vcc, 0, v228, vcc
	global_load_dwordx4 v[226:229], v[226:227], off
	s_waitcnt vmcnt(0)
	ds_write_b128 v86, v[226:229]
	global_load_dwordx4 v[226:229], v[230:231], off
	s_waitcnt vmcnt(0)
	ds_write_b128 v193, v[226:229]
	;; [unrolled: 3-line block ×4, first 2 shown]
	s_waitcnt lgkmcnt(0)
	s_barrier
	ds_read_u16 v168, v89 offset:272
	ds_read_u16 v230, v89 offset:544
	v_cvt_f32_f16_e32 v228, v1
	v_cvt_f32_f16_sdwa v229, v1 dst_sel:DWORD dst_unused:UNUSED_PAD src0_sel:WORD_1
	ds_read_u16 v1, v90
	ds_read_u16 v232, v90 offset:32
	v_cvt_f32_f16_e32 v226, v47
	v_cvt_f32_f16_sdwa v227, v47 dst_sel:DWORD dst_unused:UNUSED_PAD src0_sel:WORD_1
	s_waitcnt lgkmcnt(1)
	v_perm_b32 v231, v1, v230, s66
	ds_read_u16 v1, v88
	ds_read_u16 v233, v88 offset:32
	s_waitcnt lgkmcnt(1)
	v_perm_b32 v230, v168, v1, s66
	s_nop 1
	v_mfma_f32_16x16x16f16 v[226:229], v[230:231], v[20:21], v[226:229]
	ds_read_u16 v230, v88 offset:8704
	ds_read_u16 v234, v196 offset:272
	;; [unrolled: 1-line block ×4, first 2 shown]
	s_waitcnt lgkmcnt(2)
	v_perm_b32 v230, v234, v230, s66
	s_waitcnt lgkmcnt(0)
	v_perm_b32 v231, v235, v231, s66
	s_nop 2
	v_cvt_f16_f32_e32 v1, v226
	v_cvt_f16_f32_e32 v47, v227
	;; [unrolled: 1-line block ×4, first 2 shown]
	v_cvt_f32_f16_e32 v226, v1
	v_cvt_f32_f16_e32 v227, v47
	;; [unrolled: 1-line block ×4, first 2 shown]
	s_nop 1
	v_mfma_f32_16x16x16f16 v[226:229], v[230:231], v[18:19], v[226:229]
	s_nop 7
	s_nop 2
	v_cvt_f16_f32_e32 v1, v226
	v_cvt_f16_f32_e32 v47, v227
	;; [unrolled: 1-line block ×4, first 2 shown]
	v_cvt_f32_f16_sdwa v227, v51 dst_sel:DWORD dst_unused:UNUSED_PAD src0_sel:WORD_1
	v_pack_b32_f16 v47, v1, v47
	v_cvt_f32_f16_e32 v228, v49
	v_pack_b32_f16 v1, v168, v226
	ds_read_u16 v168, v197 offset:272
	ds_read_u16 v230, v197 offset:544
	v_cvt_f32_f16_e32 v226, v51
	v_cvt_f32_f16_sdwa v229, v49 dst_sel:DWORD dst_unused:UNUSED_PAD src0_sel:WORD_1
	s_waitcnt lgkmcnt(0)
	v_perm_b32 v231, v232, v230, s66
	v_perm_b32 v230, v168, v233, s66
	s_nop 1
	v_mfma_f32_16x16x16f16 v[226:229], v[230:231], v[20:21], v[226:229]
	ds_read_u16 v230, v91 offset:8704
	ds_read_u16 v232, v92 offset:272
	;; [unrolled: 1-line block ×4, first 2 shown]
	s_waitcnt lgkmcnt(2)
	v_perm_b32 v230, v232, v230, s66
	s_waitcnt lgkmcnt(0)
	v_perm_b32 v231, v233, v231, s66
	s_nop 2
	v_cvt_f16_f32_e32 v49, v226
	v_cvt_f16_f32_e32 v51, v227
	;; [unrolled: 1-line block ×4, first 2 shown]
	v_cvt_f32_f16_e32 v226, v49
	v_cvt_f32_f16_e32 v227, v51
	;; [unrolled: 1-line block ×4, first 2 shown]
	s_nop 1
	v_mfma_f32_16x16x16f16 v[226:229], v[230:231], v[18:19], v[226:229]
	s_nop 7
	s_nop 2
	v_cvt_f16_f32_e32 v49, v226
	v_cvt_f16_f32_e32 v51, v227
	;; [unrolled: 1-line block ×4, first 2 shown]
	v_cvt_f32_f16_sdwa v227, v55 dst_sel:DWORD dst_unused:UNUSED_PAD src0_sel:WORD_1
	v_pack_b32_f16 v51, v49, v51
	v_cvt_f32_f16_e32 v228, v53
	v_pack_b32_f16 v49, v168, v226
	ds_read_u16 v168, v88 offset:64
	ds_read_u16 v230, v199 offset:272
	;; [unrolled: 1-line block ×4, first 2 shown]
	v_cvt_f32_f16_e32 v226, v55
	v_cvt_f32_f16_sdwa v229, v53 dst_sel:DWORD dst_unused:UNUSED_PAD src0_sel:WORD_1
	s_waitcnt lgkmcnt(2)
	v_perm_b32 v230, v230, v168, s66
	s_waitcnt lgkmcnt(0)
	v_perm_b32 v231, v232, v231, s66
	s_nop 1
	v_mfma_f32_16x16x16f16 v[226:229], v[230:231], v[20:21], v[226:229]
	ds_read_u16 v230, v94 offset:8704
	ds_read_u16 v232, v95 offset:272
	;; [unrolled: 1-line block ×4, first 2 shown]
	s_waitcnt lgkmcnt(2)
	v_perm_b32 v230, v232, v230, s66
	s_waitcnt lgkmcnt(0)
	v_perm_b32 v231, v233, v231, s66
	s_nop 2
	v_cvt_f16_f32_e32 v53, v226
	v_cvt_f16_f32_e32 v55, v227
	;; [unrolled: 1-line block ×4, first 2 shown]
	v_cvt_f32_f16_e32 v226, v53
	v_cvt_f32_f16_e32 v227, v55
	;; [unrolled: 1-line block ×4, first 2 shown]
	s_nop 1
	v_mfma_f32_16x16x16f16 v[226:229], v[230:231], v[18:19], v[226:229]
	s_nop 7
	s_nop 2
	v_cvt_f16_f32_e32 v53, v226
	v_cvt_f16_f32_e32 v55, v227
	;; [unrolled: 1-line block ×4, first 2 shown]
	v_cvt_f32_f16_sdwa v227, v63 dst_sel:DWORD dst_unused:UNUSED_PAD src0_sel:WORD_1
	v_pack_b32_f16 v55, v53, v55
	v_cvt_f32_f16_e32 v228, v62
	v_pack_b32_f16 v53, v168, v226
	ds_read_u16 v168, v88 offset:96
	ds_read_u16 v230, v201 offset:272
	;; [unrolled: 1-line block ×4, first 2 shown]
	v_cvt_f32_f16_e32 v226, v63
	v_cvt_f32_f16_sdwa v229, v62 dst_sel:DWORD dst_unused:UNUSED_PAD src0_sel:WORD_1
	s_waitcnt lgkmcnt(2)
	v_perm_b32 v62, v230, v168, s66
	s_waitcnt lgkmcnt(0)
	v_perm_b32 v63, v232, v231, s66
	ds_read_u16 v230, v97 offset:8704
	ds_read_u16 v231, v98 offset:272
	;; [unrolled: 1-line block ×4, first 2 shown]
	v_mfma_f32_16x16x16f16 v[226:229], v[62:63], v[20:21], v[226:229]
	s_nop 7
	s_nop 2
	v_cvt_f16_f32_e32 v62, v226
	v_cvt_f16_f32_e32 v63, v227
	;; [unrolled: 1-line block ×4, first 2 shown]
	v_cvt_f32_f16_e32 v226, v62
	v_cvt_f32_f16_e32 v227, v63
	s_waitcnt lgkmcnt(0)
	v_perm_b32 v63, v233, v232, s66
	v_perm_b32 v62, v231, v230, s66
	v_cvt_f32_f16_e32 v228, v168
	v_cvt_f32_f16_e32 v229, v229
	s_nop 1
	v_mfma_f32_16x16x16f16 v[226:229], v[62:63], v[18:19], v[226:229]
	s_nop 7
	s_nop 2
	v_cvt_f16_f32_e32 v62, v226
	v_cvt_f16_f32_e32 v63, v227
	v_cvt_f16_f32_e32 v168, v228
	v_cvt_f16_f32_e32 v226, v229
	v_cvt_f32_f16_sdwa v227, v68 dst_sel:DWORD dst_unused:UNUSED_PAD src0_sel:WORD_1
	v_pack_b32_f16 v63, v62, v63
	v_cvt_f32_f16_e32 v228, v66
	v_pack_b32_f16 v62, v168, v226
	ds_read_u16 v168, v88 offset:128
	ds_read_u16 v230, v203 offset:272
	ds_read_u16 v231, v203 offset:544
	ds_read_u16 v232, v90 offset:128
	v_cvt_f32_f16_e32 v226, v68
	v_cvt_f32_f16_sdwa v229, v66 dst_sel:DWORD dst_unused:UNUSED_PAD src0_sel:WORD_1
	s_waitcnt lgkmcnt(2)
	v_perm_b32 v230, v230, v168, s66
	s_waitcnt lgkmcnt(0)
	v_perm_b32 v231, v232, v231, s66
	s_nop 1
	v_mfma_f32_16x16x16f16 v[226:229], v[230:231], v[20:21], v[226:229]
	ds_read_u16 v230, v100 offset:8704
	ds_read_u16 v232, v101 offset:272
	ds_read_u16 v231, v204 offset:544
	ds_read_u16 v233, v102 offset:8704
	s_waitcnt lgkmcnt(2)
	v_perm_b32 v230, v232, v230, s66
	s_waitcnt lgkmcnt(0)
	v_perm_b32 v231, v233, v231, s66
	s_nop 2
	v_cvt_f16_f32_e32 v66, v226
	v_cvt_f16_f32_e32 v68, v227
	v_cvt_f16_f32_e32 v168, v228
	v_cvt_f16_f32_e32 v229, v229
	v_cvt_f32_f16_e32 v226, v66
	v_cvt_f32_f16_e32 v227, v68
	v_cvt_f32_f16_e32 v228, v168
	v_cvt_f32_f16_e32 v229, v229
	s_nop 1
	v_mfma_f32_16x16x16f16 v[226:229], v[230:231], v[18:19], v[226:229]
	s_nop 7
	s_nop 2
	v_cvt_f16_f32_e32 v66, v226
	v_cvt_f16_f32_e32 v68, v227
	v_cvt_f16_f32_e32 v168, v228
	v_cvt_f16_f32_e32 v226, v229
	v_cvt_f32_f16_sdwa v227, v76 dst_sel:DWORD dst_unused:UNUSED_PAD src0_sel:WORD_1
	v_pack_b32_f16 v68, v66, v68
	v_cvt_f32_f16_e32 v228, v74
	v_pack_b32_f16 v66, v168, v226
	ds_read_u16 v168, v88 offset:160
	ds_read_u16 v230, v205 offset:272
	ds_read_u16 v231, v205 offset:544
	ds_read_u16 v232, v90 offset:160
	v_cvt_f32_f16_e32 v226, v76
	v_cvt_f32_f16_sdwa v229, v74 dst_sel:DWORD dst_unused:UNUSED_PAD src0_sel:WORD_1
	s_waitcnt lgkmcnt(2)
	v_perm_b32 v230, v230, v168, s66
	s_waitcnt lgkmcnt(0)
	v_perm_b32 v231, v232, v231, s66
	s_nop 1
	v_mfma_f32_16x16x16f16 v[226:229], v[230:231], v[20:21], v[226:229]
	ds_read_u16 v230, v103 offset:8704
	ds_read_u16 v232, v104 offset:272
	ds_read_u16 v231, v206 offset:544
	ds_read_u16 v233, v105 offset:8704
	s_waitcnt lgkmcnt(2)
	v_perm_b32 v230, v232, v230, s66
	s_waitcnt lgkmcnt(0)
	v_perm_b32 v231, v233, v231, s66
	s_nop 2
	v_cvt_f16_f32_e32 v74, v226
	v_cvt_f16_f32_e32 v76, v227
	v_cvt_f16_f32_e32 v168, v228
	v_cvt_f16_f32_e32 v229, v229
	v_cvt_f32_f16_e32 v226, v74
	v_cvt_f32_f16_e32 v227, v76
	;; [unrolled: 41-line block ×3, first 2 shown]
	v_cvt_f32_f16_e32 v228, v225
	v_cvt_f32_f16_e32 v229, v229
	s_nop 1
	v_mfma_f32_16x16x16f16 v[226:229], v[230:231], v[18:19], v[226:229]
	s_nop 7
	s_nop 2
	v_cvt_f16_f32_e32 v78, v226
	v_cvt_f16_f32_e32 v168, v227
	;; [unrolled: 1-line block ×4, first 2 shown]
	v_cvt_f32_f16_e32 v228, v24
	v_pack_b32_f16 v225, v78, v168
	ds_read_u16 v168, v88 offset:224
	ds_read_u16 v230, v209 offset:272
	;; [unrolled: 1-line block ×4, first 2 shown]
	v_pack_b32_f16 v78, v226, v227
	v_cvt_f32_f16_e32 v226, v25
	v_cvt_f32_f16_sdwa v227, v25 dst_sel:DWORD dst_unused:UNUSED_PAD src0_sel:WORD_1
	v_cvt_f32_f16_sdwa v229, v24 dst_sel:DWORD dst_unused:UNUSED_PAD src0_sel:WORD_1
	s_waitcnt lgkmcnt(0)
	v_perm_b32 v25, v232, v231, s66
	v_perm_b32 v24, v230, v168, s66
	ds_read_u16 v168, v109 offset:8704
	ds_read_u16 v230, v110 offset:272
	;; [unrolled: 1-line block ×4, first 2 shown]
	v_mfma_f32_16x16x16f16 v[226:229], v[24:25], v[20:21], v[226:229]
	s_waitcnt lgkmcnt(0)
	s_barrier
	s_nop 7
	s_nop 0
	v_cvt_f16_f32_e32 v20, v226
	v_cvt_f16_f32_e32 v21, v227
	;; [unrolled: 1-line block ×4, first 2 shown]
	v_cvt_f32_f16_e32 v226, v20
	v_cvt_f32_f16_e32 v227, v21
	v_perm_b32 v21, v232, v231, s66
	v_perm_b32 v20, v230, v168, s66
	v_cvt_f32_f16_e32 v228, v24
	v_cvt_f32_f16_e32 v229, v25
	s_nop 1
	v_mfma_f32_16x16x16f16 v[18:21], v[20:21], v[18:19], v[226:229]
	s_nop 7
	s_nop 2
	v_cvt_f16_f32_e32 v18, v18
	v_cvt_f16_f32_e32 v19, v19
	;; [unrolled: 1-line block ×4, first 2 shown]
	v_pack_b32_f16 v226, v18, v19
	v_pack_b32_f16 v227, v20, v21
	s_cbranch_scc0 .LBB25_89
; %bb.88:                               ;   in Loop: Header=BB25_55 Depth=2
	v_mov_b32_e32 v228, v23
	v_mov_b32_e32 v229, v22
	s_branch .LBB25_55
.LBB25_89:                              ;   in Loop: Header=BB25_14 Depth=1
	s_lshl_b32 s8, s76, 6
	s_ashr_i32 s9, s8, 31
	s_lshl_b64 s[74:75], s[8:9], 1
	v_add_co_u32_e32 v18, vcc, s74, v224
	v_mov_b32_e32 v19, s75
	v_addc_co_u32_e32 v19, vcc, v223, v19, vcc
	v_lshlrev_b32_e32 v20, 1, v46
	v_add_co_u32_e32 v20, vcc, v18, v20
	v_addc_co_u32_e32 v21, vcc, 0, v19, vcc
	v_lshlrev_b64 v[18:19], 1, v[58:59]
	v_add_co_u32_e32 v18, vcc, v20, v18
	v_addc_co_u32_e32 v19, vcc, v21, v19, vcc
	global_load_dword v18, v[18:19], off
	v_add_u32_e32 v24, v192, v190
	s_mul_hi_i32 s75, s40, s8
	s_mul_i32 s74, s40, s8
	s_lshl_b64 s[74:75], s[74:75], 2
	s_add_u32 s9, s84, s74
	s_addc_u32 s74, s81, s75
	s_waitcnt vmcnt(0)
	ds_write_b32 v24, v18 offset:17408
	v_lshlrev_b64 v[18:19], 1, v[60:61]
	v_add_co_u32_e32 v18, vcc, v20, v18
	v_addc_co_u32_e32 v19, vcc, v21, v19, vcc
	global_load_dword v18, v[18:19], off
	v_mov_b32_e32 v19, s74
	s_waitcnt vmcnt(0)
	ds_write_b32 v24, v18 offset:18560
	v_add_co_u32_e32 v18, vcc, s9, v38
	v_addc_co_u32_e32 v19, vcc, v19, v39, vcc
	v_add_co_u32_e32 v18, vcc, v18, v113
	v_addc_co_u32_e32 v19, vcc, 0, v19, vcc
	global_load_dwordx4 v[18:21], v[18:19], off
	v_add_u32_e32 v24, v85, v116
	s_waitcnt vmcnt(0)
	ds_write_b128 v86, v[18:21]
	v_add_co_u32_e32 v18, vcc, s9, v40
	v_mov_b32_e32 v19, s74
	v_addc_co_u32_e32 v19, vcc, v19, v41, vcc
	v_add_co_u32_e32 v18, vcc, v18, v113
	v_addc_co_u32_e32 v19, vcc, 0, v19, vcc
	global_load_dwordx4 v[18:21], v[18:19], off
	s_waitcnt vmcnt(0)
	ds_write_b128 v193, v[18:21]
	v_add_co_u32_e32 v18, vcc, s9, v42
	v_mov_b32_e32 v19, s74
	v_addc_co_u32_e32 v19, vcc, v19, v43, vcc
	v_add_co_u32_e32 v18, vcc, v18, v113
	v_addc_co_u32_e32 v19, vcc, 0, v19, vcc
	global_load_dwordx4 v[18:21], v[18:19], off
	;; [unrolled: 8-line block ×3, first 2 shown]
	s_waitcnt vmcnt(0)
	ds_write_b128 v195, v[18:21]
	s_waitcnt lgkmcnt(0)
	s_barrier
	ds_read2_b64 v[18:21], v24 offset1:4
	s_waitcnt lgkmcnt(0)
	v_mfma_f32_16x16x16f16 v[58:61], v[18:19], v[14:15], 0
	v_mfma_f32_16x16x16f16 v[18:21], v[20:21], v[16:17], v[58:61]
	s_nop 7
	s_nop 1
	ds_read2_b64 v[58:61], v24 offset0:8 offset1:12
	s_waitcnt lgkmcnt(0)
	v_mfma_f32_16x16x16f16 v[18:21], v[58:59], v[10:11], v[18:21]
	v_mfma_f32_16x16x16f16 v[18:21], v[60:61], v[12:13], v[18:21]
	ds_read2_b64 v[58:61], v24 offset0:16 offset1:20
	s_waitcnt lgkmcnt(0)
	v_mfma_f32_16x16x16f16 v[18:21], v[58:59], v[6:7], v[18:21]
	v_mfma_f32_16x16x16f16 v[18:21], v[60:61], v[8:9], v[18:21]
	ds_read2_b64 v[58:61], v24 offset0:24 offset1:28
	v_add_u32_e32 v24, 0x2000, v24
	s_waitcnt lgkmcnt(0)
	v_mfma_f32_16x16x16f16 v[18:21], v[58:59], v[2:3], v[18:21]
	v_mfma_f32_16x16x16f16 v[18:21], v[60:61], v[4:5], v[18:21]
	ds_read2_b64 v[58:61], v24 offset0:64 offset1:68
	s_waitcnt lgkmcnt(0)
	v_mfma_f32_16x16x16f16 v[228:231], v[58:59], v[14:15], 0
	s_nop 7
	v_cmp_nlt_f32_e64 s[74:75], |v18|, s45
	v_mfma_f32_16x16x16f16 v[14:17], v[60:61], v[16:17], v[228:231]
	ds_read2_b64 v[58:61], v24 offset0:72 offset1:76
	s_waitcnt lgkmcnt(0)
	v_mfma_f32_16x16x16f16 v[14:17], v[58:59], v[10:11], v[14:17]
	v_mfma_f32_16x16x16f16 v[10:13], v[60:61], v[12:13], v[14:17]
	s_nop 7
	s_nop 1
	ds_read2_b64 v[14:17], v24 offset0:80 offset1:84
	s_waitcnt lgkmcnt(0)
	v_mfma_f32_16x16x16f16 v[10:13], v[14:15], v[6:7], v[10:13]
	v_mfma_f32_16x16x16f16 v[6:9], v[16:17], v[8:9], v[10:13]
	s_nop 7
	s_nop 1
	ds_read2_b64 v[10:13], v24 offset0:88 offset1:92
	s_waitcnt lgkmcnt(0)
	v_mfma_f32_16x16x16f16 v[6:9], v[10:11], v[2:3], v[6:9]
	s_barrier
	v_mfma_f32_16x16x16f16 v[2:5], v[12:13], v[4:5], v[6:9]
                                        ; implicit-def: $vgpr6
	s_and_saveexec_b64 s[76:77], s[74:75]
	s_xor_b64 s[74:75], exec, s[76:77]
	s_cbranch_execz .LBB25_91
; %bb.90:                               ;   in Loop: Header=BB25_14 Depth=1
	s_nop 5
	v_add_f32_e64 v6, |v18|, |v18|
	v_mul_f32_e32 v7, 0x3fb8aa3b, v6
	v_rndne_f32_e32 v8, v7
	v_sub_f32_e32 v9, v7, v8
	v_fma_f32 v7, v6, s67, -v7
	v_fmac_f32_e32 v7, 0x32a5705f, v6
	v_add_f32_e32 v7, v9, v7
	v_cvt_i32_f32_e32 v8, v8
	v_exp_f32_e32 v7, v7
	v_cmp_ngt_f32_e32 vcc, s55, v6
	v_ldexp_f32 v7, v7, v8
	v_cndmask_b32_e32 v7, 0, v7, vcc
	v_cmp_nlt_f32_e32 vcc, s7, v6
	v_cndmask_b32_e32 v6, v222, v7, vcc
	v_add_f32_e32 v6, 1.0, v6
	v_rcp_f32_e32 v6, v6
	v_fma_f32 v6, v6, -2.0, 1.0
.LBB25_91:                              ;   in Loop: Header=BB25_14 Depth=1
	s_andn2_saveexec_b64 s[74:75], s[74:75]
; %bb.92:                               ;   in Loop: Header=BB25_14 Depth=1
	s_nop 4
	v_mul_f32_e32 v6, v18, v18
	v_mov_b32_e32 v7, 0x3ca908c9
	v_fmac_f32_e32 v7, 0xbbbac73d, v6
	v_fma_f32 v7, v6, v7, v219
	v_fma_f32 v7, v6, v7, v220
	;; [unrolled: 1-line block ×3, first 2 shown]
	v_mul_f32_e64 v7, |v18|, v7
	v_fma_f32 v6, v6, v7, |v18|
; %bb.93:                               ;   in Loop: Header=BB25_14 Depth=1
	s_or_b64 exec, exec, s[74:75]
	v_cmp_nlt_f32_e64 s[74:75], |v19|, s45
                                        ; implicit-def: $vgpr7
	s_and_saveexec_b64 s[76:77], s[74:75]
	s_xor_b64 s[74:75], exec, s[76:77]
	s_cbranch_execz .LBB25_95
; %bb.94:                               ;   in Loop: Header=BB25_14 Depth=1
	v_add_f32_e64 v7, |v19|, |v19|
	v_mul_f32_e32 v8, 0x3fb8aa3b, v7
	v_rndne_f32_e32 v9, v8
	v_sub_f32_e32 v10, v8, v9
	v_fma_f32 v8, v7, s67, -v8
	v_fmac_f32_e32 v8, 0x32a5705f, v7
	v_add_f32_e32 v8, v10, v8
	v_cvt_i32_f32_e32 v9, v9
	v_exp_f32_e32 v8, v8
	v_cmp_ngt_f32_e32 vcc, s55, v7
	v_ldexp_f32 v8, v8, v9
	v_cndmask_b32_e32 v8, 0, v8, vcc
	v_cmp_nlt_f32_e32 vcc, s7, v7
	v_cndmask_b32_e32 v7, v222, v8, vcc
	v_add_f32_e32 v7, 1.0, v7
	v_rcp_f32_e32 v7, v7
	v_fma_f32 v7, v7, -2.0, 1.0
.LBB25_95:                              ;   in Loop: Header=BB25_14 Depth=1
	s_andn2_saveexec_b64 s[74:75], s[74:75]
; %bb.96:                               ;   in Loop: Header=BB25_14 Depth=1
	v_mul_f32_e32 v7, v19, v19
	v_mov_b32_e32 v8, 0x3ca908c9
	v_fmac_f32_e32 v8, 0xbbbac73d, v7
	v_fma_f32 v8, v7, v8, v219
	v_fma_f32 v8, v7, v8, v220
	;; [unrolled: 1-line block ×3, first 2 shown]
	v_mul_f32_e64 v8, |v19|, v8
	v_fma_f32 v7, v7, v8, |v19|
; %bb.97:                               ;   in Loop: Header=BB25_14 Depth=1
	s_or_b64 exec, exec, s[74:75]
	v_cmp_nlt_f32_e64 s[74:75], |v20|, s45
                                        ; implicit-def: $vgpr8
	s_and_saveexec_b64 s[76:77], s[74:75]
	s_xor_b64 s[74:75], exec, s[76:77]
	s_cbranch_execz .LBB25_99
; %bb.98:                               ;   in Loop: Header=BB25_14 Depth=1
	v_add_f32_e64 v8, |v20|, |v20|
	v_mul_f32_e32 v9, 0x3fb8aa3b, v8
	v_rndne_f32_e32 v10, v9
	v_sub_f32_e32 v11, v9, v10
	v_fma_f32 v9, v8, s67, -v9
	v_fmac_f32_e32 v9, 0x32a5705f, v8
	v_add_f32_e32 v9, v11, v9
	v_cvt_i32_f32_e32 v10, v10
	v_exp_f32_e32 v9, v9
	v_cmp_ngt_f32_e32 vcc, s55, v8
	v_ldexp_f32 v9, v9, v10
	v_cndmask_b32_e32 v9, 0, v9, vcc
	v_cmp_nlt_f32_e32 vcc, s7, v8
	v_cndmask_b32_e32 v8, v222, v9, vcc
	v_add_f32_e32 v8, 1.0, v8
	v_rcp_f32_e32 v8, v8
	v_fma_f32 v8, v8, -2.0, 1.0
.LBB25_99:                              ;   in Loop: Header=BB25_14 Depth=1
	s_andn2_saveexec_b64 s[74:75], s[74:75]
; %bb.100:                              ;   in Loop: Header=BB25_14 Depth=1
	v_mul_f32_e32 v8, v20, v20
	v_mov_b32_e32 v9, 0x3ca908c9
	v_fmac_f32_e32 v9, 0xbbbac73d, v8
	v_fma_f32 v9, v8, v9, v219
	v_fma_f32 v9, v8, v9, v220
	;; [unrolled: 1-line block ×3, first 2 shown]
	v_mul_f32_e64 v9, |v20|, v9
	v_fma_f32 v8, v8, v9, |v20|
; %bb.101:                              ;   in Loop: Header=BB25_14 Depth=1
	s_or_b64 exec, exec, s[74:75]
	v_cmp_nlt_f32_e64 s[74:75], |v21|, s45
                                        ; implicit-def: $vgpr9
	s_and_saveexec_b64 s[76:77], s[74:75]
	s_xor_b64 s[74:75], exec, s[76:77]
	s_cbranch_execz .LBB25_103
; %bb.102:                              ;   in Loop: Header=BB25_14 Depth=1
	v_add_f32_e64 v9, |v21|, |v21|
	v_mul_f32_e32 v10, 0x3fb8aa3b, v9
	v_rndne_f32_e32 v11, v10
	v_sub_f32_e32 v12, v10, v11
	v_fma_f32 v10, v9, s67, -v10
	v_fmac_f32_e32 v10, 0x32a5705f, v9
	v_add_f32_e32 v10, v12, v10
	v_cvt_i32_f32_e32 v11, v11
	v_exp_f32_e32 v10, v10
	v_cmp_ngt_f32_e32 vcc, s55, v9
	v_ldexp_f32 v10, v10, v11
	v_cndmask_b32_e32 v10, 0, v10, vcc
	v_cmp_nlt_f32_e32 vcc, s7, v9
	v_cndmask_b32_e32 v9, v222, v10, vcc
	v_add_f32_e32 v9, 1.0, v9
	v_rcp_f32_e32 v9, v9
	v_fma_f32 v9, v9, -2.0, 1.0
.LBB25_103:                             ;   in Loop: Header=BB25_14 Depth=1
	s_andn2_saveexec_b64 s[74:75], s[74:75]
; %bb.104:                              ;   in Loop: Header=BB25_14 Depth=1
	v_mul_f32_e32 v9, v21, v21
	v_mov_b32_e32 v10, 0x3ca908c9
	v_fmac_f32_e32 v10, 0xbbbac73d, v9
	v_fma_f32 v10, v9, v10, v219
	v_fma_f32 v10, v9, v10, v220
	v_fma_f32 v10, v9, v10, v221
	v_mul_f32_e64 v10, |v21|, v10
	v_fma_f32 v9, v9, v10, |v21|
; %bb.105:                              ;   in Loop: Header=BB25_14 Depth=1
	s_or_b64 exec, exec, s[74:75]
	v_cmp_nlt_f32_e64 s[74:75], |v2|, s45
                                        ; implicit-def: $vgpr10
	s_and_saveexec_b64 s[76:77], s[74:75]
	s_xor_b64 s[74:75], exec, s[76:77]
	s_cbranch_execz .LBB25_107
; %bb.106:                              ;   in Loop: Header=BB25_14 Depth=1
	v_add_f32_e64 v10, |v2|, |v2|
	v_mul_f32_e32 v11, 0x3fb8aa3b, v10
	v_rndne_f32_e32 v12, v11
	v_sub_f32_e32 v13, v11, v12
	v_fma_f32 v11, v10, s67, -v11
	v_fmac_f32_e32 v11, 0x32a5705f, v10
	v_add_f32_e32 v11, v13, v11
	v_cvt_i32_f32_e32 v12, v12
	v_exp_f32_e32 v11, v11
	v_cmp_ngt_f32_e32 vcc, s55, v10
	v_ldexp_f32 v11, v11, v12
	v_cndmask_b32_e32 v11, 0, v11, vcc
	v_cmp_nlt_f32_e32 vcc, s7, v10
	v_cndmask_b32_e32 v10, v222, v11, vcc
	v_add_f32_e32 v10, 1.0, v10
	v_rcp_f32_e32 v10, v10
	v_fma_f32 v10, v10, -2.0, 1.0
.LBB25_107:                             ;   in Loop: Header=BB25_14 Depth=1
	s_andn2_saveexec_b64 s[74:75], s[74:75]
; %bb.108:                              ;   in Loop: Header=BB25_14 Depth=1
	v_mul_f32_e32 v10, v2, v2
	v_mov_b32_e32 v11, 0x3ca908c9
	v_fmac_f32_e32 v11, 0xbbbac73d, v10
	v_fma_f32 v11, v10, v11, v219
	v_fma_f32 v11, v10, v11, v220
	;; [unrolled: 1-line block ×3, first 2 shown]
	v_mul_f32_e64 v11, |v2|, v11
	v_fma_f32 v10, v10, v11, |v2|
; %bb.109:                              ;   in Loop: Header=BB25_14 Depth=1
	s_or_b64 exec, exec, s[74:75]
	v_cmp_nlt_f32_e64 s[74:75], |v3|, s45
                                        ; implicit-def: $vgpr11
	s_and_saveexec_b64 s[76:77], s[74:75]
	s_xor_b64 s[74:75], exec, s[76:77]
	s_cbranch_execz .LBB25_111
; %bb.110:                              ;   in Loop: Header=BB25_14 Depth=1
	v_add_f32_e64 v11, |v3|, |v3|
	v_mul_f32_e32 v12, 0x3fb8aa3b, v11
	v_rndne_f32_e32 v13, v12
	v_sub_f32_e32 v14, v12, v13
	v_fma_f32 v12, v11, s67, -v12
	v_fmac_f32_e32 v12, 0x32a5705f, v11
	v_add_f32_e32 v12, v14, v12
	v_cvt_i32_f32_e32 v13, v13
	v_exp_f32_e32 v12, v12
	v_cmp_ngt_f32_e32 vcc, s55, v11
	v_ldexp_f32 v12, v12, v13
	v_cndmask_b32_e32 v12, 0, v12, vcc
	v_cmp_nlt_f32_e32 vcc, s7, v11
	v_cndmask_b32_e32 v11, v222, v12, vcc
	v_add_f32_e32 v11, 1.0, v11
	v_rcp_f32_e32 v11, v11
	v_fma_f32 v11, v11, -2.0, 1.0
.LBB25_111:                             ;   in Loop: Header=BB25_14 Depth=1
	s_andn2_saveexec_b64 s[74:75], s[74:75]
; %bb.112:                              ;   in Loop: Header=BB25_14 Depth=1
	v_mul_f32_e32 v11, v3, v3
	v_mov_b32_e32 v12, 0x3ca908c9
	v_fmac_f32_e32 v12, 0xbbbac73d, v11
	v_fma_f32 v12, v11, v12, v219
	v_fma_f32 v12, v11, v12, v220
	;; [unrolled: 1-line block ×3, first 2 shown]
	v_mul_f32_e64 v12, |v3|, v12
	v_fma_f32 v11, v11, v12, |v3|
; %bb.113:                              ;   in Loop: Header=BB25_14 Depth=1
	s_or_b64 exec, exec, s[74:75]
	v_cmp_nlt_f32_e64 s[74:75], |v4|, s45
                                        ; implicit-def: $vgpr12
	s_and_saveexec_b64 s[76:77], s[74:75]
	s_xor_b64 s[74:75], exec, s[76:77]
	s_cbranch_execz .LBB25_115
; %bb.114:                              ;   in Loop: Header=BB25_14 Depth=1
	v_add_f32_e64 v12, |v4|, |v4|
	v_mul_f32_e32 v13, 0x3fb8aa3b, v12
	v_rndne_f32_e32 v14, v13
	v_sub_f32_e32 v15, v13, v14
	v_fma_f32 v13, v12, s67, -v13
	v_fmac_f32_e32 v13, 0x32a5705f, v12
	v_add_f32_e32 v13, v15, v13
	v_cvt_i32_f32_e32 v14, v14
	v_exp_f32_e32 v13, v13
	v_cmp_ngt_f32_e32 vcc, s55, v12
	v_ldexp_f32 v13, v13, v14
	v_cndmask_b32_e32 v13, 0, v13, vcc
	v_cmp_nlt_f32_e32 vcc, s7, v12
	v_cndmask_b32_e32 v12, v222, v13, vcc
	v_add_f32_e32 v12, 1.0, v12
	v_rcp_f32_e32 v12, v12
	v_fma_f32 v12, v12, -2.0, 1.0
.LBB25_115:                             ;   in Loop: Header=BB25_14 Depth=1
	s_andn2_saveexec_b64 s[74:75], s[74:75]
; %bb.116:                              ;   in Loop: Header=BB25_14 Depth=1
	v_mul_f32_e32 v12, v4, v4
	v_mov_b32_e32 v13, 0x3ca908c9
	v_fmac_f32_e32 v13, 0xbbbac73d, v12
	v_fma_f32 v13, v12, v13, v219
	v_fma_f32 v13, v12, v13, v220
	;; [unrolled: 1-line block ×3, first 2 shown]
	v_mul_f32_e64 v13, |v4|, v13
	v_fma_f32 v12, v12, v13, |v4|
; %bb.117:                              ;   in Loop: Header=BB25_14 Depth=1
	s_or_b64 exec, exec, s[74:75]
	v_cmp_nlt_f32_e64 s[74:75], |v5|, s45
                                        ; implicit-def: $vgpr13
	s_and_saveexec_b64 s[76:77], s[74:75]
	s_xor_b64 s[74:75], exec, s[76:77]
	s_cbranch_execz .LBB25_119
; %bb.118:                              ;   in Loop: Header=BB25_14 Depth=1
	v_add_f32_e64 v13, |v5|, |v5|
	v_mul_f32_e32 v14, 0x3fb8aa3b, v13
	v_rndne_f32_e32 v15, v14
	v_sub_f32_e32 v16, v14, v15
	v_fma_f32 v14, v13, s67, -v14
	v_fmac_f32_e32 v14, 0x32a5705f, v13
	v_add_f32_e32 v14, v16, v14
	v_cvt_i32_f32_e32 v15, v15
	v_exp_f32_e32 v14, v14
	v_cmp_ngt_f32_e32 vcc, s55, v13
	v_ldexp_f32 v14, v14, v15
	v_cndmask_b32_e32 v14, 0, v14, vcc
	v_cmp_nlt_f32_e32 vcc, s7, v13
	v_cndmask_b32_e32 v13, v222, v14, vcc
	v_add_f32_e32 v13, 1.0, v13
	v_rcp_f32_e32 v13, v13
	v_fma_f32 v13, v13, -2.0, 1.0
.LBB25_119:                             ;   in Loop: Header=BB25_14 Depth=1
	s_andn2_saveexec_b64 s[74:75], s[74:75]
; %bb.120:                              ;   in Loop: Header=BB25_14 Depth=1
	v_mul_f32_e32 v13, v5, v5
	v_mov_b32_e32 v14, 0x3ca908c9
	v_fmac_f32_e32 v14, 0xbbbac73d, v13
	v_fma_f32 v14, v13, v14, v219
	v_fma_f32 v14, v13, v14, v220
	;; [unrolled: 1-line block ×3, first 2 shown]
	v_mul_f32_e64 v14, |v5|, v14
	v_fma_f32 v13, v13, v14, |v5|
; %bb.121:                              ;   in Loop: Header=BB25_14 Depth=1
	s_or_b64 exec, exec, s[74:75]
	v_bfi_b32 v11, s6, v11, v3
	v_and_b32_e32 v3, 64, v188
	v_bfi_b32 v10, s6, v10, v2
	v_add_u32_e32 v2, 0x4400, v87
	v_add_u32_e32 v14, 64, v3
	v_xor_b32_e32 v3, 32, v188
	v_bfi_b32 v5, s6, v13, v5
	v_bfi_b32 v4, s6, v12, v4
	ds_read2_b32 v[12:13], v2 offset1:1
	ds_read_b32 v2, v117 offset:17408
	ds_read_b32 v16, v118 offset:17408
	v_cmp_lt_i32_e32 vcc, v3, v14
	v_xor_b32_e32 v15, 16, v188
	v_cndmask_b32_e32 v3, v188, v3, vcc
	v_cmp_lt_i32_e32 vcc, v15, v14
	v_cndmask_b32_e32 v14, v188, v15, vcc
	v_bfi_b32 v9, s6, v9, v21
	v_lshlrev_b32_e32 v21, 2, v14
	s_waitcnt lgkmcnt(2)
	v_cvt_f32_f16_e32 v14, v12
	v_cvt_f32_f16_sdwa v15, v12 dst_sel:DWORD dst_unused:UNUSED_PAD src0_sel:WORD_1
	v_bfi_b32 v7, s6, v7, v19
	v_bfi_b32 v6, s6, v6, v18
	;; [unrolled: 1-line block ×3, first 2 shown]
	v_pk_fma_f32 v[6:7], v[6:7], s[34:35], v[14:15]
	v_add_f32_e32 v12, 0x40051340, v6
	v_add_f32_e32 v14, 0x40051340, v7
	v_max3_f32 v17, v22, v12, v14
	s_waitcnt lgkmcnt(0)
	v_cvt_f32_f16_sdwa v15, v16 dst_sel:DWORD dst_unused:UNUSED_PAD src0_sel:WORD_1
	v_cvt_f32_f16_e32 v14, v16
	v_cvt_f32_f16_e32 v12, v13
	v_cvt_f32_f16_sdwa v13, v13 dst_sel:DWORD dst_unused:UNUSED_PAD src0_sel:WORD_1
	v_lshlrev_b32_e32 v3, 2, v3
	v_pk_fma_f32 v[4:5], v[4:5], s[34:35], v[14:15]
	v_cvt_f32_f16_sdwa v15, v2 dst_sel:DWORD dst_unused:UNUSED_PAD src0_sel:WORD_1
	v_cvt_f32_f16_e32 v14, v2
	v_pk_fma_f32 v[8:9], v[8:9], s[34:35], v[12:13]
	v_add_f32_e32 v12, 0x40051340, v8
	v_add_f32_e32 v13, 0x40051340, v9
	v_pk_fma_f32 v[10:11], v[10:11], s[34:35], v[14:15]
	v_add_f32_e32 v2, 0x40051340, v10
	v_add_f32_e32 v14, 0x40051340, v11
	v_max3_f32 v12, v17, v12, v13
	v_add_f32_e32 v16, 0x40051340, v4
	v_add_f32_e32 v18, 0x40051340, v5
	v_max3_f32 v2, v12, v2, v14
	v_max3_f32 v2, v2, v16, v18
	ds_bpermute_b32 v12, v3, v2
	s_mul_hi_i32 s9, s8, s30
	s_mul_i32 s8, s8, s30
	s_lshl_b64 s[8:9], s[8:9], 2
	s_add_u32 s8, s82, s8
	s_waitcnt lgkmcnt(0)
	v_max_f32_e32 v12, v12, v12
	v_max_f32_e32 v2, v2, v12
	ds_bpermute_b32 v12, v21, v2
	s_addc_u32 s9, s83, s9
	s_cmp_eq_u64 s[72:73], 0
	s_waitcnt lgkmcnt(0)
	v_max_f32_e32 v12, v12, v12
	v_max_f32_e32 v2, v2, v12
	v_pk_add_f32 v[6:7], v[6:7], v[2:3] op_sel_hi:[1,0] neg_lo:[0,1] neg_hi:[0,1]
	v_mul_f32_e32 v12, 0x3fb8aa3b, v7
	v_fma_f32 v13, v7, s67, -v12
	v_rndne_f32_e32 v14, v12
	v_fmac_f32_e32 v13, 0x32a5705f, v7
	v_sub_f32_e32 v12, v12, v14
	v_add_f32_e32 v12, v12, v13
	v_exp_f32_e32 v12, v12
	v_cvt_i32_f32_e32 v13, v14
	v_cmp_ngt_f32_e32 vcc, s55, v7
	v_pk_add_f32 v[4:5], v[4:5], v[2:3] op_sel_hi:[1,0] neg_lo:[0,1] neg_hi:[0,1]
	v_ldexp_f32 v12, v12, v13
	v_cndmask_b32_e32 v12, 0, v12, vcc
	v_cmp_nlt_f32_e32 vcc, s7, v7
	v_mul_f32_e32 v7, 0x3fb8aa3b, v6
	v_cndmask_b32_e32 v14, v222, v12, vcc
	v_fma_f32 v12, v6, s67, -v7
	v_rndne_f32_e32 v13, v7
	v_fmac_f32_e32 v12, 0x32a5705f, v6
	v_sub_f32_e32 v7, v7, v13
	v_add_f32_e32 v7, v7, v12
	v_exp_f32_e32 v7, v7
	v_cvt_i32_f32_e32 v12, v13
	v_cmp_ngt_f32_e32 vcc, s55, v6
	v_ldexp_f32 v7, v7, v12
	v_cndmask_b32_e32 v7, 0, v7, vcc
	v_cmp_nlt_f32_e32 vcc, s7, v6
	v_cndmask_b32_e32 v15, v222, v7, vcc
	v_pk_add_f32 v[6:7], v[8:9], v[2:3] op_sel_hi:[1,0] neg_lo:[0,1] neg_hi:[0,1]
	v_mul_f32_e32 v8, 0x3fb8aa3b, v7
	v_fma_f32 v9, v7, s67, -v8
	v_rndne_f32_e32 v12, v8
	v_fmac_f32_e32 v9, 0x32a5705f, v7
	v_sub_f32_e32 v8, v8, v12
	v_add_f32_e32 v8, v8, v9
	v_exp_f32_e32 v8, v8
	v_cvt_i32_f32_e32 v9, v12
	v_cmp_ngt_f32_e32 vcc, s55, v7
	v_ldexp_f32 v8, v8, v9
	v_cndmask_b32_e32 v8, 0, v8, vcc
	v_cmp_nlt_f32_e32 vcc, s7, v7
	v_mul_f32_e32 v7, 0x3fb8aa3b, v6
	v_cndmask_b32_e32 v25, v222, v8, vcc
	v_fma_f32 v8, v6, s67, -v7
	v_rndne_f32_e32 v9, v7
	v_fmac_f32_e32 v8, 0x32a5705f, v6
	v_sub_f32_e32 v7, v7, v9
	v_add_f32_e32 v7, v7, v8
	v_exp_f32_e32 v7, v7
	v_cvt_i32_f32_e32 v8, v9
	v_cmp_ngt_f32_e32 vcc, s55, v6
	v_ldexp_f32 v7, v7, v8
	v_cndmask_b32_e32 v7, 0, v7, vcc
	v_cmp_nlt_f32_e32 vcc, s7, v6
	v_cndmask_b32_e32 v58, v222, v7, vcc
	v_pk_add_f32 v[6:7], v[10:11], v[2:3] op_sel_hi:[1,0] neg_lo:[0,1] neg_hi:[0,1]
	v_mul_f32_e32 v8, 0x3fb8aa3b, v7
	v_fma_f32 v9, v7, s67, -v8
	v_rndne_f32_e32 v10, v8
	v_fmac_f32_e32 v9, 0x32a5705f, v7
	v_sub_f32_e32 v8, v8, v10
	v_add_f32_e32 v8, v8, v9
	v_exp_f32_e32 v8, v8
	v_cvt_i32_f32_e32 v9, v10
	v_cmp_ngt_f32_e32 vcc, s55, v7
	v_ldexp_f32 v8, v8, v9
	v_cndmask_b32_e32 v8, 0, v8, vcc
	v_cmp_nlt_f32_e32 vcc, s7, v7
	v_cndmask_b32_e32 v7, v222, v8, vcc
	v_mul_f32_e32 v8, 0x3fb8aa3b, v6
	v_fma_f32 v9, v6, s67, -v8
	v_rndne_f32_e32 v10, v8
	v_fmac_f32_e32 v9, 0x32a5705f, v6
	v_sub_f32_e32 v8, v8, v10
	v_add_f32_e32 v8, v8, v9
	v_exp_f32_e32 v8, v8
	v_cvt_i32_f32_e32 v9, v10
	v_cmp_ngt_f32_e32 vcc, s55, v6
	v_ldexp_f32 v8, v8, v9
	v_cndmask_b32_e32 v8, 0, v8, vcc
	v_cmp_nlt_f32_e32 vcc, s7, v6
	v_cndmask_b32_e32 v6, v222, v8, vcc
	v_mul_f32_e32 v8, 0x3fb8aa3b, v5
	v_fma_f32 v9, v5, s67, -v8
	v_rndne_f32_e32 v10, v8
	v_fmac_f32_e32 v9, 0x32a5705f, v5
	v_sub_f32_e32 v8, v8, v10
	v_add_f32_e32 v8, v8, v9
	v_exp_f32_e32 v8, v8
	v_cvt_i32_f32_e32 v9, v10
	v_cmp_ngt_f32_e32 vcc, s55, v5
	v_ldexp_f32 v8, v8, v9
	v_cndmask_b32_e32 v8, 0, v8, vcc
	v_cmp_nlt_f32_e32 vcc, s7, v5
	v_mul_f32_e32 v5, 0x3fb8aa3b, v4
	v_cndmask_b32_e32 v59, v222, v8, vcc
	v_fma_f32 v8, v4, s67, -v5
	v_rndne_f32_e32 v9, v5
	v_fmac_f32_e32 v8, 0x32a5705f, v4
	v_sub_f32_e32 v5, v5, v9
	v_add_f32_e32 v5, v5, v8
	v_exp_f32_e32 v5, v5
	v_cvt_i32_f32_e32 v8, v9
	v_cmp_ngt_f32_e32 vcc, s55, v4
	v_ldexp_f32 v5, v5, v8
	v_cndmask_b32_e32 v5, 0, v5, vcc
	v_cmp_nlt_f32_e32 vcc, s7, v4
	v_add_f32_e32 v4, v15, v14
	v_add_f32_e32 v4, v58, v4
	;; [unrolled: 1-line block ×4, first 2 shown]
	v_cndmask_b32_e32 v60, v222, v5, vcc
	v_add_f32_e32 v4, v7, v4
	v_add_f32_e32 v4, v60, v4
	;; [unrolled: 1-line block ×3, first 2 shown]
	v_sub_f32_e32 v4, v22, v2
	v_mul_f32_e32 v5, 0x3fb8aa3b, v4
	v_fma_f32 v8, v4, s67, -v5
	v_rndne_f32_e32 v9, v5
	v_fmac_f32_e32 v8, 0x32a5705f, v4
	v_sub_f32_e32 v5, v5, v9
	v_add_f32_e32 v5, v5, v8
	v_exp_f32_e32 v5, v5
	v_cvt_i32_f32_e32 v8, v9
	v_cvt_f16_f32_e32 v15, v15
	v_cvt_f16_f32_e32 v14, v14
	v_cmp_ngt_f32_e32 vcc, s55, v4
	v_ldexp_f32 v5, v5, v8
	v_cvt_f16_f32_e32 v7, v7
	v_pack_b32_f16 v14, v15, v14
	v_cvt_f16_f32_e32 v15, v25
	v_cvt_f16_f32_e32 v25, v58
	;; [unrolled: 1-line block ×3, first 2 shown]
	v_cndmask_b32_e32 v5, 0, v5, vcc
	v_cmp_nlt_f32_e32 vcc, s7, v4
	v_cndmask_b32_e32 v5, v222, v5, vcc
	v_cmp_le_f32_e32 vcc, s89, v4
	v_cndmask_b32_e32 v4, 0, v5, vcc
	v_cvt_f16_f32_e32 v22, v4
	v_pack_b32_f16 v15, v25, v15
	v_pack_b32_f16 v6, v6, v7
	v_cvt_f16_f32_e32 v7, v59
	v_cvt_f16_f32_e32 v25, v60
	v_fmac_f32_e32 v24, v23, v4
	v_pk_mul_f16 v4, v22, v47 op_sel_hi:[0,1]
	v_mov_b32_e32 v47, s9
	v_pack_b32_f16 v7, v25, v7
	v_add_co_u32_e32 v25, vcc, s8, v30
	v_addc_co_u32_e32 v47, vcc, v47, v31, vcc
	v_add_co_u32_e32 v58, vcc, v25, v113
	v_addc_co_u32_e32 v59, vcc, 0, v47, vcc
	global_load_dwordx4 v[58:61], v[58:59], off
	v_add_co_u32_e32 v25, vcc, s8, v32
	v_mov_b32_e32 v47, s9
	v_addc_co_u32_e32 v47, vcc, v47, v33, vcc
	v_pk_mul_f16 v11, v22, v62 op_sel_hi:[0,1]
	v_add_co_u32_e32 v62, vcc, v25, v113
	v_pk_mul_f16 v12, v22, v63 op_sel_hi:[0,1]
	v_addc_co_u32_e32 v63, vcc, 0, v47, vcc
	v_add_co_u32_e32 v25, vcc, s8, v34
	v_mov_b32_e32 v47, s9
	v_addc_co_u32_e32 v47, vcc, v47, v35, vcc
	v_add_co_u32_e32 v64, vcc, v25, v113
	v_addc_co_u32_e32 v65, vcc, 0, v47, vcc
	v_add_co_u32_e32 v25, vcc, s8, v36
	v_mov_b32_e32 v47, s9
	v_addc_co_u32_e32 v47, vcc, v47, v37, vcc
	v_pk_mul_f16 v23, v22, v226 op_sel_hi:[0,1]
	v_add_co_u32_e32 v226, vcc, v25, v113
	v_pk_mul_f16 v1, v22, v1 op_sel_hi:[0,1]
	v_pk_mul_f16 v8, v22, v51 op_sel_hi:[0,1]
	;; [unrolled: 1-line block ×12, first 2 shown]
	v_addc_co_u32_e32 v227, vcc, 0, v47, vcc
	ds_bpermute_b32 v3, v3, v24
	s_cselect_b64 s[8:9], -1, 0
	s_xor_b64 s[74:75], s[0:1], -1
	s_or_b64 s[8:9], s[74:75], s[8:9]
	s_waitcnt lgkmcnt(0)
	v_add_f32_e32 v3, v24, v3
	s_waitcnt vmcnt(0)
	ds_write_b128 v86, v[58:61]
	global_load_dwordx4 v[58:61], v[62:63], off
	s_waitcnt vmcnt(0)
	ds_write_b128 v193, v[58:61]
	global_load_dwordx4 v[58:61], v[64:65], off
	;; [unrolled: 3-line block ×3, first 2 shown]
	s_waitcnt vmcnt(0)
	ds_write_b128 v195, v[58:61]
	s_waitcnt lgkmcnt(0)
	s_barrier
	ds_read_u16 v25, v89 offset:272
	ds_read_u16 v47, v89 offset:544
	v_cvt_f32_f16_e32 v60, v1
	v_cvt_f32_f16_sdwa v61, v1 dst_sel:DWORD dst_unused:UNUSED_PAD src0_sel:WORD_1
	ds_read_u16 v1, v90
	ds_read_u16 v49, v90 offset:32
	v_cvt_f32_f16_e32 v58, v4
	v_cvt_f32_f16_sdwa v59, v4 dst_sel:DWORD dst_unused:UNUSED_PAD src0_sel:WORD_1
	s_waitcnt lgkmcnt(1)
	v_perm_b32 v63, v1, v47, s66
	ds_read_u16 v1, v88
	ds_read_u16 v47, v88 offset:32
	s_waitcnt lgkmcnt(1)
	v_perm_b32 v62, v25, v1, s66
	s_nop 1
	v_mfma_f32_16x16x16f16 v[58:61], v[62:63], v[14:15], v[58:61]
	ds_read_u16 v53, v88 offset:8704
	ds_read_u16 v55, v196 offset:272
	;; [unrolled: 1-line block ×4, first 2 shown]
	s_waitcnt lgkmcnt(0)
	v_perm_b32 v63, v63, v62, s66
	v_perm_b32 v62, v55, v53, s66
	s_nop 3
	v_cvt_f16_f32_e32 v1, v58
	v_cvt_f16_f32_e32 v4, v59
	;; [unrolled: 1-line block ×4, first 2 shown]
	v_cvt_f32_f16_e32 v58, v1
	v_cvt_f32_f16_e32 v59, v4
	;; [unrolled: 1-line block ×4, first 2 shown]
	s_nop 1
	v_mfma_f32_16x16x16f16 v[58:61], v[62:63], v[6:7], v[58:61]
	s_nop 7
	s_nop 2
	v_cvt_f16_f32_e32 v1, v58
	v_cvt_f16_f32_e32 v4, v59
	;; [unrolled: 1-line block ×4, first 2 shown]
	v_cvt_f32_f16_e32 v58, v8
	v_pack_b32_f16 v4, v1, v4
	v_cvt_f32_f16_sdwa v59, v8 dst_sel:DWORD dst_unused:UNUSED_PAD src0_sel:WORD_1
	v_pack_b32_f16 v1, v25, v51
	ds_read_u16 v25, v197 offset:272
	ds_read_u16 v51, v197 offset:544
	v_cvt_f32_f16_e32 v60, v5
	v_cvt_f32_f16_sdwa v61, v5 dst_sel:DWORD dst_unused:UNUSED_PAD src0_sel:WORD_1
	s_waitcnt lgkmcnt(1)
	v_perm_b32 v62, v25, v47, s66
	s_waitcnt lgkmcnt(0)
	v_perm_b32 v63, v49, v51, s66
	ds_read_u16 v49, v91 offset:8704
	ds_read_u16 v51, v92 offset:272
	ds_read_u16 v53, v198 offset:544
	ds_read_u16 v55, v93 offset:8704
	v_mfma_f32_16x16x16f16 v[58:61], v[62:63], v[14:15], v[58:61]
	s_waitcnt lgkmcnt(0)
	v_perm_b32 v63, v55, v53, s66
	v_perm_b32 v62, v51, v49, s66
	s_nop 7
	v_cvt_f16_f32_e32 v5, v58
	v_cvt_f16_f32_e32 v8, v59
	v_cvt_f16_f32_e32 v25, v60
	v_cvt_f16_f32_e32 v47, v61
	v_cvt_f32_f16_e32 v58, v5
	v_cvt_f32_f16_e32 v59, v8
	v_cvt_f32_f16_e32 v60, v25
	v_cvt_f32_f16_e32 v61, v47
	s_nop 1
	v_mfma_f32_16x16x16f16 v[58:61], v[62:63], v[6:7], v[58:61]
	s_nop 7
	s_nop 2
	v_cvt_f16_f32_e32 v5, v58
	v_cvt_f16_f32_e32 v8, v59
	v_cvt_f16_f32_e32 v25, v60
	v_cvt_f16_f32_e32 v47, v61
	v_cvt_f32_f16_e32 v58, v10
	v_pack_b32_f16 v8, v5, v8
	v_cvt_f32_f16_sdwa v59, v10 dst_sel:DWORD dst_unused:UNUSED_PAD src0_sel:WORD_1
	v_pack_b32_f16 v5, v25, v47
	ds_read_u16 v25, v88 offset:64
	ds_read_u16 v47, v199 offset:272
	ds_read_u16 v49, v199 offset:544
	ds_read_u16 v51, v90 offset:64
	v_cvt_f32_f16_e32 v60, v9
	v_cvt_f32_f16_sdwa v61, v9 dst_sel:DWORD dst_unused:UNUSED_PAD src0_sel:WORD_1
	s_waitcnt lgkmcnt(2)
	v_perm_b32 v62, v47, v25, s66
	s_waitcnt lgkmcnt(0)
	v_perm_b32 v63, v51, v49, s66
	ds_read_u16 v49, v94 offset:8704
	ds_read_u16 v51, v95 offset:272
	ds_read_u16 v53, v200 offset:544
	ds_read_u16 v55, v96 offset:8704
	v_mfma_f32_16x16x16f16 v[58:61], v[62:63], v[14:15], v[58:61]
	s_waitcnt lgkmcnt(0)
	v_perm_b32 v63, v55, v53, s66
	v_perm_b32 v62, v51, v49, s66
	s_nop 7
	v_cvt_f16_f32_e32 v9, v58
	v_cvt_f16_f32_e32 v10, v59
	v_cvt_f16_f32_e32 v25, v60
	v_cvt_f16_f32_e32 v47, v61
	v_cvt_f32_f16_e32 v58, v9
	v_cvt_f32_f16_e32 v59, v10
	v_cvt_f32_f16_e32 v60, v25
	v_cvt_f32_f16_e32 v61, v47
	s_nop 1
	v_mfma_f32_16x16x16f16 v[58:61], v[62:63], v[6:7], v[58:61]
	s_nop 7
	s_nop 2
	v_cvt_f16_f32_e32 v9, v58
	v_cvt_f16_f32_e32 v10, v59
	v_cvt_f16_f32_e32 v25, v60
	v_cvt_f16_f32_e32 v47, v61
	v_cvt_f32_f16_e32 v58, v12
	v_pack_b32_f16 v10, v9, v10
	v_cvt_f32_f16_sdwa v59, v12 dst_sel:DWORD dst_unused:UNUSED_PAD src0_sel:WORD_1
	v_pack_b32_f16 v9, v25, v47
	ds_read_u16 v25, v88 offset:96
	ds_read_u16 v47, v201 offset:272
	;; [unrolled: 39-line block ×6, first 2 shown]
	ds_read_u16 v49, v209 offset:544
	ds_read_u16 v51, v90 offset:224
	v_cvt_f32_f16_e32 v60, v22
	v_cvt_f32_f16_sdwa v61, v22 dst_sel:DWORD dst_unused:UNUSED_PAD src0_sel:WORD_1
	s_waitcnt lgkmcnt(2)
	v_perm_b32 v22, v47, v25, s66
	s_waitcnt lgkmcnt(0)
	v_perm_b32 v23, v51, v49, s66
	ds_read_u16 v25, v109 offset:8704
	ds_read_u16 v47, v110 offset:272
	;; [unrolled: 1-line block ×4, first 2 shown]
	v_mfma_f32_16x16x16f16 v[58:61], v[22:23], v[14:15], v[58:61]
	s_waitcnt lgkmcnt(0)
	s_barrier
	s_nop 7
	s_nop 0
	v_cvt_f16_f32_e32 v14, v58
	v_cvt_f16_f32_e32 v15, v59
	;; [unrolled: 1-line block ×4, first 2 shown]
	v_cvt_f32_f16_e32 v58, v14
	v_cvt_f32_f16_e32 v59, v15
	v_perm_b32 v15, v51, v49, s66
	v_perm_b32 v14, v47, v25, s66
	v_cvt_f32_f16_e32 v60, v22
	v_cvt_f32_f16_e32 v61, v23
	s_nop 1
	v_mfma_f32_16x16x16f16 v[58:61], v[14:15], v[6:7], v[58:61]
	s_nop 7
	s_nop 2
	v_cvt_f16_f32_e32 v6, v58
	v_cvt_f16_f32_e32 v7, v59
	;; [unrolled: 1-line block ×4, first 2 shown]
	v_pack_b32_f16 v6, v6, v7
	v_pack_b32_f16 v7, v14, v15
	ds_bpermute_b32 v14, v21, v3
	s_waitcnt lgkmcnt(0)
	v_add_f32_e32 v3, v3, v14
	s_and_saveexec_b64 s[74:75], s[8:9]
	s_xor_b64 s[8:9], exec, s[74:75]
	s_andn2_saveexec_b64 s[8:9], s[8:9]
	s_cbranch_execz .LBB25_123
; %bb.122:                              ;   in Loop: Header=BB25_14 Depth=1
	v_lshlrev_b32_e32 v14, 2, v50
	global_load_dword v15, v14, s[72:73]
	v_max_f32_e32 v22, v2, v2
	s_waitcnt vmcnt(0)
	v_max_f32_e32 v14, v15, v15
	v_max_f32_e32 v14, v22, v14
	v_sub_f32_e32 v2, v2, v14
	v_mul_f32_e32 v22, 0x3fb8aa3b, v2
	v_fma_f32 v23, v2, s67, -v22
	v_rndne_f32_e32 v24, v22
	v_fmac_f32_e32 v23, 0x32a5705f, v2
	v_sub_f32_e32 v22, v22, v24
	v_add_f32_e32 v22, v22, v23
	v_exp_f32_e32 v22, v22
	v_cvt_i32_f32_e32 v23, v24
	v_cmp_ngt_f32_e32 vcc, s55, v2
	v_sub_f32_e32 v15, v15, v14
	v_ldexp_f32 v22, v22, v23
	v_cndmask_b32_e32 v22, 0, v22, vcc
	v_cmp_nlt_f32_e32 vcc, s7, v2
	v_cndmask_b32_e32 v22, v222, v22, vcc
	v_cmp_le_f32_e32 vcc, s89, v2
	v_cndmask_b32_e32 v2, 0, v22, vcc
	v_cvt_f16_f32_e32 v22, v2
	v_cmp_ngt_f32_e32 vcc, s55, v15
	v_pk_mul_f16 v4, v22, v4 op_sel_hi:[0,1]
	v_pk_mul_f16 v1, v22, v1 op_sel_hi:[0,1]
	;; [unrolled: 1-line block ×16, first 2 shown]
	v_mul_f32_e32 v22, 0x3fb8aa3b, v15
	v_fma_f32 v23, v15, s67, -v22
	v_rndne_f32_e32 v24, v22
	v_fmac_f32_e32 v23, 0x32a5705f, v15
	v_sub_f32_e32 v22, v22, v24
	v_add_f32_e32 v22, v22, v23
	v_exp_f32_e32 v22, v22
	v_cvt_i32_f32_e32 v23, v24
	v_ldexp_f32 v22, v22, v23
	v_cndmask_b32_e32 v22, 0, v22, vcc
	v_cmp_nlt_f32_e32 vcc, s7, v15
	v_cndmask_b32_e32 v15, v222, v22, vcc
	v_fmac_f32_e32 v15, v3, v2
	v_pk_mov_b32 v[2:3], v[14:15], v[14:15] op_sel:[0,1]
.LBB25_123:                             ;   in Loop: Header=BB25_14 Depth=1
	s_or_b64 exec, exec, s[8:9]
	s_and_saveexec_b64 s[8:9], s[4:5]
	s_cbranch_execz .LBB25_125
; %bb.124:                              ;   in Loop: Header=BB25_14 Depth=1
	v_add_u32_e32 v14, 0, v120
	ds_write2_b32 v14, v2, v3 offset0:64 offset1:65
.LBB25_125:                             ;   in Loop: Header=BB25_14 Depth=1
	s_or_b64 exec, exec, s[8:9]
	s_waitcnt lgkmcnt(0)
	s_barrier
	s_and_saveexec_b64 s[8:9], s[2:3]
	s_xor_b64 s[8:9], exec, s[8:9]
	s_cbranch_execz .LBB25_127
; %bb.126:                              ;   in Loop: Header=BB25_14 Depth=1
	s_barrier
	s_waitcnt lgkmcnt(0)
                                        ; implicit-def: $vgpr21
.LBB25_127:                             ;   in Loop: Header=BB25_14 Depth=1
	s_andn2_saveexec_b64 s[8:9], s[8:9]
	s_cbranch_execz .LBB25_133
; %bb.128:                              ;   in Loop: Header=BB25_14 Depth=1
	v_add_u32_e32 v3, 0, v121
	ds_read_b64 v[22:23], v3 offset:256
	s_waitcnt lgkmcnt(0)
	s_barrier
	ds_bpermute_b32 v2, v21, v22
	v_max_f32_e32 v14, v22, v22
	s_waitcnt lgkmcnt(0)
	v_max_f32_e32 v2, v2, v2
	v_max_f32_e32 v2, v14, v2
	v_sub_f32_e32 v14, v22, v2
	v_mul_f32_e32 v15, 0x3fb8aa3b, v14
	v_fma_f32 v22, v14, s67, -v15
	v_rndne_f32_e32 v24, v15
	v_fmac_f32_e32 v22, 0x32a5705f, v14
	v_sub_f32_e32 v15, v15, v24
	v_add_f32_e32 v15, v15, v22
	v_cvt_i32_f32_e32 v24, v24
	v_exp_f32_e32 v15, v15
	v_cmp_ngt_f32_e32 vcc, s55, v14
	v_ldexp_f32 v15, v15, v24
	v_cndmask_b32_e32 v15, 0, v15, vcc
	v_cmp_nlt_f32_e32 vcc, s7, v14
	v_cndmask_b32_e32 v14, v222, v15, vcc
	v_mul_f32_e32 v15, v23, v14
	ds_bpermute_b32 v15, v21, v15
	s_waitcnt lgkmcnt(0)
	v_fmac_f32_e32 v15, v23, v14
	s_mov_b64 s[74:75], exec
	v_readlane_b32 s76, v255, 16
	v_readlane_b32 s77, v255, 17
	s_and_b64 s[76:77], s[74:75], s[76:77]
	s_mov_b64 exec, s[76:77]
	s_cbranch_execz .LBB25_130
; %bb.129:                              ;   in Loop: Header=BB25_14 Depth=1
	ds_write_b64 v3, v[14:15] offset:256
.LBB25_130:                             ;   in Loop: Header=BB25_14 Depth=1
	s_or_b64 exec, exec, s[74:75]
	s_and_saveexec_b64 s[74:75], s[4:5]
	s_cbranch_execz .LBB25_132
; %bb.131:                              ;   in Loop: Header=BB25_14 Depth=1
	v_mov_b32_e32 v3, v15
	global_store_dwordx2 v[28:29], v[2:3], off
.LBB25_132:                             ;   in Loop: Header=BB25_14 Depth=1
	s_or_b64 exec, exec, s[74:75]
.LBB25_133:                             ;   in Loop: Header=BB25_14 Depth=1
	s_or_b64 exec, exec, s[8:9]
	ds_write2_b32 v122, v4, v1 offset1:1
	ds_write2_b32 v122, v8, v5 offset0:8 offset1:9
	ds_write2_b32 v122, v10, v9 offset0:16 offset1:17
	;; [unrolled: 1-line block ×7, first 2 shown]
	s_waitcnt lgkmcnt(0)
	s_barrier
	s_and_saveexec_b64 s[74:75], s[0:1]
	s_cbranch_execz .LBB25_211
; %bb.134:                              ;   in Loop: Header=BB25_14 Depth=1
	v_add_u32_e32 v2, s63, v218
	v_or_b32_e32 v1, s11, v52
	v_cmp_gt_i32_e64 s[8:9], s28, v2
	v_cmp_gt_i32_e32 vcc, s80, v1
	s_and_b64 s[8:9], s[8:9], vcc
	v_mov_b32_e32 v1, 0x47
	s_and_saveexec_b64 s[76:77], s[8:9]
	s_cbranch_execz .LBB25_136
; %bb.135:                              ;   in Loop: Header=BB25_14 Depth=1
	v_add_u32_e32 v1, 0, v123
	ds_read2st64_b32 v[4:5], v1 offset0:1 offset1:18
	ds_read2st64_b32 v[6:7], v124 offset1:17
	v_mad_u64_u32 v[2:3], s[8:9], v2, s29, v[52:53]
	v_lshl_add_u32 v2, v2, 6, v26
	v_ashrrev_i32_e32 v3, 31, v2
	s_waitcnt lgkmcnt(0)
	v_cvt_f32_f16_sdwa v9, v6 dst_sel:DWORD dst_unused:UNUSED_PAD src0_sel:WORD_1
	v_cvt_f32_f16_e32 v8, v6
	v_cvt_f32_f16_sdwa v11, v7 dst_sel:DWORD dst_unused:UNUSED_PAD src0_sel:WORD_1
	v_cvt_f32_f16_e32 v10, v7
	v_lshlrev_b64 v[2:3], 3, v[2:3]
	v_add_co_u32_e64 v2, s[8:9], s51, v2
	v_mov_b32_e32 v1, s10
	v_pk_fma_f32 v[8:9], v[4:5], v[8:9], 0 op_sel_hi:[0,1,0]
	v_mov_b32_e32 v4, v5
	v_addc_co_u32_e64 v3, s[8:9], v1, v3, s[8:9]
	v_pk_fma_f32 v[4:5], v[4:5], v[10:11], v[8:9] op_sel_hi:[0,1,1]
	v_mov_b32_e32 v1, 0
	global_store_dwordx2 v[2:3], v[4:5], off
.LBB25_136:                             ;   in Loop: Header=BB25_14 Depth=1
	s_or_b64 exec, exec, s[76:77]
	s_movk_i32 s8, 0x47
	v_cmp_gt_i32_e64 s[8:9], s8, v1
	s_mov_b64 s[76:77], -1
	s_and_saveexec_b64 s[78:79], s[8:9]
; %bb.137:                              ;   in Loop: Header=BB25_14 Depth=1
	v_cmp_eq_u32_e64 s[8:9], 0, v1
	s_orn2_b64 s[76:77], s[8:9], exec
; %bb.138:                              ;   in Loop: Header=BB25_14 Depth=1
	s_or_b64 exec, exec, s[78:79]
	s_and_b64 exec, exec, s[76:77]
	s_cbranch_execz .LBB25_211
; %bb.139:                              ;   in Loop: Header=BB25_14 Depth=1
	v_add_u32_e32 v2, s63, v125
	v_cmp_gt_i32_e64 s[8:9], s28, v2
	s_and_b64 s[8:9], s[8:9], vcc
	v_mov_b32_e32 v1, 0x47
	s_and_saveexec_b64 s[76:77], s[8:9]
	s_cbranch_execz .LBB25_141
; %bb.140:                              ;   in Loop: Header=BB25_14 Depth=1
	v_add_u32_e32 v1, 0, v126
	ds_read2st64_b32 v[4:5], v1 offset0:1 offset1:18
	ds_read2st64_b32 v[6:7], v127 offset1:17
	v_mad_u64_u32 v[2:3], s[8:9], v2, s29, v[52:53]
	v_lshl_add_u32 v2, v2, 6, v26
	v_ashrrev_i32_e32 v3, 31, v2
	s_waitcnt lgkmcnt(0)
	v_cvt_f32_f16_sdwa v9, v6 dst_sel:DWORD dst_unused:UNUSED_PAD src0_sel:WORD_1
	v_cvt_f32_f16_e32 v8, v6
	v_cvt_f32_f16_sdwa v11, v7 dst_sel:DWORD dst_unused:UNUSED_PAD src0_sel:WORD_1
	v_cvt_f32_f16_e32 v10, v7
	v_lshlrev_b64 v[2:3], 3, v[2:3]
	v_add_co_u32_e64 v2, s[8:9], s51, v2
	v_mov_b32_e32 v1, s10
	v_pk_fma_f32 v[8:9], v[4:5], v[8:9], 0 op_sel_hi:[0,1,0]
	v_mov_b32_e32 v4, v5
	v_addc_co_u32_e64 v3, s[8:9], v1, v3, s[8:9]
	v_pk_fma_f32 v[4:5], v[4:5], v[10:11], v[8:9] op_sel_hi:[0,1,1]
	v_mov_b32_e32 v1, 0
	global_store_dwordx2 v[2:3], v[4:5], off
.LBB25_141:                             ;   in Loop: Header=BB25_14 Depth=1
	s_or_b64 exec, exec, s[76:77]
	s_movk_i32 s8, 0x47
	v_cmp_gt_i32_e64 s[8:9], s8, v1
	s_mov_b64 s[76:77], -1
	s_and_saveexec_b64 s[78:79], s[8:9]
; %bb.142:                              ;   in Loop: Header=BB25_14 Depth=1
	v_cmp_eq_u32_e64 s[8:9], 0, v1
	s_orn2_b64 s[76:77], s[8:9], exec
; %bb.143:                              ;   in Loop: Header=BB25_14 Depth=1
	s_or_b64 exec, exec, s[78:79]
	s_and_b64 exec, exec, s[76:77]
	s_cbranch_execz .LBB25_211
; %bb.144:                              ;   in Loop: Header=BB25_14 Depth=1
	v_add_u32_e32 v2, s63, v128
	v_cmp_gt_i32_e64 s[8:9], s28, v2
	;; [unrolled: 41-line block ×9, first 2 shown]
	s_and_b64 s[8:9], s[8:9], vcc
	v_mov_b32_e32 v1, 0x47
	s_and_saveexec_b64 s[76:77], s[8:9]
	s_cbranch_execz .LBB25_181
; %bb.180:                              ;   in Loop: Header=BB25_14 Depth=1
	buffer_load_dword v1, off, s[96:99], 0  ; 4-byte Folded Reload
	v_mad_u64_u32 v[2:3], s[8:9], v2, s29, v[52:53]
	v_lshl_add_u32 v2, v2, 6, v26
	v_ashrrev_i32_e32 v3, 31, v2
	v_lshlrev_b64 v[2:3], 3, v[2:3]
	v_add_co_u32_e64 v2, s[8:9], s51, v2
	s_waitcnt vmcnt(0)
	v_add_u32_e32 v1, 0, v1
	ds_read2st64_b32 v[4:5], v1 offset0:1 offset1:18
	ds_read2st64_b32 v[6:7], v152 offset1:17
	v_mov_b32_e32 v1, s10
	v_addc_co_u32_e64 v3, s[8:9], v1, v3, s[8:9]
	v_mov_b32_e32 v1, 0
	s_waitcnt lgkmcnt(0)
	v_cvt_f32_f16_sdwa v9, v6 dst_sel:DWORD dst_unused:UNUSED_PAD src0_sel:WORD_1
	v_cvt_f32_f16_e32 v8, v6
	v_cvt_f32_f16_sdwa v11, v7 dst_sel:DWORD dst_unused:UNUSED_PAD src0_sel:WORD_1
	v_cvt_f32_f16_e32 v10, v7
	v_pk_fma_f32 v[8:9], v[4:5], v[8:9], 0 op_sel_hi:[0,1,0]
	v_mov_b32_e32 v4, v5
	v_pk_fma_f32 v[4:5], v[4:5], v[10:11], v[8:9] op_sel_hi:[0,1,1]
	global_store_dwordx2 v[2:3], v[4:5], off
.LBB25_181:                             ;   in Loop: Header=BB25_14 Depth=1
	s_or_b64 exec, exec, s[76:77]
	s_movk_i32 s8, 0x47
	v_cmp_gt_i32_e64 s[8:9], s8, v1
	s_mov_b64 s[76:77], -1
	s_and_saveexec_b64 s[78:79], s[8:9]
; %bb.182:                              ;   in Loop: Header=BB25_14 Depth=1
	v_cmp_eq_u32_e64 s[8:9], 0, v1
	s_orn2_b64 s[76:77], s[8:9], exec
; %bb.183:                              ;   in Loop: Header=BB25_14 Depth=1
	s_or_b64 exec, exec, s[78:79]
	s_and_b64 exec, exec, s[76:77]
	s_cbranch_execz .LBB25_211
; %bb.184:                              ;   in Loop: Header=BB25_14 Depth=1
	v_mov_b32_e32 v1, v151
	v_add_u32_e32 v2, s63, v1
	v_cmp_gt_i32_e64 s[8:9], s28, v2
	s_and_b64 s[8:9], s[8:9], vcc
	v_mov_b32_e32 v1, 0x47
	s_and_saveexec_b64 s[76:77], s[8:9]
	s_cbranch_execz .LBB25_186
; %bb.185:                              ;   in Loop: Header=BB25_14 Depth=1
	v_mov_b32_e32 v1, v154
	v_add_u32_e32 v1, 0, v1
	ds_read2st64_b32 v[4:5], v1 offset0:1 offset1:18
	ds_read2st64_b32 v[6:7], v155 offset1:17
	v_mad_u64_u32 v[2:3], s[8:9], v2, s29, v[52:53]
	v_lshl_add_u32 v2, v2, 6, v26
	v_ashrrev_i32_e32 v3, 31, v2
	s_waitcnt lgkmcnt(0)
	v_cvt_f32_f16_sdwa v9, v6 dst_sel:DWORD dst_unused:UNUSED_PAD src0_sel:WORD_1
	v_cvt_f32_f16_e32 v8, v6
	v_cvt_f32_f16_sdwa v11, v7 dst_sel:DWORD dst_unused:UNUSED_PAD src0_sel:WORD_1
	v_cvt_f32_f16_e32 v10, v7
	v_lshlrev_b64 v[2:3], 3, v[2:3]
	v_add_co_u32_e64 v2, s[8:9], s51, v2
	v_mov_b32_e32 v1, s10
	v_pk_fma_f32 v[8:9], v[4:5], v[8:9], 0 op_sel_hi:[0,1,0]
	v_mov_b32_e32 v4, v5
	v_addc_co_u32_e64 v3, s[8:9], v1, v3, s[8:9]
	v_pk_fma_f32 v[4:5], v[4:5], v[10:11], v[8:9] op_sel_hi:[0,1,1]
	v_mov_b32_e32 v1, 0
	global_store_dwordx2 v[2:3], v[4:5], off
.LBB25_186:                             ;   in Loop: Header=BB25_14 Depth=1
	s_or_b64 exec, exec, s[76:77]
	s_movk_i32 s8, 0x47
	v_cmp_gt_i32_e64 s[8:9], s8, v1
	s_mov_b64 s[76:77], -1
	s_and_saveexec_b64 s[78:79], s[8:9]
; %bb.187:                              ;   in Loop: Header=BB25_14 Depth=1
	v_cmp_eq_u32_e64 s[8:9], 0, v1
	s_orn2_b64 s[76:77], s[8:9], exec
; %bb.188:                              ;   in Loop: Header=BB25_14 Depth=1
	s_or_b64 exec, exec, s[78:79]
	s_and_b64 exec, exec, s[76:77]
	s_cbranch_execz .LBB25_211
; %bb.189:                              ;   in Loop: Header=BB25_14 Depth=1
	v_mov_b32_e32 v1, v150
	v_add_u32_e32 v2, s63, v1
	v_cmp_gt_i32_e64 s[8:9], s28, v2
	s_and_b64 s[8:9], s[8:9], vcc
	v_mov_b32_e32 v1, 0x47
	s_and_saveexec_b64 s[76:77], s[8:9]
	s_cbranch_execz .LBB25_191
; %bb.190:                              ;   in Loop: Header=BB25_14 Depth=1
	v_mov_b32_e32 v1, v157
	v_add_u32_e32 v1, 0, v1
	ds_read2st64_b32 v[4:5], v1 offset0:1 offset1:18
	ds_read2st64_b32 v[6:7], v158 offset1:17
	v_mad_u64_u32 v[2:3], s[8:9], v2, s29, v[52:53]
	v_lshl_add_u32 v2, v2, 6, v26
	v_ashrrev_i32_e32 v3, 31, v2
	s_waitcnt lgkmcnt(0)
	v_cvt_f32_f16_sdwa v9, v6 dst_sel:DWORD dst_unused:UNUSED_PAD src0_sel:WORD_1
	v_cvt_f32_f16_e32 v8, v6
	v_cvt_f32_f16_sdwa v11, v7 dst_sel:DWORD dst_unused:UNUSED_PAD src0_sel:WORD_1
	v_cvt_f32_f16_e32 v10, v7
	v_lshlrev_b64 v[2:3], 3, v[2:3]
	v_add_co_u32_e64 v2, s[8:9], s51, v2
	v_mov_b32_e32 v1, s10
	v_pk_fma_f32 v[8:9], v[4:5], v[8:9], 0 op_sel_hi:[0,1,0]
	v_mov_b32_e32 v4, v5
	v_addc_co_u32_e64 v3, s[8:9], v1, v3, s[8:9]
	v_pk_fma_f32 v[4:5], v[4:5], v[10:11], v[8:9] op_sel_hi:[0,1,1]
	v_mov_b32_e32 v1, 0
	global_store_dwordx2 v[2:3], v[4:5], off
.LBB25_191:                             ;   in Loop: Header=BB25_14 Depth=1
	;; [unrolled: 43-line block ×5, first 2 shown]
	s_or_b64 exec, exec, s[76:77]
	s_movk_i32 s8, 0x47
	v_cmp_gt_i32_e64 s[8:9], s8, v1
	s_mov_b64 s[76:77], -1
	s_and_saveexec_b64 s[78:79], s[8:9]
; %bb.207:                              ;   in Loop: Header=BB25_14 Depth=1
	v_cmp_eq_u32_e64 s[8:9], 0, v1
	s_orn2_b64 s[76:77], s[8:9], exec
; %bb.208:                              ;   in Loop: Header=BB25_14 Depth=1
	s_or_b64 exec, exec, s[78:79]
	s_and_b64 exec, exec, s[76:77]
	s_cbranch_execz .LBB25_211
; %bb.209:                              ;   in Loop: Header=BB25_14 Depth=1
	v_mov_b32_e32 v1, v162
	v_add_u32_e32 v1, s63, v1
	v_cmp_gt_i32_e64 s[8:9], s28, v1
	s_and_b64 s[8:9], s[8:9], vcc
	s_and_b64 exec, exec, s[8:9]
	s_cbranch_execz .LBB25_211
; %bb.210:                              ;   in Loop: Header=BB25_14 Depth=1
	v_mad_u64_u32 v[2:3], s[8:9], v1, s29, v[52:53]
	v_mov_b32_e32 v1, v165
	v_add_u32_e32 v1, 0, v1
	ds_read2st64_b32 v[4:5], v1 offset0:1 offset1:18
	ds_read2st64_b32 v[6:7], v166 offset1:17
	v_lshl_add_u32 v2, v2, 6, v26
	v_ashrrev_i32_e32 v3, 31, v2
	v_lshlrev_b64 v[2:3], 3, v[2:3]
	v_add_co_u32_e32 v2, vcc, s51, v2
	s_waitcnt lgkmcnt(0)
	v_cvt_f32_f16_sdwa v9, v6 dst_sel:DWORD dst_unused:UNUSED_PAD src0_sel:WORD_1
	v_cvt_f32_f16_e32 v8, v6
	v_cvt_f32_f16_sdwa v11, v7 dst_sel:DWORD dst_unused:UNUSED_PAD src0_sel:WORD_1
	v_cvt_f32_f16_e32 v10, v7
	v_mov_b32_e32 v1, s10
	v_pk_fma_f32 v[8:9], v[4:5], v[8:9], 0 op_sel_hi:[0,1,0]
	v_mov_b32_e32 v4, v5
	v_addc_co_u32_e32 v3, vcc, v1, v3, vcc
	v_pk_fma_f32 v[4:5], v[4:5], v[10:11], v[8:9] op_sel_hi:[0,1,1]
	global_store_dwordx2 v[2:3], v[4:5], off
.LBB25_211:                             ;   in Loop: Header=BB25_14 Depth=1
	s_or_b64 exec, exec, s[74:75]
	s_barrier
	s_branch .LBB25_13
.LBB25_212:                             ;   in Loop: Header=BB25_14 Depth=1
	s_lshl_b32 s63, s53, 4
	v_add_u32_e32 v1, s63, v67
	v_cmp_gt_i32_e64 s[8:9], s80, v27
	v_cmp_le_i32_e32 vcc, s28, v1
	s_xor_b64 s[8:9], s[8:9], -1
	s_or_b64 s[74:75], vcc, s[8:9]
	s_and_saveexec_b64 s[76:77], s[74:75]
	s_xor_b64 s[74:75], exec, s[76:77]
	s_cbranch_execz .LBB25_214
; %bb.213:                              ;   in Loop: Header=BB25_14 Depth=1
	ds_write_b32 v119, v189
                                        ; implicit-def: $vgpr1
.LBB25_214:                             ;   in Loop: Header=BB25_14 Depth=1
	s_andn2_saveexec_b64 s[74:75], s[74:75]
	s_cbranch_execz .LBB25_216
; %bb.215:                              ;   in Loop: Header=BB25_14 Depth=1
	v_mad_u64_u32 v[2:3], s[76:77], v1, s33, v[54:55]
	v_ashrrev_i32_e32 v3, 31, v2
	v_lshlrev_b64 v[2:3], 3, v[2:3]
	v_mov_b32_e32 v1, s52
	v_add_co_u32_e32 v2, vcc, s56, v2
	v_addc_co_u32_e32 v3, vcc, v1, v3, vcc
	global_load_dwordx2 v[2:3], v[2:3], off
	s_waitcnt vmcnt(0)
	v_cvt_f16_f32_e32 v1, v2
	v_cvt_f16_f32_e32 v2, v3
	v_pack_b32_f16 v1, v1, v2
	v_pk_mul_f16 v1, v75, v1
	ds_write_b32 v119, v1
.LBB25_216:                             ;   in Loop: Header=BB25_14 Depth=1
	s_or_b64 exec, exec, s[74:75]
	v_add_u32_e32 v1, s63, v211
	v_cmp_le_i32_e32 vcc, s28, v1
	s_or_b64 s[74:75], vcc, s[8:9]
	s_and_saveexec_b64 s[76:77], s[74:75]
	s_xor_b64 s[74:75], exec, s[76:77]
	s_cbranch_execz .LBB25_218
; %bb.217:                              ;   in Loop: Header=BB25_14 Depth=1
	ds_write_b32 v119, v189 offset:1088
                                        ; implicit-def: $vgpr1
.LBB25_218:                             ;   in Loop: Header=BB25_14 Depth=1
	s_andn2_saveexec_b64 s[74:75], s[74:75]
	s_cbranch_execz .LBB25_220
; %bb.219:                              ;   in Loop: Header=BB25_14 Depth=1
	v_mad_u64_u32 v[2:3], s[76:77], v1, s33, v[54:55]
	v_ashrrev_i32_e32 v3, 31, v2
	v_lshlrev_b64 v[2:3], 3, v[2:3]
	v_mov_b32_e32 v1, s52
	v_add_co_u32_e32 v2, vcc, s56, v2
	v_addc_co_u32_e32 v3, vcc, v1, v3, vcc
	global_load_dwordx2 v[2:3], v[2:3], off
	s_waitcnt vmcnt(0)
	v_cvt_f16_f32_e32 v1, v2
	v_cvt_f16_f32_e32 v2, v3
	v_pack_b32_f16 v1, v1, v2
	v_pk_mul_f16 v1, v75, v1
	ds_write_b32 v119, v1 offset:1088
.LBB25_220:                             ;   in Loop: Header=BB25_14 Depth=1
	s_or_b64 exec, exec, s[74:75]
	v_add_u32_e32 v1, s63, v212
	v_cmp_le_i32_e32 vcc, s28, v1
	s_or_b64 s[74:75], vcc, s[8:9]
	s_and_saveexec_b64 s[76:77], s[74:75]
	s_xor_b64 s[74:75], exec, s[76:77]
	s_cbranch_execz .LBB25_222
; %bb.221:                              ;   in Loop: Header=BB25_14 Depth=1
	ds_write_b32 v119, v189 offset:2176
                                        ; implicit-def: $vgpr1
.LBB25_222:                             ;   in Loop: Header=BB25_14 Depth=1
	s_andn2_saveexec_b64 s[74:75], s[74:75]
	s_cbranch_execz .LBB25_224
; %bb.223:                              ;   in Loop: Header=BB25_14 Depth=1
	v_mad_u64_u32 v[2:3], s[76:77], v1, s33, v[54:55]
	v_ashrrev_i32_e32 v3, 31, v2
	v_lshlrev_b64 v[2:3], 3, v[2:3]
	v_mov_b32_e32 v1, s52
	v_add_co_u32_e32 v2, vcc, s56, v2
	v_addc_co_u32_e32 v3, vcc, v1, v3, vcc
	global_load_dwordx2 v[2:3], v[2:3], off
	s_waitcnt vmcnt(0)
	v_cvt_f16_f32_e32 v1, v2
	v_cvt_f16_f32_e32 v2, v3
	v_pack_b32_f16 v1, v1, v2
	v_pk_mul_f16 v1, v75, v1
	ds_write_b32 v119, v1 offset:2176
.LBB25_224:                             ;   in Loop: Header=BB25_14 Depth=1
	;; [unrolled: 28-line block ×7, first 2 shown]
	s_or_b64 exec, exec, s[8:9]
	s_waitcnt lgkmcnt(0)
	s_barrier
	ds_read2_b64 v[14:17], v114 offset1:4
	ds_read2_b64 v[10:13], v114 offset0:8 offset1:12
	ds_read2_b64 v[6:9], v114 offset0:16 offset1:20
	;; [unrolled: 1-line block ×3, first 2 shown]
	s_cmp_gt_i32 s62, 1
	s_waitcnt lgkmcnt(0)
	s_barrier
	s_cbranch_scc1 .LBB25_246
; %bb.245:                              ;   in Loop: Header=BB25_14 Depth=1
	v_add_u32_e32 v1, s63, v115
	v_mul_hi_u32 v18, s42, v1
	v_add_u32_e32 v18, v1, v18
	v_lshrrev_b32_e32 v18, s43, v18
	v_mul_lo_u32 v18, v18, s28
	v_sub_u32_e32 v1, v1, v18
	v_mad_i64_i32 v[58:59], s[8:9], v1, s44, 0
	v_add_u32_e32 v1, s63, v191
	v_mul_hi_u32 v18, s42, v1
	v_add_u32_e32 v18, v1, v18
	v_lshrrev_b32_e32 v18, s43, v18
	v_mul_lo_u32 v18, v18, s28
	v_sub_u32_e32 v1, v1, v18
	v_mad_i64_i32 v[60:61], s[8:9], v1, s44, 0
	s_mov_b64 s[8:9], 0
	s_mov_b32 s53, 0xfeffffff
	s_mov_b32 s56, 0
	;; [unrolled: 1-line block ×3, first 2 shown]
	s_branch .LBB25_247
.LBB25_246:                             ;   in Loop: Header=BB25_14 Depth=1
	s_mov_b64 s[8:9], -1
                                        ; implicit-def: $sgpr52
                                        ; implicit-def: $sgpr56
                                        ; implicit-def: $sgpr53
                                        ; implicit-def: $vgpr58_vgpr59
                                        ; implicit-def: $vgpr60_vgpr61
.LBB25_247:                             ;   in Loop: Header=BB25_14 Depth=1
	s_andn2_b64 vcc, exec, s[8:9]
	v_mov_b32_e32 v225, s52
	v_mov_b32_e32 v23, s56
	;; [unrolled: 1-line block ×18, first 2 shown]
	s_cbranch_vccnz .LBB25_283
; %bb.248:                              ;   in Loop: Header=BB25_14 Depth=1
	v_add_u32_e32 v1, s63, v115
	v_mul_hi_u32 v18, s42, v1
	v_add_u32_e32 v18, v1, v18
	v_lshrrev_b32_e32 v18, s43, v18
	v_mul_lo_u32 v18, v18, s28
	v_sub_u32_e32 v1, v1, v18
	v_add_u32_e32 v18, s63, v191
	v_mul_hi_u32 v19, s42, v18
	v_add_u32_e32 v19, v18, v19
	v_lshrrev_b32_e32 v19, s43, v19
	v_mul_lo_u32 v19, v19, s28
	v_sub_u32_e32 v20, v18, v19
	v_and_b32_e32 v18, 64, v188
	v_add_u32_e32 v18, 64, v18
	v_xor_b32_e32 v19, 32, v188
	v_cmp_lt_i32_e32 vcc, v19, v18
	v_cndmask_b32_e32 v19, v188, v19, vcc
	v_mad_i64_i32 v[58:59], s[8:9], v1, s44, 0
	v_mad_i64_i32 v[60:61], s[8:9], v20, s44, 0
	v_lshlrev_b32_e32 v233, 2, v19
	v_xor_b32_e32 v19, 16, v188
	v_cmp_lt_i32_e32 vcc, v19, v18
	v_readlane_b32 s8, v255, 24
	v_cndmask_b32_e32 v18, v188, v19, vcc
	v_readlane_b32 s9, v255, 25
	s_mov_b32 s56, s8
	v_lshlrev_b32_e32 v234, 2, v18
	v_mad_i64_i32 v[18:19], s[8:9], s56, v1, v[56:57]
	v_add_co_u32_e32 v62, vcc, v170, v18
	s_add_i32 s52, s62, -1
	v_addc_co_u32_e32 v63, vcc, v171, v19, vcc
	v_mad_i64_i32 v[18:19], s[8:9], s56, v20, v[56:57]
	v_add_co_u32_e32 v56, vcc, v170, v18
	s_add_u32 s8, s93, s94
	v_addc_co_u32_e32 v57, vcc, v171, v19, vcc
	s_addc_u32 s9, s60, s95
	v_mov_b32_e32 v1, s9
	v_add_co_u32_e32 v64, vcc, s8, v172
	v_addc_co_u32_e32 v1, vcc, v173, v1, vcc
	v_mov_b32_e32 v18, s9
	v_add_co_u32_e32 v66, vcc, s8, v174
	v_addc_co_u32_e32 v27, vcc, v175, v18, vcc
	v_add_co_u32_e32 v68, vcc, s8, v176
	v_addc_co_u32_e32 v47, vcc, v177, v18, vcc
	v_add_co_u32_e32 v70, vcc, s8, v178
	s_add_u32 s8, s65, s91
	v_addc_co_u32_e32 v49, vcc, v179, v18, vcc
	s_addc_u32 s9, s64, s92
	v_mov_b32_e32 v18, s9
	v_add_co_u32_e32 v72, vcc, s8, v180
	v_addc_co_u32_e32 v51, vcc, v181, v18, vcc
	v_add_co_u32_e32 v74, vcc, s8, v182
	v_addc_co_u32_e32 v53, vcc, v183, v18, vcc
	;; [unrolled: 2-line block ×3, first 2 shown]
	v_add_co_u32_e32 v78, vcc, s8, v186
	v_mov_b32_e32 v241, 0
	v_addc_co_u32_e32 v65, vcc, v187, v18, vcc
	v_mov_b32_e32 v243, 0
	v_mov_b32_e32 v244, 0xfeffffff
	s_mov_b32 s53, s52
	v_mov_b32_e32 v242, 0
	v_mov_b32_e32 v240, 0
	;; [unrolled: 1-line block ×15, first 2 shown]
.LBB25_249:                             ;   Parent Loop BB25_14 Depth=1
                                        ; =>  This Inner Loop Header: Depth=2
	global_load_dword v18, v[62:63], off
	v_add_u32_e32 v19, v192, v190
	v_add_u32_e32 v245, v85, v116
	s_waitcnt vmcnt(0)
	ds_write_b32 v19, v18 offset:17408
	global_load_dword v18, v[56:57], off
	s_waitcnt vmcnt(0)
	ds_write_b32 v19, v18 offset:18560
	v_add_co_u32_e32 v18, vcc, v72, v48
	v_addc_co_u32_e32 v19, vcc, 0, v51, vcc
	global_load_dwordx4 v[18:21], v[18:19], off
	s_waitcnt vmcnt(0)
	ds_write_b128 v86, v[18:21]
	v_add_co_u32_e32 v18, vcc, v74, v48
	v_addc_co_u32_e32 v19, vcc, 0, v53, vcc
	global_load_dwordx4 v[18:21], v[18:19], off
	s_waitcnt vmcnt(0)
	ds_write_b128 v193, v[18:21]
	;; [unrolled: 5-line block ×4, first 2 shown]
	s_waitcnt lgkmcnt(0)
	s_barrier
	ds_read2_b64 v[18:21], v245 offset1:4
	s_waitcnt lgkmcnt(0)
	v_mfma_f32_16x16x16f16 v[22:25], v[18:19], v[14:15], 0
	v_mfma_f32_16x16x16f16 v[18:21], v[20:21], v[16:17], v[22:25]
	s_nop 7
	s_nop 1
	ds_read2_b64 v[22:25], v245 offset0:8 offset1:12
	s_waitcnt lgkmcnt(0)
	v_mfma_f32_16x16x16f16 v[18:21], v[22:23], v[10:11], v[18:21]
	v_mfma_f32_16x16x16f16 v[18:21], v[24:25], v[12:13], v[18:21]
	ds_read2_b64 v[22:25], v245 offset0:16 offset1:20
	s_waitcnt lgkmcnt(0)
	v_mfma_f32_16x16x16f16 v[18:21], v[22:23], v[6:7], v[18:21]
	v_mfma_f32_16x16x16f16 v[18:21], v[24:25], v[8:9], v[18:21]
	ds_read2_b64 v[22:25], v245 offset0:24 offset1:28
	v_add_u32_e32 v245, 0x2000, v245
	s_waitcnt lgkmcnt(0)
	v_mfma_f32_16x16x16f16 v[18:21], v[22:23], v[2:3], v[18:21]
	v_mfma_f32_16x16x16f16 v[18:21], v[24:25], v[4:5], v[18:21]
	ds_read2_b64 v[22:25], v245 offset0:64 offset1:68
	s_waitcnt lgkmcnt(0)
	v_mfma_f32_16x16x16f16 v[246:249], v[22:23], v[14:15], 0
	s_nop 7
	v_cmp_nlt_f32_e64 s[8:9], |v18|, s45
	v_mfma_f32_16x16x16f16 v[22:25], v[24:25], v[16:17], v[246:249]
	s_nop 6
	ds_read2_b64 v[246:249], v245 offset0:72 offset1:76
	s_waitcnt lgkmcnt(0)
	v_mfma_f32_16x16x16f16 v[22:25], v[246:247], v[10:11], v[22:25]
	v_mfma_f32_16x16x16f16 v[22:25], v[248:249], v[12:13], v[22:25]
	ds_read2_b64 v[246:249], v245 offset0:80 offset1:84
	s_waitcnt lgkmcnt(0)
	v_mfma_f32_16x16x16f16 v[22:25], v[246:247], v[6:7], v[22:25]
	v_mfma_f32_16x16x16f16 v[22:25], v[248:249], v[8:9], v[22:25]
	ds_read2_b64 v[246:249], v245 offset0:88 offset1:92
	s_waitcnt lgkmcnt(0)
	s_barrier
	s_waitcnt lgkmcnt(0)
                                        ; implicit-def: $vgpr245
	v_mfma_f32_16x16x16f16 v[22:25], v[246:247], v[2:3], v[22:25]
	v_mfma_f32_16x16x16f16 v[22:25], v[248:249], v[4:5], v[22:25]
	s_and_saveexec_b64 s[64:65], s[8:9]
	s_xor_b64 s[8:9], exec, s[64:65]
	s_cbranch_execz .LBB25_251
; %bb.250:                              ;   in Loop: Header=BB25_249 Depth=2
	v_add_f32_e64 v245, |v18|, |v18|
	v_mul_f32_e32 v246, 0x3fb8aa3b, v245
	v_rndne_f32_e32 v247, v246
	v_sub_f32_e32 v248, v246, v247
	v_fma_f32 v246, v245, s67, -v246
	v_fmac_f32_e32 v246, 0x32a5705f, v245
	v_add_f32_e32 v246, v248, v246
	v_cvt_i32_f32_e32 v247, v247
	v_exp_f32_e32 v246, v246
	v_cmp_ngt_f32_e32 vcc, s55, v245
	v_ldexp_f32 v246, v246, v247
	v_cndmask_b32_e32 v246, 0, v246, vcc
	v_cmp_nlt_f32_e32 vcc, s7, v245
	v_cndmask_b32_e32 v245, v222, v246, vcc
	v_add_f32_e32 v245, 1.0, v245
	v_rcp_f32_e32 v245, v245
	v_fma_f32 v245, v245, -2.0, 1.0
.LBB25_251:                             ;   in Loop: Header=BB25_249 Depth=2
	s_andn2_saveexec_b64 s[8:9], s[8:9]
; %bb.252:                              ;   in Loop: Header=BB25_249 Depth=2
	v_mul_f32_e32 v245, v18, v18
	v_mov_b32_e32 v246, 0x3ca908c9
	v_fmac_f32_e32 v246, 0xbbbac73d, v245
	v_fma_f32 v246, v245, v246, v219
	v_fma_f32 v246, v245, v246, v220
	;; [unrolled: 1-line block ×3, first 2 shown]
	v_mul_f32_e64 v246, |v18|, v246
	v_fma_f32 v245, v245, v246, |v18|
; %bb.253:                              ;   in Loop: Header=BB25_249 Depth=2
	s_or_b64 exec, exec, s[8:9]
	v_cmp_nlt_f32_e64 s[8:9], |v19|, s45
                                        ; implicit-def: $vgpr246
	s_and_saveexec_b64 s[64:65], s[8:9]
	s_xor_b64 s[8:9], exec, s[64:65]
	s_cbranch_execz .LBB25_255
; %bb.254:                              ;   in Loop: Header=BB25_249 Depth=2
	v_add_f32_e64 v246, |v19|, |v19|
	v_mul_f32_e32 v247, 0x3fb8aa3b, v246
	v_rndne_f32_e32 v248, v247
	v_sub_f32_e32 v249, v247, v248
	v_fma_f32 v247, v246, s67, -v247
	v_fmac_f32_e32 v247, 0x32a5705f, v246
	v_add_f32_e32 v247, v249, v247
	v_cvt_i32_f32_e32 v248, v248
	v_exp_f32_e32 v247, v247
	v_cmp_ngt_f32_e32 vcc, s55, v246
	v_ldexp_f32 v247, v247, v248
	v_cndmask_b32_e32 v247, 0, v247, vcc
	v_cmp_nlt_f32_e32 vcc, s7, v246
	v_cndmask_b32_e32 v246, v222, v247, vcc
	v_add_f32_e32 v246, 1.0, v246
	v_rcp_f32_e32 v246, v246
	v_fma_f32 v246, v246, -2.0, 1.0
.LBB25_255:                             ;   in Loop: Header=BB25_249 Depth=2
	s_andn2_saveexec_b64 s[8:9], s[8:9]
; %bb.256:                              ;   in Loop: Header=BB25_249 Depth=2
	v_mul_f32_e32 v246, v19, v19
	v_mov_b32_e32 v247, 0x3ca908c9
	v_fmac_f32_e32 v247, 0xbbbac73d, v246
	v_fma_f32 v247, v246, v247, v219
	v_fma_f32 v247, v246, v247, v220
	;; [unrolled: 1-line block ×3, first 2 shown]
	v_mul_f32_e64 v247, |v19|, v247
	v_fma_f32 v246, v246, v247, |v19|
; %bb.257:                              ;   in Loop: Header=BB25_249 Depth=2
	s_or_b64 exec, exec, s[8:9]
	v_cmp_nlt_f32_e64 s[8:9], |v20|, s45
                                        ; implicit-def: $vgpr247
	s_and_saveexec_b64 s[64:65], s[8:9]
	s_xor_b64 s[8:9], exec, s[64:65]
	s_cbranch_execz .LBB25_259
; %bb.258:                              ;   in Loop: Header=BB25_249 Depth=2
	v_add_f32_e64 v247, |v20|, |v20|
	v_mul_f32_e32 v248, 0x3fb8aa3b, v247
	v_rndne_f32_e32 v249, v248
	v_sub_f32_e32 v250, v248, v249
	v_fma_f32 v248, v247, s67, -v248
	v_fmac_f32_e32 v248, 0x32a5705f, v247
	v_add_f32_e32 v248, v250, v248
	v_cvt_i32_f32_e32 v249, v249
	v_exp_f32_e32 v248, v248
	v_cmp_ngt_f32_e32 vcc, s55, v247
	v_ldexp_f32 v248, v248, v249
	v_cndmask_b32_e32 v248, 0, v248, vcc
	v_cmp_nlt_f32_e32 vcc, s7, v247
	v_cndmask_b32_e32 v247, v222, v248, vcc
	v_add_f32_e32 v247, 1.0, v247
	v_rcp_f32_e32 v247, v247
	v_fma_f32 v247, v247, -2.0, 1.0
.LBB25_259:                             ;   in Loop: Header=BB25_249 Depth=2
	s_andn2_saveexec_b64 s[8:9], s[8:9]
; %bb.260:                              ;   in Loop: Header=BB25_249 Depth=2
	v_mul_f32_e32 v247, v20, v20
	v_mov_b32_e32 v248, 0x3ca908c9
	v_fmac_f32_e32 v248, 0xbbbac73d, v247
	v_fma_f32 v248, v247, v248, v219
	v_fma_f32 v248, v247, v248, v220
	;; [unrolled: 1-line block ×3, first 2 shown]
	v_mul_f32_e64 v248, |v20|, v248
	v_fma_f32 v247, v247, v248, |v20|
; %bb.261:                              ;   in Loop: Header=BB25_249 Depth=2
	s_or_b64 exec, exec, s[8:9]
	v_cmp_nlt_f32_e64 s[8:9], |v21|, s45
                                        ; implicit-def: $vgpr248
	s_and_saveexec_b64 s[64:65], s[8:9]
	s_xor_b64 s[8:9], exec, s[64:65]
	s_cbranch_execz .LBB25_263
; %bb.262:                              ;   in Loop: Header=BB25_249 Depth=2
	v_add_f32_e64 v248, |v21|, |v21|
	v_mul_f32_e32 v249, 0x3fb8aa3b, v248
	v_rndne_f32_e32 v250, v249
	v_sub_f32_e32 v251, v249, v250
	v_fma_f32 v249, v248, s67, -v249
	v_fmac_f32_e32 v249, 0x32a5705f, v248
	v_add_f32_e32 v249, v251, v249
	v_cvt_i32_f32_e32 v250, v250
	v_exp_f32_e32 v249, v249
	v_cmp_ngt_f32_e32 vcc, s55, v248
	v_ldexp_f32 v249, v249, v250
	v_cndmask_b32_e32 v249, 0, v249, vcc
	v_cmp_nlt_f32_e32 vcc, s7, v248
	v_cndmask_b32_e32 v248, v222, v249, vcc
	v_add_f32_e32 v248, 1.0, v248
	v_rcp_f32_e32 v248, v248
	v_fma_f32 v248, v248, -2.0, 1.0
.LBB25_263:                             ;   in Loop: Header=BB25_249 Depth=2
	s_andn2_saveexec_b64 s[8:9], s[8:9]
; %bb.264:                              ;   in Loop: Header=BB25_249 Depth=2
	v_mul_f32_e32 v248, v21, v21
	v_mov_b32_e32 v249, 0x3ca908c9
	v_fmac_f32_e32 v249, 0xbbbac73d, v248
	v_fma_f32 v249, v248, v249, v219
	v_fma_f32 v249, v248, v249, v220
	v_fma_f32 v249, v248, v249, v221
	v_mul_f32_e64 v249, |v21|, v249
	v_fma_f32 v248, v248, v249, |v21|
; %bb.265:                              ;   in Loop: Header=BB25_249 Depth=2
	s_or_b64 exec, exec, s[8:9]
	v_cmp_nlt_f32_e64 s[8:9], |v22|, s45
                                        ; implicit-def: $vgpr249
	s_and_saveexec_b64 s[64:65], s[8:9]
	s_xor_b64 s[8:9], exec, s[64:65]
	s_cbranch_execz .LBB25_267
; %bb.266:                              ;   in Loop: Header=BB25_249 Depth=2
	v_add_f32_e64 v249, |v22|, |v22|
	v_mul_f32_e32 v250, 0x3fb8aa3b, v249
	v_rndne_f32_e32 v251, v250
	v_sub_f32_e32 v252, v250, v251
	v_fma_f32 v250, v249, s67, -v250
	v_fmac_f32_e32 v250, 0x32a5705f, v249
	v_add_f32_e32 v250, v252, v250
	v_cvt_i32_f32_e32 v251, v251
	v_exp_f32_e32 v250, v250
	v_cmp_ngt_f32_e32 vcc, s55, v249
	v_ldexp_f32 v250, v250, v251
	v_cndmask_b32_e32 v250, 0, v250, vcc
	v_cmp_nlt_f32_e32 vcc, s7, v249
	v_cndmask_b32_e32 v249, v222, v250, vcc
	v_add_f32_e32 v249, 1.0, v249
	v_rcp_f32_e32 v249, v249
	v_fma_f32 v249, v249, -2.0, 1.0
.LBB25_267:                             ;   in Loop: Header=BB25_249 Depth=2
	s_andn2_saveexec_b64 s[8:9], s[8:9]
; %bb.268:                              ;   in Loop: Header=BB25_249 Depth=2
	v_mul_f32_e32 v249, v22, v22
	v_mov_b32_e32 v250, 0x3ca908c9
	v_fmac_f32_e32 v250, 0xbbbac73d, v249
	v_fma_f32 v250, v249, v250, v219
	v_fma_f32 v250, v249, v250, v220
	;; [unrolled: 1-line block ×3, first 2 shown]
	v_mul_f32_e64 v250, |v22|, v250
	v_fma_f32 v249, v249, v250, |v22|
; %bb.269:                              ;   in Loop: Header=BB25_249 Depth=2
	s_or_b64 exec, exec, s[8:9]
	v_cmp_nlt_f32_e64 s[8:9], |v23|, s45
                                        ; implicit-def: $vgpr250
	s_and_saveexec_b64 s[64:65], s[8:9]
	s_xor_b64 s[8:9], exec, s[64:65]
	s_cbranch_execz .LBB25_271
; %bb.270:                              ;   in Loop: Header=BB25_249 Depth=2
	v_add_f32_e64 v250, |v23|, |v23|
	v_mul_f32_e32 v251, 0x3fb8aa3b, v250
	v_rndne_f32_e32 v252, v251
	v_sub_f32_e32 v253, v251, v252
	v_fma_f32 v251, v250, s67, -v251
	v_fmac_f32_e32 v251, 0x32a5705f, v250
	v_add_f32_e32 v251, v253, v251
	v_cvt_i32_f32_e32 v252, v252
	v_exp_f32_e32 v251, v251
	v_cmp_ngt_f32_e32 vcc, s55, v250
	v_ldexp_f32 v251, v251, v252
	v_cndmask_b32_e32 v251, 0, v251, vcc
	v_cmp_nlt_f32_e32 vcc, s7, v250
	v_cndmask_b32_e32 v250, v222, v251, vcc
	v_add_f32_e32 v250, 1.0, v250
	v_rcp_f32_e32 v250, v250
	v_fma_f32 v250, v250, -2.0, 1.0
.LBB25_271:                             ;   in Loop: Header=BB25_249 Depth=2
	s_andn2_saveexec_b64 s[8:9], s[8:9]
; %bb.272:                              ;   in Loop: Header=BB25_249 Depth=2
	v_mul_f32_e32 v250, v23, v23
	v_mov_b32_e32 v251, 0x3ca908c9
	v_fmac_f32_e32 v251, 0xbbbac73d, v250
	v_fma_f32 v251, v250, v251, v219
	v_fma_f32 v251, v250, v251, v220
	;; [unrolled: 1-line block ×3, first 2 shown]
	v_mul_f32_e64 v251, |v23|, v251
	v_fma_f32 v250, v250, v251, |v23|
; %bb.273:                              ;   in Loop: Header=BB25_249 Depth=2
	s_or_b64 exec, exec, s[8:9]
	v_cmp_nlt_f32_e64 s[8:9], |v24|, s45
                                        ; implicit-def: $vgpr251
	s_and_saveexec_b64 s[64:65], s[8:9]
	s_xor_b64 s[8:9], exec, s[64:65]
	s_cbranch_execz .LBB25_275
; %bb.274:                              ;   in Loop: Header=BB25_249 Depth=2
	v_add_f32_e64 v251, |v24|, |v24|
	v_mul_f32_e32 v252, 0x3fb8aa3b, v251
	v_rndne_f32_e32 v253, v252
	v_sub_f32_e32 v254, v252, v253
	v_fma_f32 v252, v251, s67, -v252
	v_fmac_f32_e32 v252, 0x32a5705f, v251
	v_add_f32_e32 v252, v254, v252
	v_cvt_i32_f32_e32 v253, v253
	v_exp_f32_e32 v252, v252
	v_cmp_ngt_f32_e32 vcc, s55, v251
	v_ldexp_f32 v252, v252, v253
	v_cndmask_b32_e32 v252, 0, v252, vcc
	v_cmp_nlt_f32_e32 vcc, s7, v251
	v_cndmask_b32_e32 v251, v222, v252, vcc
	v_add_f32_e32 v251, 1.0, v251
	v_rcp_f32_e32 v251, v251
	v_fma_f32 v251, v251, -2.0, 1.0
.LBB25_275:                             ;   in Loop: Header=BB25_249 Depth=2
	s_andn2_saveexec_b64 s[8:9], s[8:9]
; %bb.276:                              ;   in Loop: Header=BB25_249 Depth=2
	v_mul_f32_e32 v251, v24, v24
	v_mov_b32_e32 v252, 0x3ca908c9
	v_fmac_f32_e32 v252, 0xbbbac73d, v251
	v_fma_f32 v252, v251, v252, v219
	v_fma_f32 v252, v251, v252, v220
	;; [unrolled: 1-line block ×3, first 2 shown]
	v_mul_f32_e64 v252, |v24|, v252
	v_fma_f32 v251, v251, v252, |v24|
; %bb.277:                              ;   in Loop: Header=BB25_249 Depth=2
	s_or_b64 exec, exec, s[8:9]
	v_cmp_nlt_f32_e64 s[8:9], |v25|, s45
                                        ; implicit-def: $vgpr252
	s_and_saveexec_b64 s[64:65], s[8:9]
	s_xor_b64 s[8:9], exec, s[64:65]
	s_cbranch_execz .LBB25_279
; %bb.278:                              ;   in Loop: Header=BB25_249 Depth=2
	v_add_f32_e64 v252, |v25|, |v25|
	v_mul_f32_e32 v253, 0x3fb8aa3b, v252
	v_rndne_f32_e32 v254, v253
	v_sub_f32_e32 v168, v253, v254
	v_fma_f32 v253, v252, s67, -v253
	v_fmac_f32_e32 v253, 0x32a5705f, v252
	v_add_f32_e32 v168, v168, v253
	v_cvt_i32_f32_e32 v253, v254
	v_exp_f32_e32 v168, v168
	v_cmp_ngt_f32_e32 vcc, s55, v252
	v_ldexp_f32 v168, v168, v253
	v_cndmask_b32_e32 v168, 0, v168, vcc
	v_cmp_nlt_f32_e32 vcc, s7, v252
	v_cndmask_b32_e32 v168, v222, v168, vcc
	v_add_f32_e32 v168, 1.0, v168
	v_rcp_f32_e32 v168, v168
	v_fma_f32 v252, v168, -2.0, 1.0
.LBB25_279:                             ;   in Loop: Header=BB25_249 Depth=2
	s_andn2_saveexec_b64 s[8:9], s[8:9]
; %bb.280:                              ;   in Loop: Header=BB25_249 Depth=2
	v_mul_f32_e32 v168, v25, v25
	v_mov_b32_e32 v252, 0x3ca908c9
	v_fmac_f32_e32 v252, 0xbbbac73d, v168
	v_fma_f32 v252, v168, v252, v219
	v_fma_f32 v252, v168, v252, v220
	;; [unrolled: 1-line block ×3, first 2 shown]
	v_mul_f32_e64 v252, |v25|, v252
	v_fma_f32 v252, v168, v252, |v25|
; %bb.281:                              ;   in Loop: Header=BB25_249 Depth=2
	s_or_b64 exec, exec, s[8:9]
	v_add_u32_e32 v168, 0x4400, v87
	v_bfi_b32 v20, s6, v247, v20
	v_bfi_b32 v19, s6, v246, v19
	;; [unrolled: 1-line block ×3, first 2 shown]
	ds_read2_b32 v[246:247], v168 offset1:1
	ds_read_b32 v168, v117 offset:17408
	ds_read_b32 v245, v118 offset:17408
	v_bfi_b32 v22, s6, v249, v22
	v_bfi_b32 v21, s6, v248, v21
	s_waitcnt lgkmcnt(2)
	v_cvt_f32_f16_e32 v248, v246
	v_cvt_f32_f16_sdwa v249, v246 dst_sel:DWORD dst_unused:UNUSED_PAD src0_sel:WORD_1
	v_bfi_b32 v25, s6, v252, v25
	v_bfi_b32 v24, s6, v251, v24
	v_bfi_b32 v23, s6, v250, v23
	v_pk_fma_f32 v[18:19], v[18:19], s[34:35], v[248:249]
	v_add_f32_e32 v246, 0x40051340, v18
	v_add_f32_e32 v248, 0x40051340, v19
	v_max3_f32 v246, v244, v246, v248
	s_waitcnt lgkmcnt(0)
	v_cvt_f32_f16_sdwa v249, v245 dst_sel:DWORD dst_unused:UNUSED_PAD src0_sel:WORD_1
	v_cvt_f32_f16_e32 v248, v245
	s_add_i32 s53, s53, -1
	s_cmp_lg_u32 s53, 0
	v_pk_fma_f32 v[24:25], v[24:25], s[34:35], v[248:249]
	v_cvt_f32_f16_sdwa v249, v168 dst_sel:DWORD dst_unused:UNUSED_PAD src0_sel:WORD_1
	v_cvt_f32_f16_e32 v248, v168
	v_add_f32_e32 v245, 0x40051340, v24
	v_add_f32_e32 v250, 0x40051340, v25
	v_pk_fma_f32 v[248:249], v[22:23], s[34:35], v[248:249]
	v_cvt_f32_f16_e32 v22, v247
	v_cvt_f32_f16_sdwa v23, v247 dst_sel:DWORD dst_unused:UNUSED_PAD src0_sel:WORD_1
	v_add_f32_e32 v168, 0x40051340, v248
	v_add_f32_e32 v251, 0x40051340, v249
	v_pk_fma_f32 v[20:21], v[20:21], s[34:35], v[22:23]
	v_add_f32_e32 v22, 0x40051340, v20
	v_add_f32_e32 v23, 0x40051340, v21
	v_max3_f32 v22, v246, v22, v23
	v_max3_f32 v22, v22, v168, v251
	;; [unrolled: 1-line block ×3, first 2 shown]
	ds_bpermute_b32 v23, v233, v22
	s_waitcnt lgkmcnt(0)
	v_max_f32_e32 v23, v23, v23
	v_max_f32_e32 v22, v22, v23
	ds_bpermute_b32 v23, v234, v22
	s_waitcnt lgkmcnt(0)
	v_max_f32_e32 v23, v23, v23
	v_max_f32_e32 v22, v22, v23
	v_pk_add_f32 v[18:19], v[18:19], v[22:23] op_sel_hi:[1,0] neg_lo:[0,1] neg_hi:[0,1]
	v_mul_f32_e32 v23, 0x3fb8aa3b, v19
	v_fma_f32 v168, v19, s67, -v23
	v_rndne_f32_e32 v245, v23
	v_fmac_f32_e32 v168, 0x32a5705f, v19
	v_sub_f32_e32 v23, v23, v245
	v_add_f32_e32 v23, v23, v168
	v_exp_f32_e32 v23, v23
	v_cvt_i32_f32_e32 v168, v245
	v_cmp_ngt_f32_e32 vcc, s55, v19
	v_ldexp_f32 v23, v23, v168
	v_cndmask_b32_e32 v23, 0, v23, vcc
	v_cmp_nlt_f32_e32 vcc, s7, v19
	v_mul_f32_e32 v19, 0x3fb8aa3b, v18
	v_cndmask_b32_e32 v168, v222, v23, vcc
	v_fma_f32 v23, v18, s67, -v19
	v_rndne_f32_e32 v245, v19
	v_fmac_f32_e32 v23, 0x32a5705f, v18
	v_sub_f32_e32 v19, v19, v245
	v_add_f32_e32 v19, v19, v23
	v_exp_f32_e32 v19, v19
	v_cvt_i32_f32_e32 v23, v245
	v_cmp_ngt_f32_e32 vcc, s55, v18
	v_ldexp_f32 v19, v19, v23
	v_cndmask_b32_e32 v19, 0, v19, vcc
	v_cmp_nlt_f32_e32 vcc, s7, v18
	v_cndmask_b32_e32 v245, v222, v19, vcc
	v_pk_add_f32 v[18:19], v[20:21], v[22:23] op_sel_hi:[1,0] neg_lo:[0,1] neg_hi:[0,1]
	v_mul_f32_e32 v20, 0x3fb8aa3b, v19
	v_fma_f32 v21, v19, s67, -v20
	v_rndne_f32_e32 v23, v20
	v_fmac_f32_e32 v21, 0x32a5705f, v19
	v_sub_f32_e32 v20, v20, v23
	v_add_f32_e32 v20, v20, v21
	v_exp_f32_e32 v20, v20
	v_cvt_i32_f32_e32 v21, v23
	v_cmp_ngt_f32_e32 vcc, s55, v19
	v_ldexp_f32 v20, v20, v21
	v_cndmask_b32_e32 v20, 0, v20, vcc
	v_cmp_nlt_f32_e32 vcc, s7, v19
	v_mul_f32_e32 v19, 0x3fb8aa3b, v18
	v_cndmask_b32_e32 v21, v222, v20, vcc
	v_fma_f32 v20, v18, s67, -v19
	v_rndne_f32_e32 v23, v19
	v_fmac_f32_e32 v20, 0x32a5705f, v18
	v_sub_f32_e32 v19, v19, v23
	v_add_f32_e32 v19, v19, v20
	v_exp_f32_e32 v19, v19
	v_cvt_i32_f32_e32 v20, v23
	v_cmp_ngt_f32_e32 vcc, s55, v18
	v_ldexp_f32 v19, v19, v20
	v_cndmask_b32_e32 v19, 0, v19, vcc
	v_cmp_nlt_f32_e32 vcc, s7, v18
	v_cndmask_b32_e32 v246, v222, v19, vcc
	;; [unrolled: 27-line block ×3, first 2 shown]
	v_pk_add_f32 v[18:19], v[24:25], v[22:23] op_sel_hi:[1,0] neg_lo:[0,1] neg_hi:[0,1]
	v_mul_f32_e32 v20, 0x3fb8aa3b, v19
	v_fma_f32 v23, v19, s67, -v20
	v_rndne_f32_e32 v24, v20
	v_fmac_f32_e32 v23, 0x32a5705f, v19
	v_sub_f32_e32 v20, v20, v24
	v_add_f32_e32 v20, v20, v23
	v_exp_f32_e32 v20, v20
	v_cvt_i32_f32_e32 v23, v24
	v_cmp_ngt_f32_e32 vcc, s55, v19
	v_ldexp_f32 v20, v20, v23
	v_cndmask_b32_e32 v20, 0, v20, vcc
	v_cmp_nlt_f32_e32 vcc, s7, v19
	v_cndmask_b32_e32 v19, v222, v20, vcc
	v_mul_f32_e32 v20, 0x3fb8aa3b, v18
	v_fma_f32 v23, v18, s67, -v20
	v_rndne_f32_e32 v24, v20
	v_fmac_f32_e32 v23, 0x32a5705f, v18
	v_sub_f32_e32 v20, v20, v24
	v_add_f32_e32 v20, v20, v23
	v_exp_f32_e32 v20, v20
	v_cvt_i32_f32_e32 v23, v24
	v_cmp_ngt_f32_e32 vcc, s55, v18
	v_ldexp_f32 v20, v20, v23
	v_cndmask_b32_e32 v20, 0, v20, vcc
	v_cmp_nlt_f32_e32 vcc, s7, v18
	v_add_f32_e32 v18, v245, v168
	v_add_f32_e32 v18, v246, v18
	;; [unrolled: 1-line block ×4, first 2 shown]
	v_cndmask_b32_e32 v249, v222, v20, vcc
	v_add_f32_e32 v18, v247, v18
	v_add_f32_e32 v18, v249, v18
	;; [unrolled: 1-line block ×3, first 2 shown]
	v_sub_f32_e32 v18, v244, v22
	v_mul_f32_e32 v20, 0x3fb8aa3b, v18
	v_fma_f32 v24, v18, s67, -v20
	v_rndne_f32_e32 v25, v20
	v_fmac_f32_e32 v24, 0x32a5705f, v18
	v_sub_f32_e32 v20, v20, v25
	v_add_f32_e32 v20, v20, v24
	v_exp_f32_e32 v20, v20
	v_cvt_i32_f32_e32 v24, v25
	v_cmp_ngt_f32_e32 vcc, s55, v18
	v_cvt_f16_f32_e32 v19, v19
	v_ldexp_f32 v20, v20, v24
	v_cndmask_b32_e32 v20, 0, v20, vcc
	v_cmp_nlt_f32_e32 vcc, s7, v18
	v_cndmask_b32_e32 v20, v222, v20, vcc
	v_cmp_le_f32_e32 vcc, s89, v18
	v_cndmask_b32_e32 v18, 0, v20, vcc
	v_fmac_f32_e32 v23, v243, v18
	v_cvt_f16_f32_e32 v18, v18
	v_cvt_f16_f32_e32 v20, v168
	;; [unrolled: 1-line block ×3, first 2 shown]
	v_pk_mul_f16 v24, v18, v242 op_sel_hi:[0,1]
	v_add_co_u32_e32 v242, vcc, v64, v48
	v_addc_co_u32_e32 v243, vcc, 0, v1, vcc
	v_pk_mul_f16 v226, v18, v226 op_sel_hi:[0,1]
	v_pk_mul_f16 v225, v18, v225 op_sel_hi:[0,1]
	;; [unrolled: 1-line block ×15, first 2 shown]
	v_cvt_f16_f32_e32 v18, v245
	global_load_dwordx4 v[242:245], v[242:243], off
	v_pack_b32_f16 v20, v18, v20
	v_cvt_f16_f32_e32 v18, v21
	v_cvt_f16_f32_e32 v21, v246
	v_add_co_u32_e32 v246, vcc, v66, v48
	v_pack_b32_f16 v21, v21, v18
	v_cvt_f16_f32_e32 v18, v247
	v_addc_co_u32_e32 v247, vcc, 0, v27, vcc
	v_add_co_u32_e32 v248, vcc, v68, v48
	v_pack_b32_f16 v18, v168, v18
	v_cvt_f16_f32_e32 v168, v249
	v_addc_co_u32_e32 v249, vcc, 0, v47, vcc
	v_add_co_u32_e32 v250, vcc, v70, v48
	v_addc_co_u32_e32 v251, vcc, 0, v49, vcc
	v_pack_b32_f16 v19, v168, v19
	v_add_co_u32_e32 v62, vcc, s90, v62
	v_addc_co_u32_e32 v63, vcc, 0, v63, vcc
	v_add_co_u32_e32 v56, vcc, s90, v56
	v_addc_co_u32_e32 v57, vcc, 0, v57, vcc
	v_add_co_u32_e32 v64, vcc, s68, v64
	s_waitcnt vmcnt(0)
	ds_write_b128 v86, v[242:245]
	global_load_dwordx4 v[242:245], v[246:247], off
	s_waitcnt vmcnt(0)
	ds_write_b128 v193, v[242:245]
	global_load_dwordx4 v[242:245], v[248:249], off
	;; [unrolled: 3-line block ×3, first 2 shown]
	s_waitcnt vmcnt(0)
	ds_write_b128 v195, v[242:245]
	s_waitcnt lgkmcnt(0)
	s_barrier
	ds_read_u16 v168, v89 offset:272
	ds_read_u16 v241, v89 offset:544
	v_cvt_f32_f16_e32 v244, v225
	v_cvt_f32_f16_sdwa v245, v225 dst_sel:DWORD dst_unused:UNUSED_PAD src0_sel:WORD_1
	ds_read_u16 v225, v90
	ds_read_u16 v248, v90 offset:32
	v_cvt_f32_f16_e32 v242, v226
	v_cvt_f32_f16_sdwa v243, v226 dst_sel:DWORD dst_unused:UNUSED_PAD src0_sel:WORD_1
	s_waitcnt lgkmcnt(1)
	v_perm_b32 v247, v225, v241, s66
	ds_read_u16 v225, v88
	ds_read_u16 v241, v88 offset:32
	s_waitcnt lgkmcnt(1)
	v_perm_b32 v246, v168, v225, s66
	s_nop 1
	v_mfma_f32_16x16x16f16 v[242:245], v[246:247], v[20:21], v[242:245]
	ds_read_u16 v246, v88 offset:8704
	ds_read_u16 v249, v196 offset:272
	;; [unrolled: 1-line block ×4, first 2 shown]
	s_waitcnt lgkmcnt(2)
	v_perm_b32 v246, v249, v246, s66
	s_waitcnt lgkmcnt(0)
	v_perm_b32 v247, v250, v247, s66
	s_nop 2
	v_cvt_f16_f32_e32 v168, v242
	v_cvt_f16_f32_e32 v225, v243
	v_cvt_f16_f32_e32 v226, v244
	v_cvt_f16_f32_e32 v245, v245
	v_cvt_f32_f16_e32 v242, v168
	v_cvt_f32_f16_e32 v243, v225
	;; [unrolled: 1-line block ×4, first 2 shown]
	s_nop 1
	v_mfma_f32_16x16x16f16 v[242:245], v[246:247], v[18:19], v[242:245]
	s_nop 7
	s_nop 2
	v_cvt_f16_f32_e32 v168, v242
	v_cvt_f16_f32_e32 v225, v243
	;; [unrolled: 1-line block ×4, first 2 shown]
	v_cvt_f32_f16_e32 v244, v227
	v_pack_b32_f16 v226, v168, v225
	ds_read_u16 v168, v197 offset:272
	ds_read_u16 v246, v197 offset:544
	v_pack_b32_f16 v225, v242, v243
	v_cvt_f32_f16_e32 v242, v228
	v_cvt_f32_f16_sdwa v243, v228 dst_sel:DWORD dst_unused:UNUSED_PAD src0_sel:WORD_1
	v_cvt_f32_f16_sdwa v245, v227 dst_sel:DWORD dst_unused:UNUSED_PAD src0_sel:WORD_1
	s_waitcnt lgkmcnt(0)
	v_perm_b32 v247, v248, v246, s66
	v_perm_b32 v246, v168, v241, s66
	s_nop 1
	v_mfma_f32_16x16x16f16 v[242:245], v[246:247], v[20:21], v[242:245]
	ds_read_u16 v246, v91 offset:8704
	ds_read_u16 v248, v92 offset:272
	ds_read_u16 v247, v198 offset:544
	ds_read_u16 v249, v93 offset:8704
	s_waitcnt lgkmcnt(2)
	v_perm_b32 v246, v248, v246, s66
	s_waitcnt lgkmcnt(0)
	v_perm_b32 v247, v249, v247, s66
	s_nop 2
	v_cvt_f16_f32_e32 v168, v242
	v_cvt_f16_f32_e32 v227, v243
	v_cvt_f16_f32_e32 v228, v244
	v_cvt_f16_f32_e32 v241, v245
	v_cvt_f32_f16_e32 v242, v168
	v_cvt_f32_f16_e32 v243, v227
	v_cvt_f32_f16_e32 v244, v228
	v_cvt_f32_f16_e32 v245, v241
	s_nop 1
	v_mfma_f32_16x16x16f16 v[242:245], v[246:247], v[18:19], v[242:245]
	s_nop 7
	s_nop 2
	v_cvt_f16_f32_e32 v168, v242
	v_cvt_f16_f32_e32 v227, v243
	v_cvt_f16_f32_e32 v241, v244
	v_cvt_f16_f32_e32 v242, v245
	v_cvt_f32_f16_sdwa v243, v230 dst_sel:DWORD dst_unused:UNUSED_PAD src0_sel:WORD_1
	v_pack_b32_f16 v228, v168, v227
	v_cvt_f32_f16_e32 v244, v229
	v_pack_b32_f16 v227, v241, v242
	ds_read_u16 v168, v88 offset:64
	ds_read_u16 v241, v199 offset:272
	ds_read_u16 v246, v199 offset:544
	ds_read_u16 v247, v90 offset:64
	v_cvt_f32_f16_e32 v242, v230
	v_cvt_f32_f16_sdwa v245, v229 dst_sel:DWORD dst_unused:UNUSED_PAD src0_sel:WORD_1
	s_waitcnt lgkmcnt(0)
	v_perm_b32 v247, v247, v246, s66
	v_perm_b32 v246, v241, v168, s66
	s_nop 1
	v_mfma_f32_16x16x16f16 v[242:245], v[246:247], v[20:21], v[242:245]
	ds_read_u16 v246, v94 offset:8704
	ds_read_u16 v248, v95 offset:272
	ds_read_u16 v247, v200 offset:544
	ds_read_u16 v249, v96 offset:8704
	s_waitcnt lgkmcnt(2)
	v_perm_b32 v246, v248, v246, s66
	s_waitcnt lgkmcnt(0)
	v_perm_b32 v247, v249, v247, s66
	s_nop 2
	v_cvt_f16_f32_e32 v168, v242
	v_cvt_f16_f32_e32 v229, v243
	v_cvt_f16_f32_e32 v230, v244
	v_cvt_f16_f32_e32 v241, v245
	v_cvt_f32_f16_e32 v242, v168
	v_cvt_f32_f16_e32 v243, v229
	v_cvt_f32_f16_e32 v244, v230
	v_cvt_f32_f16_e32 v245, v241
	s_nop 1
	v_mfma_f32_16x16x16f16 v[242:245], v[246:247], v[18:19], v[242:245]
	s_nop 7
	s_nop 2
	v_cvt_f16_f32_e32 v168, v242
	v_cvt_f16_f32_e32 v229, v243
	v_cvt_f16_f32_e32 v241, v244
	v_cvt_f16_f32_e32 v242, v245
	v_cvt_f32_f16_sdwa v243, v232 dst_sel:DWORD dst_unused:UNUSED_PAD src0_sel:WORD_1
	v_pack_b32_f16 v230, v168, v229
	v_cvt_f32_f16_e32 v244, v231
	v_pack_b32_f16 v229, v241, v242
	ds_read_u16 v168, v88 offset:96
	ds_read_u16 v241, v201 offset:272
	ds_read_u16 v246, v201 offset:544
	ds_read_u16 v247, v90 offset:96
	v_cvt_f32_f16_e32 v242, v232
	;; [unrolled: 40-line block ×5, first 2 shown]
	v_cvt_f32_f16_sdwa v245, v239 dst_sel:DWORD dst_unused:UNUSED_PAD src0_sel:WORD_1
	s_waitcnt lgkmcnt(2)
	v_perm_b32 v240, v246, v168, s66
	s_waitcnt lgkmcnt(0)
	v_perm_b32 v241, v247, v241, s66
	s_nop 1
	v_mfma_f32_16x16x16f16 v[240:243], v[240:241], v[20:21], v[242:245]
	s_nop 6
	ds_read_u16 v244, v106 offset:8704
	ds_read_u16 v246, v107 offset:272
	;; [unrolled: 1-line block ×4, first 2 shown]
	s_waitcnt lgkmcnt(2)
	v_perm_b32 v244, v246, v244, s66
	s_waitcnt lgkmcnt(0)
	v_perm_b32 v245, v247, v245, s66
	v_cvt_f16_f32_e32 v168, v240
	v_cvt_f16_f32_e32 v239, v241
	;; [unrolled: 1-line block ×4, first 2 shown]
	v_cvt_f32_f16_e32 v240, v168
	v_cvt_f32_f16_e32 v241, v239
	;; [unrolled: 1-line block ×4, first 2 shown]
	s_nop 1
	v_mfma_f32_16x16x16f16 v[240:243], v[244:245], v[18:19], v[240:243]
	v_cvt_f32_f16_e32 v244, v24
	v_cvt_f32_f16_sdwa v245, v24 dst_sel:DWORD dst_unused:UNUSED_PAD src0_sel:WORD_1
	s_nop 7
	s_nop 0
	v_cvt_f16_f32_e32 v168, v240
	v_cvt_f16_f32_e32 v239, v241
	v_cvt_f16_f32_e32 v241, v242
	v_cvt_f16_f32_e32 v242, v243
	v_cvt_f32_f16_sdwa v243, v25 dst_sel:DWORD dst_unused:UNUSED_PAD src0_sel:WORD_1
	v_pack_b32_f16 v240, v168, v239
	v_pack_b32_f16 v239, v241, v242
	ds_read_u16 v168, v88 offset:224
	ds_read_u16 v241, v209 offset:272
	;; [unrolled: 1-line block ×4, first 2 shown]
	v_cvt_f32_f16_e32 v242, v25
	s_waitcnt lgkmcnt(2)
	v_perm_b32 v24, v241, v168, s66
	s_waitcnt lgkmcnt(0)
	v_perm_b32 v25, v247, v246, s66
	ds_read_u16 v168, v109 offset:8704
	ds_read_u16 v241, v110 offset:272
	;; [unrolled: 1-line block ×4, first 2 shown]
	v_mfma_f32_16x16x16f16 v[242:245], v[24:25], v[20:21], v[242:245]
	s_waitcnt lgkmcnt(0)
	s_barrier
	s_nop 7
	s_nop 0
	v_cvt_f16_f32_e32 v20, v242
	v_cvt_f16_f32_e32 v21, v243
	;; [unrolled: 1-line block ×4, first 2 shown]
	v_cvt_f32_f16_e32 v242, v20
	v_cvt_f32_f16_e32 v243, v21
	v_perm_b32 v21, v247, v246, s66
	v_perm_b32 v20, v241, v168, s66
	v_cvt_f32_f16_e32 v244, v24
	v_cvt_f32_f16_e32 v245, v25
	s_nop 1
	v_mfma_f32_16x16x16f16 v[18:21], v[20:21], v[18:19], v[242:245]
	s_nop 7
	s_nop 2
	v_cvt_f16_f32_e32 v18, v18
	v_cvt_f16_f32_e32 v19, v19
	;; [unrolled: 1-line block ×4, first 2 shown]
	v_pack_b32_f16 v241, v18, v19
	v_mov_b32_e32 v18, s69
	v_addc_co_u32_e32 v1, vcc, v1, v18, vcc
	v_add_co_u32_e32 v66, vcc, s68, v66
	v_addc_co_u32_e32 v27, vcc, v27, v18, vcc
	v_add_co_u32_e32 v68, vcc, s68, v68
	;; [unrolled: 2-line block ×4, first 2 shown]
	v_mov_b32_e32 v18, s71
	v_addc_co_u32_e32 v51, vcc, v51, v18, vcc
	v_add_co_u32_e32 v74, vcc, s70, v74
	v_addc_co_u32_e32 v53, vcc, v53, v18, vcc
	v_add_co_u32_e32 v76, vcc, s70, v76
	;; [unrolled: 2-line block ×3, first 2 shown]
	v_pack_b32_f16 v242, v20, v21
	v_addc_co_u32_e32 v65, vcc, v65, v18, vcc
	s_cbranch_scc0 .LBB25_283
; %bb.282:                              ;   in Loop: Header=BB25_249 Depth=2
	v_mov_b32_e32 v243, v23
	v_mov_b32_e32 v244, v22
	s_branch .LBB25_249
.LBB25_283:                             ;   in Loop: Header=BB25_14 Depth=1
	s_lshl_b32 s60, s52, 6
	s_lshl_b64 s[8:9], s[60:61], 1
	v_add_co_u32_e32 v1, vcc, s8, v224
	v_mov_b32_e32 v18, s9
	v_addc_co_u32_e32 v18, vcc, v223, v18, vcc
	v_lshlrev_b32_e32 v19, 1, v46
	v_add_co_u32_e32 v1, vcc, v1, v19
	v_addc_co_u32_e32 v20, vcc, 0, v18, vcc
	v_lshlrev_b64 v[18:19], 1, v[58:59]
	v_add_co_u32_e32 v18, vcc, v1, v18
	v_addc_co_u32_e32 v19, vcc, v20, v19, vcc
	global_load_dword v18, v[18:19], off
	v_add_u32_e32 v21, v192, v190
	s_mul_i32 s8, s41, s60
	s_mul_hi_u32 s9, s40, s60
	s_add_i32 s9, s9, s8
	s_mul_i32 s8, s40, s60
	s_lshl_b64 s[8:9], s[8:9], 2
	s_add_u32 s8, s84, s8
	s_addc_u32 s9, s81, s9
	s_waitcnt vmcnt(0)
	ds_write_b32 v21, v18 offset:17408
	v_lshlrev_b64 v[18:19], 1, v[60:61]
	v_add_co_u32_e32 v18, vcc, v1, v18
	v_addc_co_u32_e32 v19, vcc, v20, v19, vcc
	global_load_dword v1, v[18:19], off
	v_mov_b32_e32 v18, s9
	s_waitcnt vmcnt(0)
	ds_write_b32 v21, v1 offset:18560
	v_add_co_u32_e32 v1, vcc, s8, v38
	v_addc_co_u32_e32 v19, vcc, v18, v39, vcc
	v_add_co_u32_e32 v18, vcc, v1, v113
	v_addc_co_u32_e32 v19, vcc, 0, v19, vcc
	global_load_dwordx4 v[18:21], v[18:19], off
	v_add_co_u32_e32 v1, vcc, s8, v40
	s_waitcnt vmcnt(0)
	ds_write_b128 v86, v[18:21]
	v_mov_b32_e32 v18, s9
	v_addc_co_u32_e32 v19, vcc, v18, v41, vcc
	v_add_co_u32_e32 v18, vcc, v1, v113
	v_addc_co_u32_e32 v19, vcc, 0, v19, vcc
	global_load_dwordx4 v[18:21], v[18:19], off
	v_add_co_u32_e32 v1, vcc, s8, v42
	s_waitcnt vmcnt(0)
	ds_write_b128 v193, v[18:21]
	v_mov_b32_e32 v18, s9
	;; [unrolled: 8-line block ×3, first 2 shown]
	v_addc_co_u32_e32 v19, vcc, v18, v45, vcc
	v_add_co_u32_e32 v18, vcc, v1, v113
	v_addc_co_u32_e32 v19, vcc, 0, v19, vcc
	global_load_dwordx4 v[18:21], v[18:19], off
	v_add_u32_e32 v1, v85, v116
	s_waitcnt vmcnt(0)
	ds_write_b128 v195, v[18:21]
	s_waitcnt lgkmcnt(0)
	s_barrier
	ds_read2_b64 v[18:21], v1 offset1:4
	s_waitcnt lgkmcnt(0)
	v_mfma_f32_16x16x16f16 v[56:59], v[18:19], v[14:15], 0
	v_mfma_f32_16x16x16f16 v[18:21], v[20:21], v[16:17], v[56:59]
	s_nop 7
	s_nop 1
	ds_read2_b64 v[56:59], v1 offset0:8 offset1:12
	s_waitcnt lgkmcnt(0)
	v_mfma_f32_16x16x16f16 v[18:21], v[56:57], v[10:11], v[18:21]
	v_mfma_f32_16x16x16f16 v[18:21], v[58:59], v[12:13], v[18:21]
	ds_read2_b64 v[56:59], v1 offset0:16 offset1:20
	s_waitcnt lgkmcnt(0)
	v_mfma_f32_16x16x16f16 v[18:21], v[56:57], v[6:7], v[18:21]
	v_mfma_f32_16x16x16f16 v[18:21], v[58:59], v[8:9], v[18:21]
	ds_read2_b64 v[56:59], v1 offset0:24 offset1:28
	v_add_u32_e32 v1, 0x2000, v1
	s_waitcnt lgkmcnt(0)
	v_mfma_f32_16x16x16f16 v[18:21], v[56:57], v[2:3], v[18:21]
	v_mfma_f32_16x16x16f16 v[18:21], v[58:59], v[4:5], v[18:21]
	ds_read2_b64 v[56:59], v1 offset0:64 offset1:68
	s_waitcnt lgkmcnt(0)
	v_mfma_f32_16x16x16f16 v[60:63], v[56:57], v[14:15], 0
	s_nop 7
	v_cmp_nlt_f32_e64 s[8:9], |v18|, s45
	v_mfma_f32_16x16x16f16 v[14:17], v[58:59], v[16:17], v[60:63]
	ds_read2_b64 v[56:59], v1 offset0:72 offset1:76
	s_waitcnt lgkmcnt(0)
	v_mfma_f32_16x16x16f16 v[14:17], v[56:57], v[10:11], v[14:17]
	v_mfma_f32_16x16x16f16 v[10:13], v[58:59], v[12:13], v[14:17]
	s_nop 7
	s_nop 1
	ds_read2_b64 v[14:17], v1 offset0:80 offset1:84
	s_waitcnt lgkmcnt(0)
	v_mfma_f32_16x16x16f16 v[10:13], v[14:15], v[6:7], v[10:13]
	v_mfma_f32_16x16x16f16 v[6:9], v[16:17], v[8:9], v[10:13]
	s_nop 7
	s_nop 1
	ds_read2_b64 v[10:13], v1 offset0:88 offset1:92
	s_waitcnt lgkmcnt(0)
	v_mfma_f32_16x16x16f16 v[6:9], v[10:11], v[2:3], v[6:9]
	s_barrier
	s_waitcnt lgkmcnt(0)
                                        ; implicit-def: $vgpr1
	v_mfma_f32_16x16x16f16 v[2:5], v[12:13], v[4:5], v[6:9]
	s_and_saveexec_b64 s[52:53], s[8:9]
	s_xor_b64 s[8:9], exec, s[52:53]
	s_cbranch_execz .LBB25_285
; %bb.284:                              ;   in Loop: Header=BB25_14 Depth=1
	v_add_f32_e64 v1, |v18|, |v18|
	s_nop 3
	v_mul_f32_e32 v6, 0x3fb8aa3b, v1
	v_rndne_f32_e32 v7, v6
	v_sub_f32_e32 v8, v6, v7
	v_fma_f32 v6, v1, s67, -v6
	v_fmac_f32_e32 v6, 0x32a5705f, v1
	v_add_f32_e32 v6, v8, v6
	v_cvt_i32_f32_e32 v7, v7
	v_exp_f32_e32 v6, v6
	v_cmp_ngt_f32_e32 vcc, s55, v1
	v_ldexp_f32 v6, v6, v7
	v_cndmask_b32_e32 v6, 0, v6, vcc
	v_cmp_nlt_f32_e32 vcc, s7, v1
	v_cndmask_b32_e32 v1, v222, v6, vcc
	v_add_f32_e32 v1, 1.0, v1
	v_rcp_f32_e32 v1, v1
	v_fma_f32 v1, v1, -2.0, 1.0
.LBB25_285:                             ;   in Loop: Header=BB25_14 Depth=1
	s_andn2_saveexec_b64 s[8:9], s[8:9]
; %bb.286:                              ;   in Loop: Header=BB25_14 Depth=1
	v_mul_f32_e32 v1, v18, v18
	s_nop 2
	v_mov_b32_e32 v6, 0x3ca908c9
	v_fmac_f32_e32 v6, 0xbbbac73d, v1
	v_fma_f32 v6, v1, v6, v219
	v_fma_f32 v6, v1, v6, v220
	;; [unrolled: 1-line block ×3, first 2 shown]
	v_mul_f32_e64 v6, |v18|, v6
	v_fma_f32 v1, v1, v6, |v18|
; %bb.287:                              ;   in Loop: Header=BB25_14 Depth=1
	s_or_b64 exec, exec, s[8:9]
	v_cmp_nlt_f32_e64 s[8:9], |v19|, s45
                                        ; implicit-def: $vgpr6
	s_and_saveexec_b64 s[52:53], s[8:9]
	s_xor_b64 s[8:9], exec, s[52:53]
	s_cbranch_execz .LBB25_289
; %bb.288:                              ;   in Loop: Header=BB25_14 Depth=1
	v_add_f32_e64 v6, |v19|, |v19|
	v_mul_f32_e32 v7, 0x3fb8aa3b, v6
	v_rndne_f32_e32 v8, v7
	v_sub_f32_e32 v9, v7, v8
	v_fma_f32 v7, v6, s67, -v7
	v_fmac_f32_e32 v7, 0x32a5705f, v6
	v_add_f32_e32 v7, v9, v7
	v_cvt_i32_f32_e32 v8, v8
	v_exp_f32_e32 v7, v7
	v_cmp_ngt_f32_e32 vcc, s55, v6
	v_ldexp_f32 v7, v7, v8
	v_cndmask_b32_e32 v7, 0, v7, vcc
	v_cmp_nlt_f32_e32 vcc, s7, v6
	v_cndmask_b32_e32 v6, v222, v7, vcc
	v_add_f32_e32 v6, 1.0, v6
	v_rcp_f32_e32 v6, v6
	v_fma_f32 v6, v6, -2.0, 1.0
.LBB25_289:                             ;   in Loop: Header=BB25_14 Depth=1
	s_andn2_saveexec_b64 s[8:9], s[8:9]
; %bb.290:                              ;   in Loop: Header=BB25_14 Depth=1
	v_mul_f32_e32 v6, v19, v19
	v_mov_b32_e32 v7, 0x3ca908c9
	v_fmac_f32_e32 v7, 0xbbbac73d, v6
	v_fma_f32 v7, v6, v7, v219
	v_fma_f32 v7, v6, v7, v220
	;; [unrolled: 1-line block ×3, first 2 shown]
	v_mul_f32_e64 v7, |v19|, v7
	v_fma_f32 v6, v6, v7, |v19|
; %bb.291:                              ;   in Loop: Header=BB25_14 Depth=1
	s_or_b64 exec, exec, s[8:9]
	v_cmp_nlt_f32_e64 s[8:9], |v20|, s45
                                        ; implicit-def: $vgpr7
	s_and_saveexec_b64 s[52:53], s[8:9]
	s_xor_b64 s[8:9], exec, s[52:53]
	s_cbranch_execz .LBB25_293
; %bb.292:                              ;   in Loop: Header=BB25_14 Depth=1
	v_add_f32_e64 v7, |v20|, |v20|
	v_mul_f32_e32 v8, 0x3fb8aa3b, v7
	v_rndne_f32_e32 v9, v8
	v_sub_f32_e32 v10, v8, v9
	v_fma_f32 v8, v7, s67, -v8
	v_fmac_f32_e32 v8, 0x32a5705f, v7
	v_add_f32_e32 v8, v10, v8
	v_cvt_i32_f32_e32 v9, v9
	v_exp_f32_e32 v8, v8
	v_cmp_ngt_f32_e32 vcc, s55, v7
	v_ldexp_f32 v8, v8, v9
	v_cndmask_b32_e32 v8, 0, v8, vcc
	v_cmp_nlt_f32_e32 vcc, s7, v7
	v_cndmask_b32_e32 v7, v222, v8, vcc
	v_add_f32_e32 v7, 1.0, v7
	v_rcp_f32_e32 v7, v7
	v_fma_f32 v7, v7, -2.0, 1.0
.LBB25_293:                             ;   in Loop: Header=BB25_14 Depth=1
	s_andn2_saveexec_b64 s[8:9], s[8:9]
; %bb.294:                              ;   in Loop: Header=BB25_14 Depth=1
	v_mul_f32_e32 v7, v20, v20
	v_mov_b32_e32 v8, 0x3ca908c9
	v_fmac_f32_e32 v8, 0xbbbac73d, v7
	v_fma_f32 v8, v7, v8, v219
	v_fma_f32 v8, v7, v8, v220
	;; [unrolled: 1-line block ×3, first 2 shown]
	v_mul_f32_e64 v8, |v20|, v8
	v_fma_f32 v7, v7, v8, |v20|
; %bb.295:                              ;   in Loop: Header=BB25_14 Depth=1
	s_or_b64 exec, exec, s[8:9]
	v_cmp_nlt_f32_e64 s[8:9], |v21|, s45
                                        ; implicit-def: $vgpr8
	s_and_saveexec_b64 s[52:53], s[8:9]
	s_xor_b64 s[8:9], exec, s[52:53]
	s_cbranch_execz .LBB25_297
; %bb.296:                              ;   in Loop: Header=BB25_14 Depth=1
	v_add_f32_e64 v8, |v21|, |v21|
	v_mul_f32_e32 v9, 0x3fb8aa3b, v8
	v_rndne_f32_e32 v10, v9
	v_sub_f32_e32 v11, v9, v10
	v_fma_f32 v9, v8, s67, -v9
	v_fmac_f32_e32 v9, 0x32a5705f, v8
	v_add_f32_e32 v9, v11, v9
	v_cvt_i32_f32_e32 v10, v10
	v_exp_f32_e32 v9, v9
	v_cmp_ngt_f32_e32 vcc, s55, v8
	v_ldexp_f32 v9, v9, v10
	v_cndmask_b32_e32 v9, 0, v9, vcc
	v_cmp_nlt_f32_e32 vcc, s7, v8
	v_cndmask_b32_e32 v8, v222, v9, vcc
	v_add_f32_e32 v8, 1.0, v8
	v_rcp_f32_e32 v8, v8
	v_fma_f32 v8, v8, -2.0, 1.0
.LBB25_297:                             ;   in Loop: Header=BB25_14 Depth=1
	s_andn2_saveexec_b64 s[8:9], s[8:9]
; %bb.298:                              ;   in Loop: Header=BB25_14 Depth=1
	v_mul_f32_e32 v8, v21, v21
	v_mov_b32_e32 v9, 0x3ca908c9
	v_fmac_f32_e32 v9, 0xbbbac73d, v8
	v_fma_f32 v9, v8, v9, v219
	v_fma_f32 v9, v8, v9, v220
	v_fma_f32 v9, v8, v9, v221
	v_mul_f32_e64 v9, |v21|, v9
	v_fma_f32 v8, v8, v9, |v21|
; %bb.299:                              ;   in Loop: Header=BB25_14 Depth=1
	s_or_b64 exec, exec, s[8:9]
	v_cmp_nlt_f32_e64 s[8:9], |v2|, s45
                                        ; implicit-def: $vgpr9
	s_and_saveexec_b64 s[52:53], s[8:9]
	s_xor_b64 s[8:9], exec, s[52:53]
	s_cbranch_execz .LBB25_301
; %bb.300:                              ;   in Loop: Header=BB25_14 Depth=1
	v_add_f32_e64 v9, |v2|, |v2|
	v_mul_f32_e32 v10, 0x3fb8aa3b, v9
	v_rndne_f32_e32 v11, v10
	v_sub_f32_e32 v12, v10, v11
	v_fma_f32 v10, v9, s67, -v10
	v_fmac_f32_e32 v10, 0x32a5705f, v9
	v_add_f32_e32 v10, v12, v10
	v_cvt_i32_f32_e32 v11, v11
	v_exp_f32_e32 v10, v10
	v_cmp_ngt_f32_e32 vcc, s55, v9
	v_ldexp_f32 v10, v10, v11
	v_cndmask_b32_e32 v10, 0, v10, vcc
	v_cmp_nlt_f32_e32 vcc, s7, v9
	v_cndmask_b32_e32 v9, v222, v10, vcc
	v_add_f32_e32 v9, 1.0, v9
	v_rcp_f32_e32 v9, v9
	v_fma_f32 v9, v9, -2.0, 1.0
.LBB25_301:                             ;   in Loop: Header=BB25_14 Depth=1
	s_andn2_saveexec_b64 s[8:9], s[8:9]
; %bb.302:                              ;   in Loop: Header=BB25_14 Depth=1
	v_mul_f32_e32 v9, v2, v2
	v_mov_b32_e32 v10, 0x3ca908c9
	v_fmac_f32_e32 v10, 0xbbbac73d, v9
	v_fma_f32 v10, v9, v10, v219
	v_fma_f32 v10, v9, v10, v220
	;; [unrolled: 1-line block ×3, first 2 shown]
	v_mul_f32_e64 v10, |v2|, v10
	v_fma_f32 v9, v9, v10, |v2|
; %bb.303:                              ;   in Loop: Header=BB25_14 Depth=1
	s_or_b64 exec, exec, s[8:9]
	v_cmp_nlt_f32_e64 s[8:9], |v3|, s45
                                        ; implicit-def: $vgpr10
	s_and_saveexec_b64 s[52:53], s[8:9]
	s_xor_b64 s[8:9], exec, s[52:53]
	s_cbranch_execz .LBB25_305
; %bb.304:                              ;   in Loop: Header=BB25_14 Depth=1
	v_add_f32_e64 v10, |v3|, |v3|
	v_mul_f32_e32 v11, 0x3fb8aa3b, v10
	v_rndne_f32_e32 v12, v11
	v_sub_f32_e32 v13, v11, v12
	v_fma_f32 v11, v10, s67, -v11
	v_fmac_f32_e32 v11, 0x32a5705f, v10
	v_add_f32_e32 v11, v13, v11
	v_cvt_i32_f32_e32 v12, v12
	v_exp_f32_e32 v11, v11
	v_cmp_ngt_f32_e32 vcc, s55, v10
	v_ldexp_f32 v11, v11, v12
	v_cndmask_b32_e32 v11, 0, v11, vcc
	v_cmp_nlt_f32_e32 vcc, s7, v10
	v_cndmask_b32_e32 v10, v222, v11, vcc
	v_add_f32_e32 v10, 1.0, v10
	v_rcp_f32_e32 v10, v10
	v_fma_f32 v10, v10, -2.0, 1.0
.LBB25_305:                             ;   in Loop: Header=BB25_14 Depth=1
	s_andn2_saveexec_b64 s[8:9], s[8:9]
; %bb.306:                              ;   in Loop: Header=BB25_14 Depth=1
	v_mul_f32_e32 v10, v3, v3
	v_mov_b32_e32 v11, 0x3ca908c9
	v_fmac_f32_e32 v11, 0xbbbac73d, v10
	v_fma_f32 v11, v10, v11, v219
	v_fma_f32 v11, v10, v11, v220
	;; [unrolled: 1-line block ×3, first 2 shown]
	v_mul_f32_e64 v11, |v3|, v11
	v_fma_f32 v10, v10, v11, |v3|
; %bb.307:                              ;   in Loop: Header=BB25_14 Depth=1
	s_or_b64 exec, exec, s[8:9]
	v_cmp_nlt_f32_e64 s[8:9], |v4|, s45
                                        ; implicit-def: $vgpr11
	s_and_saveexec_b64 s[52:53], s[8:9]
	s_xor_b64 s[8:9], exec, s[52:53]
	s_cbranch_execz .LBB25_309
; %bb.308:                              ;   in Loop: Header=BB25_14 Depth=1
	v_add_f32_e64 v11, |v4|, |v4|
	v_mul_f32_e32 v12, 0x3fb8aa3b, v11
	v_rndne_f32_e32 v13, v12
	v_sub_f32_e32 v14, v12, v13
	v_fma_f32 v12, v11, s67, -v12
	v_fmac_f32_e32 v12, 0x32a5705f, v11
	v_add_f32_e32 v12, v14, v12
	v_cvt_i32_f32_e32 v13, v13
	v_exp_f32_e32 v12, v12
	v_cmp_ngt_f32_e32 vcc, s55, v11
	v_ldexp_f32 v12, v12, v13
	v_cndmask_b32_e32 v12, 0, v12, vcc
	v_cmp_nlt_f32_e32 vcc, s7, v11
	v_cndmask_b32_e32 v11, v222, v12, vcc
	v_add_f32_e32 v11, 1.0, v11
	v_rcp_f32_e32 v11, v11
	v_fma_f32 v11, v11, -2.0, 1.0
.LBB25_309:                             ;   in Loop: Header=BB25_14 Depth=1
	s_andn2_saveexec_b64 s[8:9], s[8:9]
; %bb.310:                              ;   in Loop: Header=BB25_14 Depth=1
	v_mul_f32_e32 v11, v4, v4
	v_mov_b32_e32 v12, 0x3ca908c9
	v_fmac_f32_e32 v12, 0xbbbac73d, v11
	v_fma_f32 v12, v11, v12, v219
	v_fma_f32 v12, v11, v12, v220
	;; [unrolled: 1-line block ×3, first 2 shown]
	v_mul_f32_e64 v12, |v4|, v12
	v_fma_f32 v11, v11, v12, |v4|
; %bb.311:                              ;   in Loop: Header=BB25_14 Depth=1
	s_or_b64 exec, exec, s[8:9]
	v_cmp_nlt_f32_e64 s[8:9], |v5|, s45
                                        ; implicit-def: $vgpr12
	s_and_saveexec_b64 s[52:53], s[8:9]
	s_xor_b64 s[8:9], exec, s[52:53]
	s_cbranch_execz .LBB25_313
; %bb.312:                              ;   in Loop: Header=BB25_14 Depth=1
	v_add_f32_e64 v12, |v5|, |v5|
	v_mul_f32_e32 v13, 0x3fb8aa3b, v12
	v_rndne_f32_e32 v14, v13
	v_sub_f32_e32 v15, v13, v14
	v_fma_f32 v13, v12, s67, -v13
	v_fmac_f32_e32 v13, 0x32a5705f, v12
	v_add_f32_e32 v13, v15, v13
	v_cvt_i32_f32_e32 v14, v14
	v_exp_f32_e32 v13, v13
	v_cmp_ngt_f32_e32 vcc, s55, v12
	v_ldexp_f32 v13, v13, v14
	v_cndmask_b32_e32 v13, 0, v13, vcc
	v_cmp_nlt_f32_e32 vcc, s7, v12
	v_cndmask_b32_e32 v12, v222, v13, vcc
	v_add_f32_e32 v12, 1.0, v12
	v_rcp_f32_e32 v12, v12
	v_fma_f32 v12, v12, -2.0, 1.0
.LBB25_313:                             ;   in Loop: Header=BB25_14 Depth=1
	s_andn2_saveexec_b64 s[8:9], s[8:9]
; %bb.314:                              ;   in Loop: Header=BB25_14 Depth=1
	v_mul_f32_e32 v12, v5, v5
	v_mov_b32_e32 v13, 0x3ca908c9
	v_fmac_f32_e32 v13, 0xbbbac73d, v12
	v_fma_f32 v13, v12, v13, v219
	v_fma_f32 v13, v12, v13, v220
	;; [unrolled: 1-line block ×3, first 2 shown]
	v_mul_f32_e64 v13, |v5|, v13
	v_fma_f32 v12, v12, v13, |v5|
; %bb.315:                              ;   in Loop: Header=BB25_14 Depth=1
	s_or_b64 exec, exec, s[8:9]
	v_bfi_b32 v15, s6, v10, v3
	v_and_b32_e32 v3, 64, v188
	v_bfi_b32 v14, s6, v9, v2
	v_bfi_b32 v5, s6, v12, v5
	;; [unrolled: 1-line block ×6, first 2 shown]
	v_add_u32_e32 v1, 0x4400, v87
	v_add_u32_e32 v12, 64, v3
	v_xor_b32_e32 v3, 32, v188
	v_bfi_b32 v4, s6, v11, v4
	ds_read2_b32 v[10:11], v1 offset1:1
	ds_read_b32 v1, v117 offset:17408
	ds_read_b32 v2, v118 offset:17408
	v_cmp_lt_i32_e32 vcc, v3, v12
	v_xor_b32_e32 v13, 16, v188
	v_cndmask_b32_e32 v3, v188, v3, vcc
	v_cmp_lt_i32_e32 vcc, v13, v12
	v_cndmask_b32_e32 v12, v188, v13, vcc
	v_lshlrev_b32_e32 v21, 2, v12
	s_waitcnt lgkmcnt(2)
	v_cvt_f32_f16_e32 v12, v10
	v_cvt_f32_f16_sdwa v13, v10 dst_sel:DWORD dst_unused:UNUSED_PAD src0_sel:WORD_1
	v_lshlrev_b32_e32 v3, 2, v3
	s_mul_i32 s8, s60, s31
	s_mul_hi_u32 s9, s60, s30
	v_pk_fma_f32 v[6:7], v[6:7], s[34:35], v[12:13]
	v_add_f32_e32 v10, 0x40051340, v6
	v_add_f32_e32 v12, 0x40051340, v7
	v_max3_f32 v16, v22, v10, v12
	s_waitcnt lgkmcnt(0)
	v_cvt_f32_f16_sdwa v13, v2 dst_sel:DWORD dst_unused:UNUSED_PAD src0_sel:WORD_1
	v_cvt_f32_f16_e32 v12, v2
	v_cvt_f32_f16_e32 v10, v11
	v_cvt_f32_f16_sdwa v11, v11 dst_sel:DWORD dst_unused:UNUSED_PAD src0_sel:WORD_1
	s_add_i32 s9, s9, s8
	v_pk_fma_f32 v[4:5], v[4:5], s[34:35], v[12:13]
	v_cvt_f32_f16_sdwa v13, v1 dst_sel:DWORD dst_unused:UNUSED_PAD src0_sel:WORD_1
	v_cvt_f32_f16_e32 v12, v1
	v_pk_fma_f32 v[8:9], v[8:9], s[34:35], v[10:11]
	v_add_f32_e32 v10, 0x40051340, v8
	v_add_f32_e32 v11, 0x40051340, v9
	v_pk_fma_f32 v[12:13], v[14:15], s[34:35], v[12:13]
	v_add_f32_e32 v1, 0x40051340, v12
	v_add_f32_e32 v14, 0x40051340, v13
	v_max3_f32 v10, v16, v10, v11
	v_add_f32_e32 v2, 0x40051340, v4
	v_add_f32_e32 v17, 0x40051340, v5
	v_max3_f32 v1, v10, v1, v14
	v_max3_f32 v1, v1, v2, v17
	ds_bpermute_b32 v2, v3, v1
	s_mul_i32 s8, s60, s30
	s_lshl_b64 s[8:9], s[8:9], 2
	s_add_u32 s8, s82, s8
	s_addc_u32 s9, s83, s9
	s_waitcnt lgkmcnt(0)
	v_max_f32_e32 v2, v2, v2
	v_max_f32_e32 v1, v1, v2
	ds_bpermute_b32 v2, v21, v1
	s_cmp_eq_u64 s[72:73], 0
	s_waitcnt lgkmcnt(0)
	v_max_f32_e32 v2, v2, v2
	v_max_f32_e32 v2, v1, v2
	v_pk_add_f32 v[6:7], v[6:7], v[2:3] op_sel_hi:[1,0] neg_lo:[0,1] neg_hi:[0,1]
	v_mul_f32_e32 v1, 0x3fb8aa3b, v7
	v_fma_f32 v10, v7, s67, -v1
	v_rndne_f32_e32 v11, v1
	v_fmac_f32_e32 v10, 0x32a5705f, v7
	v_sub_f32_e32 v1, v1, v11
	v_add_f32_e32 v1, v1, v10
	v_exp_f32_e32 v1, v1
	v_cvt_i32_f32_e32 v10, v11
	v_cmp_ngt_f32_e32 vcc, s55, v7
	v_pk_add_f32 v[4:5], v[4:5], v[2:3] op_sel_hi:[1,0] neg_lo:[0,1] neg_hi:[0,1]
	v_ldexp_f32 v1, v1, v10
	v_cndmask_b32_e32 v1, 0, v1, vcc
	v_cmp_nlt_f32_e32 vcc, s7, v7
	v_cndmask_b32_e32 v25, v222, v1, vcc
	v_mul_f32_e32 v1, 0x3fb8aa3b, v6
	v_fma_f32 v7, v6, s67, -v1
	v_rndne_f32_e32 v10, v1
	v_fmac_f32_e32 v7, 0x32a5705f, v6
	v_sub_f32_e32 v1, v1, v10
	v_add_f32_e32 v1, v1, v7
	v_exp_f32_e32 v1, v1
	v_cvt_i32_f32_e32 v7, v10
	v_cmp_ngt_f32_e32 vcc, s55, v6
	v_ldexp_f32 v1, v1, v7
	v_cndmask_b32_e32 v1, 0, v1, vcc
	v_cmp_nlt_f32_e32 vcc, s7, v6
	v_pk_add_f32 v[6:7], v[8:9], v[2:3] op_sel_hi:[1,0] neg_lo:[0,1] neg_hi:[0,1]
	v_cndmask_b32_e32 v27, v222, v1, vcc
	v_mul_f32_e32 v1, 0x3fb8aa3b, v7
	v_fma_f32 v8, v7, s67, -v1
	v_rndne_f32_e32 v9, v1
	v_fmac_f32_e32 v8, 0x32a5705f, v7
	v_sub_f32_e32 v1, v1, v9
	v_add_f32_e32 v1, v1, v8
	v_exp_f32_e32 v1, v1
	v_cvt_i32_f32_e32 v8, v9
	v_cmp_ngt_f32_e32 vcc, s55, v7
	v_ldexp_f32 v1, v1, v8
	v_cndmask_b32_e32 v1, 0, v1, vcc
	v_cmp_nlt_f32_e32 vcc, s7, v7
	v_cndmask_b32_e32 v47, v222, v1, vcc
	v_mul_f32_e32 v1, 0x3fb8aa3b, v6
	v_fma_f32 v7, v6, s67, -v1
	v_rndne_f32_e32 v8, v1
	v_fmac_f32_e32 v7, 0x32a5705f, v6
	v_sub_f32_e32 v1, v1, v8
	v_add_f32_e32 v1, v1, v7
	v_exp_f32_e32 v1, v1
	v_cvt_i32_f32_e32 v7, v8
	v_cmp_ngt_f32_e32 vcc, s55, v6
	v_ldexp_f32 v1, v1, v7
	v_cndmask_b32_e32 v1, 0, v1, vcc
	v_cmp_nlt_f32_e32 vcc, s7, v6
	v_pk_add_f32 v[6:7], v[12:13], v[2:3] op_sel_hi:[1,0] neg_lo:[0,1] neg_hi:[0,1]
	v_cndmask_b32_e32 v49, v222, v1, vcc
	v_mul_f32_e32 v1, 0x3fb8aa3b, v7
	v_fma_f32 v8, v7, s67, -v1
	v_rndne_f32_e32 v9, v1
	v_fmac_f32_e32 v8, 0x32a5705f, v7
	v_sub_f32_e32 v1, v1, v9
	v_add_f32_e32 v1, v1, v8
	v_exp_f32_e32 v1, v1
	v_cvt_i32_f32_e32 v8, v9
	v_cmp_ngt_f32_e32 vcc, s55, v7
	v_cvt_f16_f32_e32 v12, v25
	v_cvt_f16_f32_e32 v13, v49
	v_ldexp_f32 v1, v1, v8
	v_cndmask_b32_e32 v1, 0, v1, vcc
	v_cmp_nlt_f32_e32 vcc, s7, v7
	v_cndmask_b32_e32 v51, v222, v1, vcc
	v_mul_f32_e32 v1, 0x3fb8aa3b, v6
	v_fma_f32 v7, v6, s67, -v1
	v_rndne_f32_e32 v8, v1
	v_fmac_f32_e32 v7, 0x32a5705f, v6
	v_sub_f32_e32 v1, v1, v8
	v_add_f32_e32 v1, v1, v7
	v_exp_f32_e32 v1, v1
	v_cvt_i32_f32_e32 v7, v8
	v_cmp_ngt_f32_e32 vcc, s55, v6
	v_ldexp_f32 v1, v1, v7
	v_cndmask_b32_e32 v1, 0, v1, vcc
	v_cmp_nlt_f32_e32 vcc, s7, v6
	v_cndmask_b32_e32 v53, v222, v1, vcc
	v_mul_f32_e32 v1, 0x3fb8aa3b, v5
	v_fma_f32 v6, v5, s67, -v1
	v_rndne_f32_e32 v7, v1
	v_fmac_f32_e32 v6, 0x32a5705f, v5
	v_sub_f32_e32 v1, v1, v7
	v_add_f32_e32 v1, v1, v6
	v_exp_f32_e32 v1, v1
	v_cvt_i32_f32_e32 v6, v7
	v_cmp_ngt_f32_e32 vcc, s55, v5
	;; [unrolled: 13-line block ×3, first 2 shown]
	v_ldexp_f32 v1, v1, v6
	v_cndmask_b32_e32 v1, 0, v1, vcc
	v_cmp_nlt_f32_e32 vcc, s7, v4
	v_cndmask_b32_e32 v55, v222, v1, vcc
	v_add_f32_e32 v1, v27, v25
	v_add_f32_e32 v1, v49, v1
	;; [unrolled: 1-line block ×7, first 2 shown]
	v_sub_f32_e32 v1, v22, v2
	v_mul_f32_e32 v4, 0x3fb8aa3b, v1
	v_fma_f32 v6, v1, s67, -v4
	v_rndne_f32_e32 v7, v4
	v_fmac_f32_e32 v6, 0x32a5705f, v1
	v_sub_f32_e32 v4, v4, v7
	v_add_f32_e32 v4, v4, v6
	v_exp_f32_e32 v4, v4
	v_cvt_i32_f32_e32 v6, v7
	v_cmp_ngt_f32_e32 vcc, s55, v1
	v_cvt_f16_f32_e32 v25, v53
	v_cvt_f16_f32_e32 v5, v5
	v_ldexp_f32 v4, v4, v6
	v_cndmask_b32_e32 v4, 0, v4, vcc
	v_cmp_nlt_f32_e32 vcc, s7, v1
	v_cndmask_b32_e32 v4, v222, v4, vcc
	v_cmp_le_f32_e32 vcc, s89, v1
	v_cndmask_b32_e32 v1, 0, v4, vcc
	v_cvt_f16_f32_e32 v4, v1
	v_fmac_f32_e32 v24, v23, v1
	ds_bpermute_b32 v3, v3, v24
	v_pk_mul_f16 v6, v4, v226 op_sel_hi:[0,1]
	v_pk_mul_f16 v1, v4, v225 op_sel_hi:[0,1]
	;; [unrolled: 1-line block ×16, first 2 shown]
	v_cvt_f16_f32_e32 v4, v27
	v_mov_b32_e32 v27, s9
	s_waitcnt lgkmcnt(0)
	v_add_f32_e32 v3, v24, v3
	v_pack_b32_f16 v12, v4, v12
	v_cvt_f16_f32_e32 v4, v47
	v_pack_b32_f16 v13, v13, v4
	v_cvt_f16_f32_e32 v4, v51
	;; [unrolled: 2-line block ×3, first 2 shown]
	v_pack_b32_f16 v5, v25, v5
	v_add_co_u32_e32 v25, vcc, s8, v30
	v_addc_co_u32_e32 v27, vcc, v27, v31, vcc
	v_add_co_u32_e32 v56, vcc, v25, v113
	v_addc_co_u32_e32 v57, vcc, 0, v27, vcc
	global_load_dwordx4 v[56:59], v[56:57], off
	v_add_co_u32_e32 v25, vcc, s8, v32
	v_mov_b32_e32 v27, s9
	v_addc_co_u32_e32 v27, vcc, v27, v33, vcc
	v_add_co_u32_e32 v60, vcc, v25, v113
	v_addc_co_u32_e32 v61, vcc, 0, v27, vcc
	v_add_co_u32_e32 v25, vcc, s8, v34
	v_mov_b32_e32 v27, s9
	v_addc_co_u32_e32 v27, vcc, v27, v35, vcc
	v_add_co_u32_e32 v62, vcc, v25, v113
	v_addc_co_u32_e32 v63, vcc, 0, v27, vcc
	;; [unrolled: 5-line block ×3, first 2 shown]
	s_cselect_b64 s[8:9], -1, 0
	s_xor_b64 s[52:53], s[0:1], -1
	s_or_b64 s[8:9], s[52:53], s[8:9]
	s_waitcnt vmcnt(0)
	ds_write_b128 v86, v[56:59]
	global_load_dwordx4 v[56:59], v[60:61], off
	s_waitcnt vmcnt(0)
	ds_write_b128 v193, v[56:59]
	global_load_dwordx4 v[56:59], v[62:63], off
	;; [unrolled: 3-line block ×3, first 2 shown]
	s_waitcnt vmcnt(0)
	ds_write_b128 v195, v[56:59]
	s_waitcnt lgkmcnt(0)
	s_barrier
	ds_read_u16 v25, v89 offset:272
	ds_read_u16 v27, v89 offset:544
	v_cvt_f32_f16_e32 v58, v1
	v_cvt_f32_f16_sdwa v59, v1 dst_sel:DWORD dst_unused:UNUSED_PAD src0_sel:WORD_1
	ds_read_u16 v1, v90
	ds_read_u16 v47, v90 offset:32
	v_cvt_f32_f16_e32 v56, v6
	v_cvt_f32_f16_sdwa v57, v6 dst_sel:DWORD dst_unused:UNUSED_PAD src0_sel:WORD_1
	s_waitcnt lgkmcnt(1)
	v_perm_b32 v61, v1, v27, s66
	ds_read_u16 v1, v88
	ds_read_u16 v27, v88 offset:32
	s_waitcnt lgkmcnt(1)
	v_perm_b32 v60, v25, v1, s66
	s_nop 1
	v_mfma_f32_16x16x16f16 v[56:59], v[60:61], v[12:13], v[56:59]
	ds_read_u16 v51, v88 offset:8704
	ds_read_u16 v53, v196 offset:272
	;; [unrolled: 1-line block ×4, first 2 shown]
	s_waitcnt lgkmcnt(0)
	v_perm_b32 v61, v60, v55, s66
	v_perm_b32 v60, v53, v51, s66
	s_nop 3
	v_cvt_f16_f32_e32 v1, v56
	v_cvt_f16_f32_e32 v6, v57
	;; [unrolled: 1-line block ×4, first 2 shown]
	v_cvt_f32_f16_e32 v56, v1
	v_cvt_f32_f16_e32 v57, v6
	;; [unrolled: 1-line block ×4, first 2 shown]
	s_nop 1
	v_mfma_f32_16x16x16f16 v[56:59], v[60:61], v[4:5], v[56:59]
	s_nop 7
	s_nop 2
	v_cvt_f16_f32_e32 v1, v56
	v_cvt_f16_f32_e32 v6, v57
	;; [unrolled: 1-line block ×4, first 2 shown]
	v_cvt_f32_f16_e32 v56, v8
	v_pack_b32_f16 v6, v1, v6
	v_cvt_f32_f16_sdwa v57, v8 dst_sel:DWORD dst_unused:UNUSED_PAD src0_sel:WORD_1
	v_pack_b32_f16 v1, v25, v49
	ds_read_u16 v25, v197 offset:272
	ds_read_u16 v49, v197 offset:544
	v_cvt_f32_f16_e32 v58, v7
	v_cvt_f32_f16_sdwa v59, v7 dst_sel:DWORD dst_unused:UNUSED_PAD src0_sel:WORD_1
	s_waitcnt lgkmcnt(1)
	v_perm_b32 v60, v25, v27, s66
	s_waitcnt lgkmcnt(0)
	v_perm_b32 v61, v47, v49, s66
	ds_read_u16 v47, v91 offset:8704
	ds_read_u16 v49, v92 offset:272
	ds_read_u16 v51, v198 offset:544
	ds_read_u16 v53, v93 offset:8704
	v_mfma_f32_16x16x16f16 v[56:59], v[60:61], v[12:13], v[56:59]
	s_waitcnt lgkmcnt(0)
	v_perm_b32 v61, v53, v51, s66
	v_perm_b32 v60, v49, v47, s66
	s_nop 7
	v_cvt_f16_f32_e32 v7, v56
	v_cvt_f16_f32_e32 v8, v57
	v_cvt_f16_f32_e32 v25, v58
	v_cvt_f16_f32_e32 v27, v59
	v_cvt_f32_f16_e32 v56, v7
	v_cvt_f32_f16_e32 v57, v8
	v_cvt_f32_f16_e32 v58, v25
	v_cvt_f32_f16_e32 v59, v27
	s_nop 1
	v_mfma_f32_16x16x16f16 v[56:59], v[60:61], v[4:5], v[56:59]
	s_nop 7
	s_nop 2
	v_cvt_f16_f32_e32 v7, v56
	v_cvt_f16_f32_e32 v8, v57
	v_cvt_f16_f32_e32 v25, v58
	v_cvt_f16_f32_e32 v27, v59
	v_cvt_f32_f16_e32 v56, v10
	v_pack_b32_f16 v8, v7, v8
	v_cvt_f32_f16_sdwa v57, v10 dst_sel:DWORD dst_unused:UNUSED_PAD src0_sel:WORD_1
	v_pack_b32_f16 v7, v25, v27
	ds_read_u16 v25, v88 offset:64
	ds_read_u16 v27, v199 offset:272
	ds_read_u16 v47, v199 offset:544
	ds_read_u16 v49, v90 offset:64
	v_cvt_f32_f16_e32 v58, v9
	v_cvt_f32_f16_sdwa v59, v9 dst_sel:DWORD dst_unused:UNUSED_PAD src0_sel:WORD_1
	s_waitcnt lgkmcnt(2)
	v_perm_b32 v60, v27, v25, s66
	s_waitcnt lgkmcnt(0)
	v_perm_b32 v61, v49, v47, s66
	ds_read_u16 v47, v94 offset:8704
	ds_read_u16 v49, v95 offset:272
	ds_read_u16 v51, v200 offset:544
	ds_read_u16 v53, v96 offset:8704
	v_mfma_f32_16x16x16f16 v[56:59], v[60:61], v[12:13], v[56:59]
	s_waitcnt lgkmcnt(0)
	v_perm_b32 v61, v53, v51, s66
	v_perm_b32 v60, v49, v47, s66
	s_nop 7
	v_cvt_f16_f32_e32 v9, v56
	v_cvt_f16_f32_e32 v10, v57
	v_cvt_f16_f32_e32 v25, v58
	v_cvt_f16_f32_e32 v27, v59
	v_cvt_f32_f16_e32 v56, v9
	v_cvt_f32_f16_e32 v57, v10
	v_cvt_f32_f16_e32 v58, v25
	v_cvt_f32_f16_e32 v59, v27
	s_nop 1
	v_mfma_f32_16x16x16f16 v[56:59], v[60:61], v[4:5], v[56:59]
	s_nop 7
	s_nop 2
	v_cvt_f16_f32_e32 v9, v56
	v_cvt_f16_f32_e32 v10, v57
	v_cvt_f16_f32_e32 v25, v58
	v_cvt_f16_f32_e32 v27, v59
	v_cvt_f32_f16_e32 v56, v14
	v_pack_b32_f16 v10, v9, v10
	v_cvt_f32_f16_sdwa v57, v14 dst_sel:DWORD dst_unused:UNUSED_PAD src0_sel:WORD_1
	v_pack_b32_f16 v9, v25, v27
	ds_read_u16 v25, v88 offset:96
	ds_read_u16 v27, v201 offset:272
	;; [unrolled: 39-line block ×6, first 2 shown]
	ds_read_u16 v47, v209 offset:544
	ds_read_u16 v49, v90 offset:224
	v_cvt_f32_f16_e32 v58, v22
	v_cvt_f32_f16_sdwa v59, v22 dst_sel:DWORD dst_unused:UNUSED_PAD src0_sel:WORD_1
	s_waitcnt lgkmcnt(2)
	v_perm_b32 v22, v27, v25, s66
	s_waitcnt lgkmcnt(0)
	v_perm_b32 v23, v49, v47, s66
	ds_read_u16 v25, v109 offset:8704
	ds_read_u16 v27, v110 offset:272
	;; [unrolled: 1-line block ×4, first 2 shown]
	v_mfma_f32_16x16x16f16 v[56:59], v[22:23], v[12:13], v[56:59]
	s_waitcnt lgkmcnt(0)
	s_barrier
	s_nop 7
	s_nop 0
	v_cvt_f16_f32_e32 v12, v56
	v_cvt_f16_f32_e32 v13, v57
	;; [unrolled: 1-line block ×4, first 2 shown]
	v_cvt_f32_f16_e32 v56, v12
	v_cvt_f32_f16_e32 v57, v13
	v_perm_b32 v13, v49, v47, s66
	v_perm_b32 v12, v27, v25, s66
	v_cvt_f32_f16_e32 v58, v22
	v_cvt_f32_f16_e32 v59, v23
	s_nop 1
	v_mfma_f32_16x16x16f16 v[56:59], v[12:13], v[4:5], v[56:59]
	s_nop 7
	s_nop 2
	v_cvt_f16_f32_e32 v4, v56
	v_cvt_f16_f32_e32 v5, v57
	;; [unrolled: 1-line block ×4, first 2 shown]
	v_pack_b32_f16 v4, v4, v5
	v_pack_b32_f16 v5, v12, v13
	ds_bpermute_b32 v12, v21, v3
	s_waitcnt lgkmcnt(0)
	v_add_f32_e32 v3, v3, v12
	s_and_saveexec_b64 s[52:53], s[8:9]
	s_xor_b64 s[8:9], exec, s[52:53]
	s_andn2_saveexec_b64 s[8:9], s[8:9]
	s_cbranch_execz .LBB25_317
; %bb.316:                              ;   in Loop: Header=BB25_14 Depth=1
	v_lshlrev_b32_e32 v12, 2, v50
	global_load_dword v13, v12, s[72:73]
	v_max_f32_e32 v12, v2, v2
	s_waitcnt vmcnt(0)
	v_max_f32_e32 v22, v13, v13
	v_max_f32_e32 v12, v12, v22
	v_sub_f32_e32 v2, v2, v12
	v_sub_f32_e32 v13, v13, v12
	v_mul_f32_e32 v22, 0x3fb8aa3b, v2
	v_mul_f32_e32 v23, 0x3fb8aa3b, v13
	v_fma_f32 v24, v2, s67, -v22
	v_rndne_f32_e32 v25, v22
	v_fma_f32 v27, v13, s67, -v23
	v_rndne_f32_e32 v47, v23
	v_fmac_f32_e32 v24, 0x32a5705f, v2
	v_sub_f32_e32 v22, v22, v25
	v_fmac_f32_e32 v27, 0x32a5705f, v13
	v_sub_f32_e32 v23, v23, v47
	v_add_f32_e32 v22, v22, v24
	v_cvt_i32_f32_e32 v25, v25
	v_add_f32_e32 v23, v23, v27
	v_exp_f32_e32 v22, v22
	v_cvt_i32_f32_e32 v47, v47
	v_exp_f32_e32 v23, v23
	v_cmp_ngt_f32_e32 vcc, s55, v2
	v_ldexp_f32 v22, v22, v25
	v_cndmask_b32_e32 v22, 0, v22, vcc
	v_ldexp_f32 v23, v23, v47
	v_cmp_ngt_f32_e32 vcc, s55, v13
	v_cndmask_b32_e32 v23, 0, v23, vcc
	v_cmp_nlt_f32_e32 vcc, s7, v2
	v_cndmask_b32_e32 v22, v222, v22, vcc
	v_cmp_le_f32_e32 vcc, s89, v2
	v_cndmask_b32_e32 v2, 0, v22, vcc
	v_cvt_f16_f32_e32 v22, v2
	v_cmp_nlt_f32_e32 vcc, s7, v13
	v_cndmask_b32_e32 v13, v222, v23, vcc
	v_fmac_f32_e32 v13, v3, v2
	v_pk_mul_f16 v6, v22, v6 op_sel_hi:[0,1]
	v_pk_mul_f16 v1, v22, v1 op_sel_hi:[0,1]
	;; [unrolled: 1-line block ×16, first 2 shown]
	v_pk_mov_b32 v[2:3], v[12:13], v[12:13] op_sel:[0,1]
.LBB25_317:                             ;   in Loop: Header=BB25_14 Depth=1
	s_or_b64 exec, exec, s[8:9]
	s_and_saveexec_b64 s[8:9], s[4:5]
	s_cbranch_execz .LBB25_319
; %bb.318:                              ;   in Loop: Header=BB25_14 Depth=1
	v_add_u32_e32 v12, 0, v120
	ds_write2_b32 v12, v2, v3 offset0:64 offset1:65
.LBB25_319:                             ;   in Loop: Header=BB25_14 Depth=1
	s_or_b64 exec, exec, s[8:9]
	s_waitcnt lgkmcnt(0)
	s_barrier
	s_and_saveexec_b64 s[8:9], s[2:3]
	s_xor_b64 s[8:9], exec, s[8:9]
	s_cbranch_execz .LBB25_321
; %bb.320:                              ;   in Loop: Header=BB25_14 Depth=1
	s_barrier
	s_waitcnt lgkmcnt(0)
                                        ; implicit-def: $vgpr21
.LBB25_321:                             ;   in Loop: Header=BB25_14 Depth=1
	s_andn2_saveexec_b64 s[8:9], s[8:9]
	s_cbranch_execz .LBB25_325
; %bb.322:                              ;   in Loop: Header=BB25_14 Depth=1
	v_add_u32_e32 v12, 0, v121
	ds_read_b64 v[2:3], v12 offset:256
	s_waitcnt lgkmcnt(0)
	s_barrier
	ds_bpermute_b32 v13, v21, v2
	v_max_f32_e32 v22, v2, v2
	s_waitcnt lgkmcnt(0)
	v_max_f32_e32 v13, v13, v13
	v_max_f32_e32 v13, v22, v13
	v_sub_f32_e32 v2, v2, v13
	v_mul_f32_e32 v13, 0x3fb8aa3b, v2
	v_fma_f32 v22, v2, s67, -v13
	v_rndne_f32_e32 v23, v13
	v_fmac_f32_e32 v22, 0x32a5705f, v2
	v_sub_f32_e32 v13, v13, v23
	v_add_f32_e32 v13, v13, v22
	v_cvt_i32_f32_e32 v23, v23
	v_exp_f32_e32 v13, v13
	v_cmp_ngt_f32_e32 vcc, s55, v2
	v_ldexp_f32 v13, v13, v23
	v_cndmask_b32_e32 v13, 0, v13, vcc
	v_cmp_nlt_f32_e32 vcc, s7, v2
	v_cndmask_b32_e32 v2, v222, v13, vcc
	v_mul_f32_e32 v3, v3, v2
	ds_bpermute_b32 v13, v21, v3
	s_mov_b64 s[72:73], exec
	v_readlane_b32 s52, v255, 16
	v_readlane_b32 s53, v255, 17
	s_and_b64 s[52:53], s[72:73], s[52:53]
	s_mov_b64 exec, s[52:53]
	s_cbranch_execz .LBB25_324
; %bb.323:                              ;   in Loop: Header=BB25_14 Depth=1
	s_waitcnt lgkmcnt(0)
	v_add_f32_e32 v3, v3, v13
	ds_write_b64 v12, v[2:3] offset:256
.LBB25_324:                             ;   in Loop: Header=BB25_14 Depth=1
	s_or_b64 exec, exec, s[72:73]
.LBB25_325:                             ;   in Loop: Header=BB25_14 Depth=1
	s_or_b64 exec, exec, s[8:9]
	ds_write2_b32 v122, v6, v1 offset1:1
	ds_write2_b32 v122, v8, v7 offset0:8 offset1:9
	ds_write2_b32 v122, v10, v9 offset0:16 offset1:17
	;; [unrolled: 1-line block ×7, first 2 shown]
	s_waitcnt lgkmcnt(0)
	s_barrier
	s_and_saveexec_b64 s[72:73], s[0:1]
	s_cbranch_execz .LBB25_12
; %bb.326:                              ;   in Loop: Header=BB25_14 Depth=1
	v_add_u32_e32 v2, s63, v218
	v_or_b32_e32 v1, s11, v52
	v_cmp_gt_i32_e32 vcc, s28, v2
	v_cmp_gt_i32_e64 s[8:9], s80, v1
	s_and_b64 s[52:53], vcc, s[8:9]
	v_mov_b32_e32 v1, 0x47
	s_and_saveexec_b64 s[74:75], s[52:53]
	s_cbranch_execz .LBB25_328
; %bb.327:                              ;   in Loop: Header=BB25_14 Depth=1
	v_add_u32_e32 v1, 0, v123
	ds_read2_b32 v[4:5], v1 offset0:64 offset1:65
	ds_read2st64_b32 v[6:7], v124 offset1:17
	ds_read_b32 v8, v1 offset:4608
	v_mad_u64_u32 v[2:3], s[52:53], v2, s29, v[52:53]
	v_lshl_add_u32 v2, v2, 6, v26
	s_waitcnt lgkmcnt(1)
	v_cvt_f32_f16_sdwa v11, v6 dst_sel:DWORD dst_unused:UNUSED_PAD src0_sel:WORD_1
	v_cvt_f32_f16_e32 v10, v6
	v_cvt_f32_f16_sdwa v13, v7 dst_sel:DWORD dst_unused:UNUSED_PAD src0_sel:WORD_1
	v_cvt_f32_f16_e32 v12, v7
	v_ashrrev_i32_e32 v3, 31, v2
	v_lshlrev_b64 v[2:3], 3, v[2:3]
	v_pk_fma_f32 v[10:11], v[4:5], v[10:11], 0 op_sel_hi:[0,1,0]
	v_add_co_u32_e32 v2, vcc, s51, v2
	v_mov_b32_e32 v1, s10
	s_waitcnt lgkmcnt(0)
	v_pk_fma_f32 v[6:7], v[8:9], v[12:13], v[10:11] op_sel_hi:[0,1,1]
	v_addc_co_u32_e32 v3, vcc, v1, v3, vcc
	v_div_scale_f32 v1, s[52:53], v5, v5, v7
	v_rcp_f32_e32 v4, v1
	v_fma_f32 v8, -v1, v4, 1.0
	v_fmac_f32_e32 v4, v8, v4
	v_div_scale_f32 v8, vcc, v7, v5, v7
	v_mul_f32_e32 v9, v8, v4
	v_fma_f32 v10, -v1, v9, v8
	v_fmac_f32_e32 v9, v10, v4
	v_fma_f32 v1, -v1, v9, v8
	v_div_fmas_f32 v1, v1, v4, v9
	v_div_fixup_f32 v7, v1, v5, v7
	v_div_scale_f32 v1, s[52:53], v5, v5, v6
	v_rcp_f32_e32 v4, v1
	v_fma_f32 v8, -v1, v4, 1.0
	v_fmac_f32_e32 v4, v8, v4
	v_div_scale_f32 v8, vcc, v6, v5, v6
	v_mul_f32_e32 v9, v8, v4
	v_fma_f32 v10, -v1, v9, v8
	v_fmac_f32_e32 v9, v10, v4
	v_fma_f32 v1, -v1, v9, v8
	v_div_fmas_f32 v1, v1, v4, v9
	v_div_fixup_f32 v6, v1, v5, v6
	v_mov_b32_e32 v1, 0
	global_store_dwordx2 v[2:3], v[6:7], off
.LBB25_328:                             ;   in Loop: Header=BB25_14 Depth=1
	s_or_b64 exec, exec, s[74:75]
	s_movk_i32 s11, 0x47
	v_cmp_gt_i32_e32 vcc, s11, v1
	s_mov_b64 s[74:75], -1
	s_and_saveexec_b64 s[76:77], vcc
; %bb.329:                              ;   in Loop: Header=BB25_14 Depth=1
	v_cmp_eq_u32_e32 vcc, 0, v1
	s_orn2_b64 s[74:75], vcc, exec
; %bb.330:                              ;   in Loop: Header=BB25_14 Depth=1
	s_or_b64 exec, exec, s[76:77]
	s_and_b64 exec, exec, s[74:75]
	s_cbranch_execz .LBB25_12
; %bb.331:                              ;   in Loop: Header=BB25_14 Depth=1
	v_add_u32_e32 v2, s63, v125
	v_cmp_gt_i32_e32 vcc, s28, v2
	s_and_b64 s[52:53], vcc, s[8:9]
	v_mov_b32_e32 v1, 0x47
	s_and_saveexec_b64 s[74:75], s[52:53]
	s_cbranch_execz .LBB25_333
; %bb.332:                              ;   in Loop: Header=BB25_14 Depth=1
	v_add_u32_e32 v1, 0, v126
	ds_read2_b32 v[4:5], v1 offset0:64 offset1:65
	ds_read2st64_b32 v[6:7], v127 offset1:17
	ds_read_b32 v8, v1 offset:4608
	v_mad_u64_u32 v[2:3], s[52:53], v2, s29, v[52:53]
	v_lshl_add_u32 v2, v2, 6, v26
	s_waitcnt lgkmcnt(1)
	v_cvt_f32_f16_sdwa v11, v6 dst_sel:DWORD dst_unused:UNUSED_PAD src0_sel:WORD_1
	v_cvt_f32_f16_e32 v10, v6
	v_cvt_f32_f16_sdwa v13, v7 dst_sel:DWORD dst_unused:UNUSED_PAD src0_sel:WORD_1
	v_cvt_f32_f16_e32 v12, v7
	v_ashrrev_i32_e32 v3, 31, v2
	v_lshlrev_b64 v[2:3], 3, v[2:3]
	v_pk_fma_f32 v[10:11], v[4:5], v[10:11], 0 op_sel_hi:[0,1,0]
	v_add_co_u32_e32 v2, vcc, s51, v2
	v_mov_b32_e32 v1, s10
	s_waitcnt lgkmcnt(0)
	v_pk_fma_f32 v[6:7], v[8:9], v[12:13], v[10:11] op_sel_hi:[0,1,1]
	v_addc_co_u32_e32 v3, vcc, v1, v3, vcc
	v_div_scale_f32 v1, s[52:53], v5, v5, v7
	v_rcp_f32_e32 v4, v1
	v_fma_f32 v8, -v1, v4, 1.0
	v_fmac_f32_e32 v4, v8, v4
	v_div_scale_f32 v8, vcc, v7, v5, v7
	v_mul_f32_e32 v9, v8, v4
	v_fma_f32 v10, -v1, v9, v8
	v_fmac_f32_e32 v9, v10, v4
	v_fma_f32 v1, -v1, v9, v8
	v_div_fmas_f32 v1, v1, v4, v9
	v_div_fixup_f32 v7, v1, v5, v7
	v_div_scale_f32 v1, s[52:53], v5, v5, v6
	v_rcp_f32_e32 v4, v1
	v_fma_f32 v8, -v1, v4, 1.0
	v_fmac_f32_e32 v4, v8, v4
	v_div_scale_f32 v8, vcc, v6, v5, v6
	v_mul_f32_e32 v9, v8, v4
	v_fma_f32 v10, -v1, v9, v8
	v_fmac_f32_e32 v9, v10, v4
	v_fma_f32 v1, -v1, v9, v8
	v_div_fmas_f32 v1, v1, v4, v9
	v_div_fixup_f32 v6, v1, v5, v6
	v_mov_b32_e32 v1, 0
	global_store_dwordx2 v[2:3], v[6:7], off
.LBB25_333:                             ;   in Loop: Header=BB25_14 Depth=1
	s_or_b64 exec, exec, s[74:75]
	v_cmp_gt_i32_e32 vcc, s11, v1
	s_mov_b64 s[74:75], -1
	s_and_saveexec_b64 s[76:77], vcc
; %bb.334:                              ;   in Loop: Header=BB25_14 Depth=1
	v_cmp_eq_u32_e32 vcc, 0, v1
	s_orn2_b64 s[74:75], vcc, exec
; %bb.335:                              ;   in Loop: Header=BB25_14 Depth=1
	s_or_b64 exec, exec, s[76:77]
	s_and_b64 exec, exec, s[74:75]
	s_cbranch_execz .LBB25_12
; %bb.336:                              ;   in Loop: Header=BB25_14 Depth=1
	v_add_u32_e32 v2, s63, v128
	v_cmp_gt_i32_e32 vcc, s28, v2
	s_and_b64 s[52:53], vcc, s[8:9]
	v_mov_b32_e32 v1, 0x47
	s_and_saveexec_b64 s[74:75], s[52:53]
	s_cbranch_execz .LBB25_338
; %bb.337:                              ;   in Loop: Header=BB25_14 Depth=1
	v_add_u32_e32 v1, 0, v129
	ds_read2_b32 v[4:5], v1 offset0:64 offset1:65
	ds_read2st64_b32 v[6:7], v130 offset1:17
	ds_read_b32 v8, v1 offset:4608
	v_mad_u64_u32 v[2:3], s[52:53], v2, s29, v[52:53]
	v_lshl_add_u32 v2, v2, 6, v26
	s_waitcnt lgkmcnt(1)
	v_cvt_f32_f16_sdwa v11, v6 dst_sel:DWORD dst_unused:UNUSED_PAD src0_sel:WORD_1
	v_cvt_f32_f16_e32 v10, v6
	v_cvt_f32_f16_sdwa v13, v7 dst_sel:DWORD dst_unused:UNUSED_PAD src0_sel:WORD_1
	v_cvt_f32_f16_e32 v12, v7
	v_ashrrev_i32_e32 v3, 31, v2
	v_lshlrev_b64 v[2:3], 3, v[2:3]
	v_pk_fma_f32 v[10:11], v[4:5], v[10:11], 0 op_sel_hi:[0,1,0]
	v_add_co_u32_e32 v2, vcc, s51, v2
	v_mov_b32_e32 v1, s10
	s_waitcnt lgkmcnt(0)
	v_pk_fma_f32 v[6:7], v[8:9], v[12:13], v[10:11] op_sel_hi:[0,1,1]
	v_addc_co_u32_e32 v3, vcc, v1, v3, vcc
	v_div_scale_f32 v1, s[52:53], v5, v5, v7
	v_rcp_f32_e32 v4, v1
	v_fma_f32 v8, -v1, v4, 1.0
	v_fmac_f32_e32 v4, v8, v4
	v_div_scale_f32 v8, vcc, v7, v5, v7
	v_mul_f32_e32 v9, v8, v4
	v_fma_f32 v10, -v1, v9, v8
	v_fmac_f32_e32 v9, v10, v4
	v_fma_f32 v1, -v1, v9, v8
	v_div_fmas_f32 v1, v1, v4, v9
	v_div_fixup_f32 v7, v1, v5, v7
	v_div_scale_f32 v1, s[52:53], v5, v5, v6
	v_rcp_f32_e32 v4, v1
	v_fma_f32 v8, -v1, v4, 1.0
	v_fmac_f32_e32 v4, v8, v4
	v_div_scale_f32 v8, vcc, v6, v5, v6
	v_mul_f32_e32 v9, v8, v4
	v_fma_f32 v10, -v1, v9, v8
	v_fmac_f32_e32 v9, v10, v4
	v_fma_f32 v1, -v1, v9, v8
	v_div_fmas_f32 v1, v1, v4, v9
	v_div_fixup_f32 v6, v1, v5, v6
	v_mov_b32_e32 v1, 0
	global_store_dwordx2 v[2:3], v[6:7], off
.LBB25_338:                             ;   in Loop: Header=BB25_14 Depth=1
	s_or_b64 exec, exec, s[74:75]
	;; [unrolled: 63-line block ×8, first 2 shown]
	v_cmp_gt_i32_e32 vcc, s11, v1
	s_mov_b64 s[74:75], -1
	s_and_saveexec_b64 s[76:77], vcc
; %bb.369:                              ;   in Loop: Header=BB25_14 Depth=1
	v_cmp_eq_u32_e32 vcc, 0, v1
	s_orn2_b64 s[74:75], vcc, exec
; %bb.370:                              ;   in Loop: Header=BB25_14 Depth=1
	s_or_b64 exec, exec, s[76:77]
	s_and_b64 exec, exec, s[74:75]
	s_cbranch_execz .LBB25_12
; %bb.371:                              ;   in Loop: Header=BB25_14 Depth=1
	v_add_u32_e32 v2, s63, v149
	v_cmp_gt_i32_e32 vcc, s28, v2
	s_and_b64 s[52:53], vcc, s[8:9]
	v_mov_b32_e32 v1, 0x47
	s_and_saveexec_b64 s[74:75], s[52:53]
	s_cbranch_execz .LBB25_373
; %bb.372:                              ;   in Loop: Header=BB25_14 Depth=1
	buffer_load_dword v1, off, s[96:99], 0  ; 4-byte Folded Reload
	v_mad_u64_u32 v[2:3], s[52:53], v2, s29, v[52:53]
	v_lshl_add_u32 v2, v2, 6, v26
	v_ashrrev_i32_e32 v3, 31, v2
	v_lshlrev_b64 v[2:3], 3, v[2:3]
	v_add_co_u32_e32 v2, vcc, s51, v2
	s_waitcnt vmcnt(0)
	v_add_u32_e32 v1, 0, v1
	ds_read2_b32 v[4:5], v1 offset0:64 offset1:65
	ds_read2st64_b32 v[6:7], v152 offset1:17
	ds_read_b32 v8, v1 offset:4608
	v_mov_b32_e32 v1, s10
	v_addc_co_u32_e32 v3, vcc, v1, v3, vcc
	s_waitcnt lgkmcnt(1)
	v_cvt_f32_f16_sdwa v11, v6 dst_sel:DWORD dst_unused:UNUSED_PAD src0_sel:WORD_1
	v_cvt_f32_f16_e32 v10, v6
	v_cvt_f32_f16_sdwa v13, v7 dst_sel:DWORD dst_unused:UNUSED_PAD src0_sel:WORD_1
	v_cvt_f32_f16_e32 v12, v7
	v_pk_fma_f32 v[10:11], v[4:5], v[10:11], 0 op_sel_hi:[0,1,0]
	s_waitcnt lgkmcnt(0)
	v_pk_fma_f32 v[6:7], v[8:9], v[12:13], v[10:11] op_sel_hi:[0,1,1]
	v_div_scale_f32 v1, s[52:53], v5, v5, v7
	v_rcp_f32_e32 v4, v1
	v_fma_f32 v8, -v1, v4, 1.0
	v_fmac_f32_e32 v4, v8, v4
	v_div_scale_f32 v8, vcc, v7, v5, v7
	v_mul_f32_e32 v9, v8, v4
	v_fma_f32 v10, -v1, v9, v8
	v_fmac_f32_e32 v9, v10, v4
	v_fma_f32 v1, -v1, v9, v8
	v_div_fmas_f32 v1, v1, v4, v9
	v_div_fixup_f32 v7, v1, v5, v7
	v_div_scale_f32 v1, s[52:53], v5, v5, v6
	v_rcp_f32_e32 v4, v1
	v_fma_f32 v8, -v1, v4, 1.0
	v_fmac_f32_e32 v4, v8, v4
	v_div_scale_f32 v8, vcc, v6, v5, v6
	v_mul_f32_e32 v9, v8, v4
	v_fma_f32 v10, -v1, v9, v8
	v_fmac_f32_e32 v9, v10, v4
	v_fma_f32 v1, -v1, v9, v8
	v_div_fmas_f32 v1, v1, v4, v9
	v_div_fixup_f32 v6, v1, v5, v6
	v_mov_b32_e32 v1, 0
	global_store_dwordx2 v[2:3], v[6:7], off
.LBB25_373:                             ;   in Loop: Header=BB25_14 Depth=1
	s_or_b64 exec, exec, s[74:75]
	v_cmp_gt_i32_e32 vcc, s11, v1
	s_mov_b64 s[74:75], -1
	s_and_saveexec_b64 s[76:77], vcc
; %bb.374:                              ;   in Loop: Header=BB25_14 Depth=1
	v_cmp_eq_u32_e32 vcc, 0, v1
	s_orn2_b64 s[74:75], vcc, exec
; %bb.375:                              ;   in Loop: Header=BB25_14 Depth=1
	s_or_b64 exec, exec, s[76:77]
	s_and_b64 exec, exec, s[74:75]
	s_cbranch_execz .LBB25_12
; %bb.376:                              ;   in Loop: Header=BB25_14 Depth=1
	v_mov_b32_e32 v1, v151
	v_add_u32_e32 v2, s63, v1
	v_cmp_gt_i32_e32 vcc, s28, v2
	s_and_b64 s[52:53], vcc, s[8:9]
	v_mov_b32_e32 v1, 0x47
	s_and_saveexec_b64 s[74:75], s[52:53]
	s_cbranch_execz .LBB25_378
; %bb.377:                              ;   in Loop: Header=BB25_14 Depth=1
	v_mov_b32_e32 v1, v154
	v_add_u32_e32 v1, 0, v1
	ds_read2_b32 v[4:5], v1 offset0:64 offset1:65
	ds_read2st64_b32 v[6:7], v155 offset1:17
	ds_read_b32 v8, v1 offset:4608
	v_mad_u64_u32 v[2:3], s[52:53], v2, s29, v[52:53]
	v_lshl_add_u32 v2, v2, 6, v26
	s_waitcnt lgkmcnt(1)
	v_cvt_f32_f16_sdwa v11, v6 dst_sel:DWORD dst_unused:UNUSED_PAD src0_sel:WORD_1
	v_cvt_f32_f16_e32 v10, v6
	v_cvt_f32_f16_sdwa v13, v7 dst_sel:DWORD dst_unused:UNUSED_PAD src0_sel:WORD_1
	v_cvt_f32_f16_e32 v12, v7
	v_ashrrev_i32_e32 v3, 31, v2
	v_lshlrev_b64 v[2:3], 3, v[2:3]
	v_pk_fma_f32 v[10:11], v[4:5], v[10:11], 0 op_sel_hi:[0,1,0]
	v_add_co_u32_e32 v2, vcc, s51, v2
	v_mov_b32_e32 v1, s10
	s_waitcnt lgkmcnt(0)
	v_pk_fma_f32 v[6:7], v[8:9], v[12:13], v[10:11] op_sel_hi:[0,1,1]
	v_addc_co_u32_e32 v3, vcc, v1, v3, vcc
	v_div_scale_f32 v1, s[52:53], v5, v5, v7
	v_rcp_f32_e32 v4, v1
	v_fma_f32 v8, -v1, v4, 1.0
	v_fmac_f32_e32 v4, v8, v4
	v_div_scale_f32 v8, vcc, v7, v5, v7
	v_mul_f32_e32 v9, v8, v4
	v_fma_f32 v10, -v1, v9, v8
	v_fmac_f32_e32 v9, v10, v4
	v_fma_f32 v1, -v1, v9, v8
	v_div_fmas_f32 v1, v1, v4, v9
	v_div_fixup_f32 v7, v1, v5, v7
	v_div_scale_f32 v1, s[52:53], v5, v5, v6
	v_rcp_f32_e32 v4, v1
	v_fma_f32 v8, -v1, v4, 1.0
	v_fmac_f32_e32 v4, v8, v4
	v_div_scale_f32 v8, vcc, v6, v5, v6
	v_mul_f32_e32 v9, v8, v4
	v_fma_f32 v10, -v1, v9, v8
	v_fmac_f32_e32 v9, v10, v4
	v_fma_f32 v1, -v1, v9, v8
	v_div_fmas_f32 v1, v1, v4, v9
	v_div_fixup_f32 v6, v1, v5, v6
	v_mov_b32_e32 v1, 0
	global_store_dwordx2 v[2:3], v[6:7], off
.LBB25_378:                             ;   in Loop: Header=BB25_14 Depth=1
	s_or_b64 exec, exec, s[74:75]
	v_cmp_gt_i32_e32 vcc, s11, v1
	s_mov_b64 s[74:75], -1
	s_and_saveexec_b64 s[76:77], vcc
; %bb.379:                              ;   in Loop: Header=BB25_14 Depth=1
	v_cmp_eq_u32_e32 vcc, 0, v1
	s_orn2_b64 s[74:75], vcc, exec
; %bb.380:                              ;   in Loop: Header=BB25_14 Depth=1
	s_or_b64 exec, exec, s[76:77]
	s_and_b64 exec, exec, s[74:75]
	s_cbranch_execz .LBB25_12
; %bb.381:                              ;   in Loop: Header=BB25_14 Depth=1
	v_mov_b32_e32 v1, v150
	v_add_u32_e32 v2, s63, v1
	v_cmp_gt_i32_e32 vcc, s28, v2
	s_and_b64 s[52:53], vcc, s[8:9]
	v_mov_b32_e32 v1, 0x47
	s_and_saveexec_b64 s[74:75], s[52:53]
	s_cbranch_execz .LBB25_383
; %bb.382:                              ;   in Loop: Header=BB25_14 Depth=1
	v_mov_b32_e32 v1, v157
	v_add_u32_e32 v1, 0, v1
	ds_read2_b32 v[4:5], v1 offset0:64 offset1:65
	ds_read2st64_b32 v[6:7], v158 offset1:17
	ds_read_b32 v8, v1 offset:4608
	v_mad_u64_u32 v[2:3], s[52:53], v2, s29, v[52:53]
	v_lshl_add_u32 v2, v2, 6, v26
	s_waitcnt lgkmcnt(1)
	v_cvt_f32_f16_sdwa v11, v6 dst_sel:DWORD dst_unused:UNUSED_PAD src0_sel:WORD_1
	v_cvt_f32_f16_e32 v10, v6
	v_cvt_f32_f16_sdwa v13, v7 dst_sel:DWORD dst_unused:UNUSED_PAD src0_sel:WORD_1
	v_cvt_f32_f16_e32 v12, v7
	v_ashrrev_i32_e32 v3, 31, v2
	v_lshlrev_b64 v[2:3], 3, v[2:3]
	v_pk_fma_f32 v[10:11], v[4:5], v[10:11], 0 op_sel_hi:[0,1,0]
	v_add_co_u32_e32 v2, vcc, s51, v2
	v_mov_b32_e32 v1, s10
	s_waitcnt lgkmcnt(0)
	v_pk_fma_f32 v[6:7], v[8:9], v[12:13], v[10:11] op_sel_hi:[0,1,1]
	v_addc_co_u32_e32 v3, vcc, v1, v3, vcc
	v_div_scale_f32 v1, s[52:53], v5, v5, v7
	v_rcp_f32_e32 v4, v1
	v_fma_f32 v8, -v1, v4, 1.0
	v_fmac_f32_e32 v4, v8, v4
	v_div_scale_f32 v8, vcc, v7, v5, v7
	v_mul_f32_e32 v9, v8, v4
	v_fma_f32 v10, -v1, v9, v8
	v_fmac_f32_e32 v9, v10, v4
	v_fma_f32 v1, -v1, v9, v8
	v_div_fmas_f32 v1, v1, v4, v9
	v_div_fixup_f32 v7, v1, v5, v7
	v_div_scale_f32 v1, s[52:53], v5, v5, v6
	v_rcp_f32_e32 v4, v1
	v_fma_f32 v8, -v1, v4, 1.0
	v_fmac_f32_e32 v4, v8, v4
	v_div_scale_f32 v8, vcc, v6, v5, v6
	v_mul_f32_e32 v9, v8, v4
	v_fma_f32 v10, -v1, v9, v8
	v_fmac_f32_e32 v9, v10, v4
	v_fma_f32 v1, -v1, v9, v8
	v_div_fmas_f32 v1, v1, v4, v9
	v_div_fixup_f32 v6, v1, v5, v6
	v_mov_b32_e32 v1, 0
	global_store_dwordx2 v[2:3], v[6:7], off
.LBB25_383:                             ;   in Loop: Header=BB25_14 Depth=1
	s_or_b64 exec, exec, s[74:75]
	v_cmp_gt_i32_e32 vcc, s11, v1
	s_mov_b64 s[74:75], -1
	s_and_saveexec_b64 s[76:77], vcc
; %bb.384:                              ;   in Loop: Header=BB25_14 Depth=1
	v_cmp_eq_u32_e32 vcc, 0, v1
	s_orn2_b64 s[74:75], vcc, exec
; %bb.385:                              ;   in Loop: Header=BB25_14 Depth=1
	s_or_b64 exec, exec, s[76:77]
	s_and_b64 exec, exec, s[74:75]
	s_cbranch_execz .LBB25_12
; %bb.386:                              ;   in Loop: Header=BB25_14 Depth=1
	v_mov_b32_e32 v1, v153
	v_add_u32_e32 v2, s63, v1
	v_cmp_gt_i32_e32 vcc, s28, v2
	s_and_b64 s[52:53], vcc, s[8:9]
	v_mov_b32_e32 v1, 0x47
	s_and_saveexec_b64 s[74:75], s[52:53]
	s_cbranch_execz .LBB25_388
; %bb.387:                              ;   in Loop: Header=BB25_14 Depth=1
	v_mov_b32_e32 v1, v160
	v_add_u32_e32 v1, 0, v1
	ds_read2_b32 v[4:5], v1 offset0:64 offset1:65
	ds_read2st64_b32 v[6:7], v161 offset1:17
	ds_read_b32 v8, v1 offset:4608
	v_mad_u64_u32 v[2:3], s[52:53], v2, s29, v[52:53]
	v_lshl_add_u32 v2, v2, 6, v26
	s_waitcnt lgkmcnt(1)
	v_cvt_f32_f16_sdwa v11, v6 dst_sel:DWORD dst_unused:UNUSED_PAD src0_sel:WORD_1
	v_cvt_f32_f16_e32 v10, v6
	v_cvt_f32_f16_sdwa v13, v7 dst_sel:DWORD dst_unused:UNUSED_PAD src0_sel:WORD_1
	v_cvt_f32_f16_e32 v12, v7
	v_ashrrev_i32_e32 v3, 31, v2
	v_lshlrev_b64 v[2:3], 3, v[2:3]
	v_pk_fma_f32 v[10:11], v[4:5], v[10:11], 0 op_sel_hi:[0,1,0]
	v_add_co_u32_e32 v2, vcc, s51, v2
	v_mov_b32_e32 v1, s10
	s_waitcnt lgkmcnt(0)
	v_pk_fma_f32 v[6:7], v[8:9], v[12:13], v[10:11] op_sel_hi:[0,1,1]
	v_addc_co_u32_e32 v3, vcc, v1, v3, vcc
	v_div_scale_f32 v1, s[52:53], v5, v5, v7
	v_rcp_f32_e32 v4, v1
	v_fma_f32 v8, -v1, v4, 1.0
	v_fmac_f32_e32 v4, v8, v4
	v_div_scale_f32 v8, vcc, v7, v5, v7
	v_mul_f32_e32 v9, v8, v4
	v_fma_f32 v10, -v1, v9, v8
	v_fmac_f32_e32 v9, v10, v4
	v_fma_f32 v1, -v1, v9, v8
	v_div_fmas_f32 v1, v1, v4, v9
	v_div_fixup_f32 v7, v1, v5, v7
	v_div_scale_f32 v1, s[52:53], v5, v5, v6
	v_rcp_f32_e32 v4, v1
	v_fma_f32 v8, -v1, v4, 1.0
	v_fmac_f32_e32 v4, v8, v4
	v_div_scale_f32 v8, vcc, v6, v5, v6
	v_mul_f32_e32 v9, v8, v4
	v_fma_f32 v10, -v1, v9, v8
	v_fmac_f32_e32 v9, v10, v4
	v_fma_f32 v1, -v1, v9, v8
	v_div_fmas_f32 v1, v1, v4, v9
	v_div_fixup_f32 v6, v1, v5, v6
	v_mov_b32_e32 v1, 0
	global_store_dwordx2 v[2:3], v[6:7], off
.LBB25_388:                             ;   in Loop: Header=BB25_14 Depth=1
	s_or_b64 exec, exec, s[74:75]
	v_cmp_gt_i32_e32 vcc, s11, v1
	s_mov_b64 s[74:75], -1
	s_and_saveexec_b64 s[76:77], vcc
; %bb.389:                              ;   in Loop: Header=BB25_14 Depth=1
	v_cmp_eq_u32_e32 vcc, 0, v1
	s_orn2_b64 s[74:75], vcc, exec
; %bb.390:                              ;   in Loop: Header=BB25_14 Depth=1
	s_or_b64 exec, exec, s[76:77]
	s_and_b64 exec, exec, s[74:75]
	s_cbranch_execz .LBB25_12
; %bb.391:                              ;   in Loop: Header=BB25_14 Depth=1
	v_mov_b32_e32 v1, v156
	v_add_u32_e32 v2, s63, v1
	v_cmp_gt_i32_e32 vcc, s28, v2
	s_and_b64 s[52:53], vcc, s[8:9]
	v_mov_b32_e32 v1, 0x47
	s_and_saveexec_b64 s[74:75], s[52:53]
	s_cbranch_execz .LBB25_393
; %bb.392:                              ;   in Loop: Header=BB25_14 Depth=1
	v_mov_b32_e32 v1, v163
	v_add_u32_e32 v1, 0, v1
	ds_read2_b32 v[4:5], v1 offset0:64 offset1:65
	ds_read2st64_b32 v[6:7], v164 offset1:17
	ds_read_b32 v8, v1 offset:4608
	v_mad_u64_u32 v[2:3], s[52:53], v2, s29, v[52:53]
	v_lshl_add_u32 v2, v2, 6, v26
	s_waitcnt lgkmcnt(1)
	v_cvt_f32_f16_sdwa v11, v6 dst_sel:DWORD dst_unused:UNUSED_PAD src0_sel:WORD_1
	v_cvt_f32_f16_e32 v10, v6
	v_cvt_f32_f16_sdwa v13, v7 dst_sel:DWORD dst_unused:UNUSED_PAD src0_sel:WORD_1
	v_cvt_f32_f16_e32 v12, v7
	v_ashrrev_i32_e32 v3, 31, v2
	v_lshlrev_b64 v[2:3], 3, v[2:3]
	v_pk_fma_f32 v[10:11], v[4:5], v[10:11], 0 op_sel_hi:[0,1,0]
	v_add_co_u32_e32 v2, vcc, s51, v2
	v_mov_b32_e32 v1, s10
	s_waitcnt lgkmcnt(0)
	v_pk_fma_f32 v[6:7], v[8:9], v[12:13], v[10:11] op_sel_hi:[0,1,1]
	v_addc_co_u32_e32 v3, vcc, v1, v3, vcc
	v_div_scale_f32 v1, s[52:53], v5, v5, v7
	v_rcp_f32_e32 v4, v1
	v_fma_f32 v8, -v1, v4, 1.0
	v_fmac_f32_e32 v4, v8, v4
	v_div_scale_f32 v8, vcc, v7, v5, v7
	v_mul_f32_e32 v9, v8, v4
	v_fma_f32 v10, -v1, v9, v8
	v_fmac_f32_e32 v9, v10, v4
	v_fma_f32 v1, -v1, v9, v8
	v_div_fmas_f32 v1, v1, v4, v9
	v_div_fixup_f32 v7, v1, v5, v7
	v_div_scale_f32 v1, s[52:53], v5, v5, v6
	v_rcp_f32_e32 v4, v1
	v_fma_f32 v8, -v1, v4, 1.0
	v_fmac_f32_e32 v4, v8, v4
	v_div_scale_f32 v8, vcc, v6, v5, v6
	v_mul_f32_e32 v9, v8, v4
	v_fma_f32 v10, -v1, v9, v8
	v_fmac_f32_e32 v9, v10, v4
	v_fma_f32 v1, -v1, v9, v8
	v_div_fmas_f32 v1, v1, v4, v9
	v_div_fixup_f32 v6, v1, v5, v6
	v_mov_b32_e32 v1, 0
	global_store_dwordx2 v[2:3], v[6:7], off
.LBB25_393:                             ;   in Loop: Header=BB25_14 Depth=1
	s_or_b64 exec, exec, s[74:75]
	v_cmp_gt_i32_e32 vcc, s11, v1
	s_mov_b64 s[74:75], -1
	s_and_saveexec_b64 s[76:77], vcc
; %bb.394:                              ;   in Loop: Header=BB25_14 Depth=1
	v_cmp_eq_u32_e32 vcc, 0, v1
	s_orn2_b64 s[74:75], vcc, exec
; %bb.395:                              ;   in Loop: Header=BB25_14 Depth=1
	s_or_b64 exec, exec, s[76:77]
	s_and_b64 exec, exec, s[74:75]
	s_cbranch_execz .LBB25_12
; %bb.396:                              ;   in Loop: Header=BB25_14 Depth=1
	v_mov_b32_e32 v1, v159
	v_add_u32_e32 v2, s63, v1
	v_cmp_gt_i32_e32 vcc, s28, v2
	s_and_b64 s[52:53], vcc, s[8:9]
	v_mov_b32_e32 v1, 0x47
	s_and_saveexec_b64 s[74:75], s[52:53]
	s_cbranch_execz .LBB25_398
; %bb.397:                              ;   in Loop: Header=BB25_14 Depth=1
	v_mov_b32_e32 v1, v169
	v_add_u32_e32 v1, 0, v1
	ds_read2_b32 v[4:5], v1 offset0:64 offset1:65
	ds_read2st64_b32 v[6:7], v167 offset1:17
	ds_read_b32 v8, v1 offset:4608
	v_mad_u64_u32 v[2:3], s[52:53], v2, s29, v[52:53]
	v_lshl_add_u32 v2, v2, 6, v26
	s_waitcnt lgkmcnt(1)
	v_cvt_f32_f16_sdwa v11, v6 dst_sel:DWORD dst_unused:UNUSED_PAD src0_sel:WORD_1
	v_cvt_f32_f16_e32 v10, v6
	v_cvt_f32_f16_sdwa v13, v7 dst_sel:DWORD dst_unused:UNUSED_PAD src0_sel:WORD_1
	v_cvt_f32_f16_e32 v12, v7
	v_ashrrev_i32_e32 v3, 31, v2
	v_lshlrev_b64 v[2:3], 3, v[2:3]
	v_pk_fma_f32 v[10:11], v[4:5], v[10:11], 0 op_sel_hi:[0,1,0]
	v_add_co_u32_e32 v2, vcc, s51, v2
	v_mov_b32_e32 v1, s10
	s_waitcnt lgkmcnt(0)
	v_pk_fma_f32 v[6:7], v[8:9], v[12:13], v[10:11] op_sel_hi:[0,1,1]
	v_addc_co_u32_e32 v3, vcc, v1, v3, vcc
	v_div_scale_f32 v1, s[52:53], v5, v5, v7
	v_rcp_f32_e32 v4, v1
	v_fma_f32 v8, -v1, v4, 1.0
	v_fmac_f32_e32 v4, v8, v4
	v_div_scale_f32 v8, vcc, v7, v5, v7
	v_mul_f32_e32 v9, v8, v4
	v_fma_f32 v10, -v1, v9, v8
	v_fmac_f32_e32 v9, v10, v4
	v_fma_f32 v1, -v1, v9, v8
	v_div_fmas_f32 v1, v1, v4, v9
	v_div_fixup_f32 v7, v1, v5, v7
	v_div_scale_f32 v1, s[52:53], v5, v5, v6
	v_rcp_f32_e32 v4, v1
	v_fma_f32 v8, -v1, v4, 1.0
	v_fmac_f32_e32 v4, v8, v4
	v_div_scale_f32 v8, vcc, v6, v5, v6
	v_mul_f32_e32 v9, v8, v4
	v_fma_f32 v10, -v1, v9, v8
	v_fmac_f32_e32 v9, v10, v4
	v_fma_f32 v1, -v1, v9, v8
	v_div_fmas_f32 v1, v1, v4, v9
	v_div_fixup_f32 v6, v1, v5, v6
	v_mov_b32_e32 v1, 0
	global_store_dwordx2 v[2:3], v[6:7], off
.LBB25_398:                             ;   in Loop: Header=BB25_14 Depth=1
	s_or_b64 exec, exec, s[74:75]
	v_cmp_gt_i32_e32 vcc, s11, v1
	s_mov_b64 s[74:75], -1
	s_and_saveexec_b64 s[76:77], vcc
; %bb.399:                              ;   in Loop: Header=BB25_14 Depth=1
	v_cmp_eq_u32_e32 vcc, 0, v1
	s_orn2_b64 s[74:75], vcc, exec
; %bb.400:                              ;   in Loop: Header=BB25_14 Depth=1
	s_or_b64 exec, exec, s[76:77]
	s_and_b64 exec, exec, s[74:75]
	s_cbranch_execz .LBB25_12
; %bb.401:                              ;   in Loop: Header=BB25_14 Depth=1
	v_mov_b32_e32 v1, v162
	v_add_u32_e32 v1, s63, v1
	v_cmp_gt_i32_e32 vcc, s28, v1
	s_and_b64 s[8:9], vcc, s[8:9]
	s_and_b64 exec, exec, s[8:9]
	s_cbranch_execz .LBB25_12
; %bb.402:                              ;   in Loop: Header=BB25_14 Depth=1
	v_mov_b32_e32 v2, v165
	v_add_u32_e32 v8, 0, v2
	ds_read2st64_b32 v[4:5], v166 offset1:17
	ds_read2_b32 v[6:7], v8 offset0:64 offset1:65
	ds_read_b32 v8, v8 offset:4608
	v_mad_u64_u32 v[2:3], s[8:9], v1, s29, v[52:53]
	s_waitcnt lgkmcnt(2)
	v_cvt_f32_f16_sdwa v11, v4 dst_sel:DWORD dst_unused:UNUSED_PAD src0_sel:WORD_1
	v_cvt_f32_f16_e32 v10, v4
	v_cvt_f32_f16_sdwa v13, v5 dst_sel:DWORD dst_unused:UNUSED_PAD src0_sel:WORD_1
	v_cvt_f32_f16_e32 v12, v5
	v_lshl_add_u32 v2, v2, 6, v26
	s_waitcnt lgkmcnt(1)
	v_pk_fma_f32 v[4:5], v[6:7], v[10:11], 0 op_sel_hi:[0,1,0]
	v_ashrrev_i32_e32 v3, 31, v2
	s_waitcnt lgkmcnt(0)
	v_pk_fma_f32 v[4:5], v[8:9], v[12:13], v[4:5] op_sel_hi:[0,1,1]
	v_div_scale_f32 v6, s[8:9], v7, v7, v5
	v_rcp_f32_e32 v8, v6
	v_lshlrev_b64 v[2:3], 3, v[2:3]
	v_mov_b32_e32 v1, s10
	v_add_co_u32_e32 v2, vcc, s51, v2
	v_addc_co_u32_e32 v3, vcc, v1, v3, vcc
	v_fma_f32 v1, -v6, v8, 1.0
	v_fmac_f32_e32 v8, v1, v8
	v_div_scale_f32 v1, vcc, v5, v7, v5
	v_mul_f32_e32 v9, v1, v8
	v_fma_f32 v10, -v6, v9, v1
	v_fmac_f32_e32 v9, v10, v8
	v_fma_f32 v1, -v6, v9, v1
	v_div_scale_f32 v6, s[8:9], v7, v7, v4
	v_rcp_f32_e32 v10, v6
	v_div_fmas_f32 v1, v1, v8, v9
	v_div_fixup_f32 v5, v1, v7, v5
	v_fma_f32 v1, -v6, v10, 1.0
	v_fmac_f32_e32 v10, v1, v10
	v_div_scale_f32 v1, vcc, v4, v7, v4
	v_mul_f32_e32 v8, v1, v10
	v_fma_f32 v9, -v6, v8, v1
	v_fmac_f32_e32 v8, v9, v10
	v_fma_f32 v1, -v6, v8, v1
	v_div_fmas_f32 v1, v1, v10, v8
	v_div_fixup_f32 v4, v1, v7, v4
	global_store_dwordx2 v[2:3], v[4:5], off
	s_branch .LBB25_12
.LBB25_403:
	v_readlane_b32 s51, v255, 13
	v_readlane_b32 s41, v255, 8
	;; [unrolled: 1-line block ×5, first 2 shown]
	s_andn2_b64 vcc, exec, s[8:9]
	s_cbranch_vccnz .LBB25_10
.LBB25_404:
	v_readlane_b32 s6, v255, 3
	s_abs_i32 s0, s6
	v_cvt_f32_u32_e32 v1, s0
	s_sub_i32 s3, 0, s0
	s_abs_i32 s2, s54
	s_xor_b32 s1, s54, s6
	v_rcp_iflag_f32_e32 v1, v1
	s_ashr_i32 s1, s1, 31
	v_readlane_b32 s8, v255, 2
	v_readlane_b32 s9, v255, 1
	v_mul_f32_e32 v1, 0x4f7ffffe, v1
	v_cvt_u32_f32_e32 v1, v1
	v_mov_b32_e32 v16, s62
	v_readfirstlane_b32 s4, v1
	s_mul_i32 s3, s3, s4
	s_mul_hi_u32 s3, s4, s3
	s_add_i32 s4, s4, s3
	s_mul_hi_u32 s3, s2, s4
	s_mul_i32 s4, s3, s0
	s_sub_i32 s2, s2, s4
	s_add_i32 s5, s3, 1
	s_sub_i32 s4, s2, s0
	s_cmp_ge_u32 s2, s0
	s_cselect_b32 s3, s5, s3
	s_cselect_b32 s2, s4, s2
	s_add_i32 s4, s3, 1
	s_cmp_ge_u32 s2, s0
	s_cselect_b32 s0, s4, s3
	s_abs_i32 s2, s8
	v_cvt_f32_u32_e32 v1, s2
	s_xor_b32 s0, s0, s1
	s_sub_i32 s5, s0, s1
	s_sub_i32 s3, 0, s2
	v_rcp_iflag_f32_e32 v1, v1
	s_mul_i32 s0, s5, s6
	s_sub_i32 s0, s54, s0
	s_abs_i32 s4, s0
	v_mul_f32_e32 v1, 0x4f7ffffe, v1
	v_cvt_u32_f32_e32 v1, v1
	s_xor_b32 s1, s0, s8
	s_ashr_i32 s1, s1, 31
	v_readfirstlane_b32 s6, v1
	s_mul_i32 s3, s3, s6
	s_mul_hi_u32 s3, s6, s3
	s_add_i32 s6, s6, s3
	s_mul_hi_u32 s3, s4, s6
	s_mul_i32 s6, s3, s2
	s_sub_i32 s4, s4, s6
	s_add_i32 s7, s3, 1
	s_sub_i32 s6, s4, s2
	s_cmp_ge_u32 s4, s2
	s_cselect_b32 s3, s7, s3
	s_cselect_b32 s4, s6, s4
	s_add_i32 s6, s3, 1
	s_cmp_ge_u32 s4, s2
	s_cselect_b32 s2, s6, s3
	s_abs_i32 s3, s9
	v_cvt_f32_u32_e32 v1, s3
	s_xor_b32 s2, s2, s1
	s_sub_i32 s4, 0, s3
	s_sub_i32 s6, s2, s1
	v_rcp_iflag_f32_e32 v1, v1
	s_mul_i32 s1, s6, s8
	s_sub_i32 s1, s0, s1
	s_abs_i32 s2, s1
	v_mul_f32_e32 v1, 0x4f7ffffe, v1
	v_cvt_u32_f32_e32 v1, v1
	s_xor_b32 s0, s1, s9
	s_ashr_i32 s0, s0, 31
	v_readfirstlane_b32 s7, v1
	s_mul_i32 s4, s4, s7
	s_mul_hi_u32 s4, s7, s4
	s_add_i32 s7, s7, s4
	s_mul_hi_u32 s4, s2, s7
	s_mul_i32 s7, s4, s3
	s_sub_i32 s2, s2, s7
	s_add_i32 s8, s4, 1
	s_sub_i32 s7, s2, s3
	s_cmp_ge_u32 s2, s3
	s_cselect_b32 s4, s8, s4
	s_cselect_b32 s2, s7, s2
	s_add_i32 s7, s4, 1
	s_cmp_ge_u32 s2, s3
	s_cselect_b32 s2, s7, s4
	s_xor_b32 s2, s2, s0
	s_sub_i32 s0, s2, s0
	s_mul_i32 s2, s0, s9
	s_sub_i32 s1, s1, s2
	s_ashr_i32 s2, s1, 31
	s_abs_i32 s1, s1
	s_mul_hi_u32 s3, s1, s50
	s_mul_i32 s4, s3, s59
	s_sub_i32 s1, s1, s4
	s_xor_b32 s2, s2, s38
	s_add_i32 s4, s3, 1
	s_sub_i32 s7, s1, s59
	s_cmp_ge_u32 s1, s59
	s_cselect_b32 s3, s4, s3
	s_cselect_b32 s1, s7, s1
	s_add_i32 s4, s3, 1
	s_cmp_ge_u32 s1, s59
	s_cselect_b32 s1, s4, s3
	s_abs_i32 s7, s10
	v_cvt_f32_u32_e32 v1, s7
	s_xor_b32 s1, s1, s2
	s_sub_i32 s1, s1, s2
	s_cmp_eq_u64 s[22:23], 0
	v_rcp_iflag_f32_e32 v1, v1
	v_mul_f32_e32 v1, 0x4f7ffffe, v1
	v_cvt_u32_f32_e32 v1, v1
	v_readfirstlane_b32 s10, v1
	s_cbranch_scc1 .LBB25_406
; %bb.405:
	v_readlane_b32 s2, v255, 0
	s_mul_i32 s2, s5, s2
	s_add_i32 s2, s1, s2
	s_ashr_i32 s3, s2, 31
	s_lshl_b64 s[2:3], s[2:3], 2
	s_add_u32 s2, s22, s2
	s_addc_u32 s3, s23, s3
	v_mov_b32_e32 v1, 0
	global_load_dword v1, v1, s[2:3]
	s_waitcnt vmcnt(0)
	v_ashrrev_i32_e32 v2, 31, v1
	v_lshrrev_b32_e32 v2, 26, v2
	v_add_u32_e32 v1, v1, v2
	v_ashrrev_i32_e32 v1, 6, v1
	v_min_i32_e32 v16, s62, v1
.LBB25_406:
	v_readlane_b32 s8, v255, 4
	v_readlane_b32 s9, v255, 5
	s_mul_i32 s2, s6, s80
	s_lshl_b32 s0, s0, 1
	s_mul_i32 s3, s5, s9
	s_add_i32 s2, s0, s2
	s_ashr_i32 s4, s3, 31
	s_add_u32 s3, s12, s3
	s_mul_i32 s2, s2, s8
	s_addc_u32 s4, s13, s4
	s_ashr_i32 s9, s2, 31
	s_add_u32 s8, s3, s2
	s_addc_u32 s9, s4, s9
	s_lshl_b32 s4, s1, 4
	v_or_b32_e32 v1, s0, v73
	v_and_b32_e32 v46, 0x3ff, v0
	v_add_u32_e32 v0, s4, v67
	v_cmp_gt_i32_e64 s[0:1], s80, v1
	v_cmp_le_i32_e32 vcc, s28, v0
	s_xor_b64 s[0:1], s[0:1], -1
	s_or_b64 s[2:3], vcc, s[0:1]
	s_and_saveexec_b64 s[12:13], s[2:3]
	s_xor_b64 s[2:3], exec, s[12:13]
	s_cbranch_execz .LBB25_408
; %bb.407:
	s_movk_i32 s11, 0x44
	v_mad_u32_u24 v0, v69, s11, v46
	v_lshl_add_u32 v0, v0, 2, 0
	v_mov_b32_e32 v1, 0
	ds_write_b32 v0, v1
                                        ; implicit-def: $vgpr0
.LBB25_408:
	s_andn2_saveexec_b64 s[2:3], s[2:3]
	s_cbranch_execz .LBB25_410
; %bb.409:
	v_mul_lo_u32 v0, v0, s33
	v_mul_lo_u32 v1, v73, s52
	v_add3_u32 v0, v1, v46, v0
	v_ashrrev_i32_e32 v1, 31, v0
	v_lshlrev_b64 v[0:1], 3, v[0:1]
	v_mov_b32_e32 v2, s9
	v_add_co_u32_e32 v0, vcc, s8, v0
	v_addc_co_u32_e32 v1, vcc, v2, v1, vcc
	global_load_dwordx2 v[0:1], v[0:1], off
	s_movk_i32 s11, 0x44
	v_mad_u32_u24 v2, v69, s11, v46
	s_waitcnt vmcnt(0)
	v_cvt_f16_f32_e32 v0, v0
	v_cvt_f16_f32_e32 v1, v1
	v_pack_b32_f16 v0, v0, v1
	v_pk_mul_f16 v0, v75, v0
	v_lshl_add_u32 v1, v2, 2, 0
	ds_write_b32 v1, v0
.LBB25_410:
	s_or_b64 exec, exec, s[2:3]
	v_lshrrev_b32_e32 v0, 1, v84
	v_add_u32_e32 v0, s4, v0
	v_cmp_le_i32_e32 vcc, s28, v0
	s_or_b64 s[2:3], vcc, s[0:1]
	s_and_saveexec_b64 s[12:13], s[2:3]
	s_xor_b64 s[2:3], exec, s[12:13]
	s_cbranch_execz .LBB25_412
; %bb.411:
	s_movk_i32 s11, 0x44
	v_mad_u32_u24 v0, v84, s11, v46
	v_lshl_add_u32 v0, v0, 2, 0
	v_mov_b32_e32 v1, 0
	ds_write_b32 v0, v1
                                        ; implicit-def: $vgpr0
                                        ; implicit-def: $vgpr84
.LBB25_412:
	s_andn2_saveexec_b64 s[2:3], s[2:3]
	s_cbranch_execz .LBB25_414
; %bb.413:
	v_mul_lo_u32 v0, v0, s33
	v_mul_lo_u32 v1, v73, s52
	v_add3_u32 v0, v1, v46, v0
	v_ashrrev_i32_e32 v1, 31, v0
	v_lshlrev_b64 v[0:1], 3, v[0:1]
	v_mov_b32_e32 v2, s9
	v_add_co_u32_e32 v0, vcc, s8, v0
	v_addc_co_u32_e32 v1, vcc, v2, v1, vcc
	global_load_dwordx2 v[0:1], v[0:1], off
	s_movk_i32 s11, 0x44
	v_mad_u32_u24 v2, v84, s11, v46
	s_waitcnt vmcnt(0)
	v_cvt_f16_f32_e32 v0, v0
	v_cvt_f16_f32_e32 v1, v1
	v_pack_b32_f16 v0, v0, v1
	v_pk_mul_f16 v0, v75, v0
	v_lshl_add_u32 v1, v2, 2, 0
	ds_write_b32 v1, v0
.LBB25_414:
	s_or_b64 exec, exec, s[2:3]
	v_lshrrev_b32_e32 v0, 1, v83
	v_add_u32_e32 v0, s4, v0
	v_cmp_le_i32_e32 vcc, s28, v0
	s_or_b64 s[2:3], vcc, s[0:1]
	s_and_saveexec_b64 s[12:13], s[2:3]
	s_xor_b64 s[2:3], exec, s[12:13]
	s_cbranch_execz .LBB25_416
; %bb.415:
	s_movk_i32 s11, 0x44
	v_mad_u32_u24 v0, v83, s11, v46
	v_lshl_add_u32 v0, v0, 2, 0
	v_mov_b32_e32 v1, 0
	ds_write_b32 v0, v1
                                        ; implicit-def: $vgpr0
                                        ; implicit-def: $vgpr83
.LBB25_416:
	s_andn2_saveexec_b64 s[2:3], s[2:3]
	s_cbranch_execz .LBB25_418
; %bb.417:
	v_mul_lo_u32 v0, v0, s33
	v_mul_lo_u32 v1, v73, s52
	v_add3_u32 v0, v1, v46, v0
	v_ashrrev_i32_e32 v1, 31, v0
	v_lshlrev_b64 v[0:1], 3, v[0:1]
	v_mov_b32_e32 v2, s9
	v_add_co_u32_e32 v0, vcc, s8, v0
	v_addc_co_u32_e32 v1, vcc, v2, v1, vcc
	global_load_dwordx2 v[0:1], v[0:1], off
	s_movk_i32 s11, 0x44
	v_mad_u32_u24 v2, v83, s11, v46
	s_waitcnt vmcnt(0)
	v_cvt_f16_f32_e32 v0, v0
	v_cvt_f16_f32_e32 v1, v1
	v_pack_b32_f16 v0, v0, v1
	v_pk_mul_f16 v0, v75, v0
	v_lshl_add_u32 v1, v2, 2, 0
	ds_write_b32 v1, v0
.LBB25_418:
	s_or_b64 exec, exec, s[2:3]
	v_lshrrev_b32_e32 v0, 1, v82
	v_add_u32_e32 v0, s4, v0
	v_cmp_le_i32_e32 vcc, s28, v0
	s_or_b64 s[2:3], vcc, s[0:1]
	s_and_saveexec_b64 s[12:13], s[2:3]
	s_xor_b64 s[2:3], exec, s[12:13]
	s_cbranch_execz .LBB25_420
; %bb.419:
	s_movk_i32 s11, 0x44
	v_mad_u32_u24 v0, v82, s11, v46
	v_lshl_add_u32 v0, v0, 2, 0
	v_mov_b32_e32 v1, 0
	ds_write_b32 v0, v1
                                        ; implicit-def: $vgpr0
                                        ; implicit-def: $vgpr82
.LBB25_420:
	s_andn2_saveexec_b64 s[2:3], s[2:3]
	s_cbranch_execz .LBB25_422
; %bb.421:
	v_mul_lo_u32 v0, v0, s33
	v_mul_lo_u32 v1, v73, s52
	v_add3_u32 v0, v1, v46, v0
	v_ashrrev_i32_e32 v1, 31, v0
	v_lshlrev_b64 v[0:1], 3, v[0:1]
	v_mov_b32_e32 v2, s9
	v_add_co_u32_e32 v0, vcc, s8, v0
	v_addc_co_u32_e32 v1, vcc, v2, v1, vcc
	global_load_dwordx2 v[0:1], v[0:1], off
	s_movk_i32 s11, 0x44
	v_mad_u32_u24 v2, v82, s11, v46
	s_waitcnt vmcnt(0)
	v_cvt_f16_f32_e32 v0, v0
	v_cvt_f16_f32_e32 v1, v1
	v_pack_b32_f16 v0, v0, v1
	v_pk_mul_f16 v0, v75, v0
	v_lshl_add_u32 v1, v2, 2, 0
	ds_write_b32 v1, v0
.LBB25_422:
	s_or_b64 exec, exec, s[2:3]
	v_lshrrev_b32_e32 v0, 1, v81
	v_add_u32_e32 v0, s4, v0
	v_cmp_le_i32_e32 vcc, s28, v0
	s_or_b64 s[2:3], vcc, s[0:1]
	s_and_saveexec_b64 s[12:13], s[2:3]
	s_xor_b64 s[2:3], exec, s[12:13]
	s_cbranch_execz .LBB25_424
; %bb.423:
	s_movk_i32 s11, 0x44
	v_mad_u32_u24 v0, v81, s11, v46
	v_lshl_add_u32 v0, v0, 2, 0
	v_mov_b32_e32 v1, 0
	ds_write_b32 v0, v1
                                        ; implicit-def: $vgpr0
                                        ; implicit-def: $vgpr81
.LBB25_424:
	s_andn2_saveexec_b64 s[2:3], s[2:3]
	s_cbranch_execz .LBB25_426
; %bb.425:
	v_mul_lo_u32 v0, v0, s33
	v_mul_lo_u32 v1, v73, s52
	v_add3_u32 v0, v1, v46, v0
	v_ashrrev_i32_e32 v1, 31, v0
	v_lshlrev_b64 v[0:1], 3, v[0:1]
	v_mov_b32_e32 v2, s9
	v_add_co_u32_e32 v0, vcc, s8, v0
	v_addc_co_u32_e32 v1, vcc, v2, v1, vcc
	global_load_dwordx2 v[0:1], v[0:1], off
	s_movk_i32 s11, 0x44
	v_mad_u32_u24 v2, v81, s11, v46
	s_waitcnt vmcnt(0)
	v_cvt_f16_f32_e32 v0, v0
	v_cvt_f16_f32_e32 v1, v1
	v_pack_b32_f16 v0, v0, v1
	v_pk_mul_f16 v0, v75, v0
	v_lshl_add_u32 v1, v2, 2, 0
	ds_write_b32 v1, v0
.LBB25_426:
	s_or_b64 exec, exec, s[2:3]
	v_lshrrev_b32_e32 v0, 1, v80
	v_add_u32_e32 v0, s4, v0
	v_cmp_le_i32_e32 vcc, s28, v0
	s_sub_i32 s11, 0, s7
	s_or_b64 s[2:3], vcc, s[0:1]
	s_and_saveexec_b64 s[12:13], s[2:3]
	s_xor_b64 s[2:3], exec, s[12:13]
	s_cbranch_execz .LBB25_428
; %bb.427:
	s_movk_i32 s12, 0x44
	v_mad_u32_u24 v0, v80, s12, v46
	v_lshl_add_u32 v0, v0, 2, 0
	v_mov_b32_e32 v1, 0
	ds_write_b32 v0, v1
                                        ; implicit-def: $vgpr0
                                        ; implicit-def: $vgpr80
.LBB25_428:
	s_or_saveexec_b64 s[2:3], s[2:3]
	s_mul_i32 s11, s11, s10
	s_xor_b64 exec, exec, s[2:3]
	s_cbranch_execz .LBB25_430
; %bb.429:
	v_mul_lo_u32 v0, v0, s33
	v_mul_lo_u32 v1, v73, s52
	v_add3_u32 v0, v1, v46, v0
	v_ashrrev_i32_e32 v1, 31, v0
	v_lshlrev_b64 v[0:1], 3, v[0:1]
	v_mov_b32_e32 v2, s9
	v_add_co_u32_e32 v0, vcc, s8, v0
	v_addc_co_u32_e32 v1, vcc, v2, v1, vcc
	global_load_dwordx2 v[0:1], v[0:1], off
	s_movk_i32 s12, 0x44
	v_mad_u32_u24 v2, v80, s12, v46
	s_waitcnt vmcnt(0)
	v_cvt_f16_f32_e32 v0, v0
	v_cvt_f16_f32_e32 v1, v1
	v_pack_b32_f16 v0, v0, v1
	v_pk_mul_f16 v0, v75, v0
	v_lshl_add_u32 v1, v2, 2, 0
	ds_write_b32 v1, v0
.LBB25_430:
	s_or_b64 exec, exec, s[2:3]
	v_lshrrev_b32_e32 v0, 1, v79
	v_add_u32_e32 v0, s4, v0
	v_cmp_le_i32_e32 vcc, s28, v0
	s_mul_hi_u32 s12, s10, s11
	s_or_b64 s[2:3], vcc, s[0:1]
	s_and_saveexec_b64 s[20:21], s[2:3]
	s_xor_b64 s[2:3], exec, s[20:21]
	s_cbranch_execz .LBB25_432
; %bb.431:
	s_movk_i32 s11, 0x44
	v_mad_u32_u24 v0, v79, s11, v46
	v_lshl_add_u32 v0, v0, 2, 0
	v_mov_b32_e32 v1, 0
	ds_write_b32 v0, v1
                                        ; implicit-def: $vgpr0
                                        ; implicit-def: $vgpr79
.LBB25_432:
	s_or_saveexec_b64 s[2:3], s[2:3]
	s_abs_i32 s11, s5
	s_add_i32 s10, s10, s12
	s_xor_b64 exec, exec, s[2:3]
	s_cbranch_execz .LBB25_434
; %bb.433:
	v_mul_lo_u32 v0, v0, s33
	v_mul_lo_u32 v1, v73, s52
	v_add3_u32 v0, v1, v46, v0
	v_ashrrev_i32_e32 v1, 31, v0
	v_lshlrev_b64 v[0:1], 3, v[0:1]
	v_mov_b32_e32 v2, s9
	v_add_co_u32_e32 v0, vcc, s8, v0
	v_addc_co_u32_e32 v1, vcc, v2, v1, vcc
	global_load_dwordx2 v[0:1], v[0:1], off
	s_movk_i32 s12, 0x44
	v_mad_u32_u24 v2, v79, s12, v46
	s_waitcnt vmcnt(0)
	v_cvt_f16_f32_e32 v0, v0
	v_cvt_f16_f32_e32 v1, v1
	v_pack_b32_f16 v0, v0, v1
	v_pk_mul_f16 v0, v75, v0
	v_lshl_add_u32 v1, v2, 2, 0
	ds_write_b32 v1, v0
.LBB25_434:
	s_or_b64 exec, exec, s[2:3]
	v_lshrrev_b32_e32 v0, 1, v77
	v_add_u32_e32 v0, s4, v0
	v_cmp_le_i32_e32 vcc, s28, v0
	s_mul_hi_u32 s2, s11, s10
	s_or_b64 s[0:1], vcc, s[0:1]
	s_and_saveexec_b64 s[12:13], s[0:1]
	s_xor_b64 s[0:1], exec, s[12:13]
	s_cbranch_execz .LBB25_436
; %bb.435:
	s_movk_i32 s3, 0x44
	v_mad_u32_u24 v0, v77, s3, v46
	v_lshl_add_u32 v0, v0, 2, 0
	v_mov_b32_e32 v1, 0
	ds_write_b32 v0, v1
                                        ; implicit-def: $vgpr0
                                        ; implicit-def: $vgpr75
                                        ; implicit-def: $vgpr77
.LBB25_436:
	s_or_saveexec_b64 s[0:1], s[0:1]
	s_ashr_i32 s3, s5, 31
	s_xor_b64 exec, exec, s[0:1]
	s_cbranch_execz .LBB25_438
; %bb.437:
	v_mul_lo_u32 v0, v0, s33
	v_mul_lo_u32 v1, v73, s52
	v_add3_u32 v0, v1, v46, v0
	v_ashrrev_i32_e32 v1, 31, v0
	v_lshlrev_b64 v[0:1], 3, v[0:1]
	v_mov_b32_e32 v2, s9
	v_add_co_u32_e32 v0, vcc, s8, v0
	v_addc_co_u32_e32 v1, vcc, v2, v1, vcc
	global_load_dwordx2 v[0:1], v[0:1], off
	s_movk_i32 s8, 0x44
	v_mad_u32_u24 v2, v77, s8, v46
	s_waitcnt vmcnt(0)
	v_cvt_f16_f32_e32 v0, v0
	v_cvt_f16_f32_e32 v1, v1
	v_pack_b32_f16 v0, v0, v1
	v_pk_mul_f16 v0, v75, v0
	v_lshl_add_u32 v1, v2, 2, 0
	ds_write_b32 v1, v0
.LBB25_438:
	s_or_b64 exec, exec, s[0:1]
	s_mul_i32 s0, s5, s37
	s_mul_hi_u32 s1, s5, s36
	s_add_i32 s0, s1, s0
	s_mul_i32 s1, s3, s36
	v_readlane_b32 s8, v255, 6
	s_add_i32 s0, s0, s1
	s_mul_i32 s1, s5, s36
	v_readlane_b32 s9, v255, 7
	s_add_u32 s1, s14, s1
	s_mul_i32 s8, s6, s9
	s_addc_u32 s0, s15, s0
	s_ashr_i32 s9, s8, 31
	s_add_u32 s8, s1, s8
	s_mul_i32 s2, s2, s7
	s_addc_u32 s9, s0, s9
	s_sub_i32 s0, s11, s2
	s_sub_i32 s1, s0, s7
	s_cmp_ge_u32 s0, s7
	s_cselect_b32 s0, s1, s0
	s_sub_i32 s1, s0, s7
	s_cmp_ge_u32 s0, s7
	s_cselect_b32 s0, s1, s0
	s_xor_b32 s0, s0, s3
	s_sub_i32 s0, s0, s3
	s_ashr_i32 s1, s0, 31
	s_mul_i32 s2, s0, s49
	s_mul_hi_u32 s7, s0, s48
	s_add_i32 s2, s7, s2
	s_mul_i32 s1, s1, s48
	s_add_i32 s2, s2, s1
	s_mul_i32 s0, s0, s48
	s_add_u32 s10, s18, s0
	s_mul_i32 s0, s5, s47
	s_mul_hi_u32 s1, s5, s46
	s_addc_u32 s11, s19, s2
	s_add_i32 s0, s1, s0
	s_mul_i32 s3, s3, s46
	s_add_i32 s0, s0, s3
	s_mul_i32 s5, s5, s46
	s_add_u32 s1, s16, s5
	s_mul_i32 s6, s6, s39
	s_addc_u32 s0, s17, s0
	s_ashr_i32 s2, s6, 31
	s_add_u32 s6, s1, s6
	v_lshrrev_b32_e32 v1, 3, v46
	s_addc_u32 s7, s0, s2
	v_and_b32_e32 v17, 0x1ff0, v71
	s_movk_i32 s0, 0x110
	v_and_b32_e32 v47, 15, v46
	v_and_b32_e32 v48, 0x7e, v1
	v_mad_u32_u24 v0, v17, s0, 0
	v_mul_u32_u24_e32 v81, 0x110, v47
	v_lshlrev_b32_e32 v82, 2, v48
	v_add3_u32 v0, v0, v81, v82
	s_waitcnt lgkmcnt(0)
	s_barrier
	ds_read2_b64 v[12:15], v0 offset1:4
	ds_read2_b64 v[8:11], v0 offset0:8 offset1:12
	ds_read2_b64 v[4:7], v0 offset0:16 offset1:20
	;; [unrolled: 1-line block ×3, first 2 shown]
	v_add_u32_e32 v90, -1, v16
	v_cmp_lt_i32_e32 vcc, s76, v90
	v_lshlrev_b32_e32 v16, 1, v46
	s_mov_b32 s5, 0
	v_and_b32_e32 v16, 62, v16
	v_mov_b32_e32 v25, 0
	s_waitcnt lgkmcnt(0)
	s_barrier
	s_cbranch_vccnz .LBB25_441
; %bb.439:
	v_lshrrev_b32_e32 v18, 5, v46
	v_lshl_add_u32 v18, v69, 1, v18
	v_add_u32_e32 v19, s4, v18
	v_mul_hi_u32 v20, s42, v19
	v_add_u32_e32 v20, v19, v20
	v_lshrrev_b32_e32 v20, s43, v20
	v_mul_lo_u32 v20, v20, s28
	v_sub_u32_e32 v20, v19, v20
	v_add_u32_e32 v19, 8, v19
	v_mad_i64_i32 v[26:27], s[2:3], v20, s44, 0
	v_mul_hi_u32 v20, s42, v19
	v_add_u32_e32 v20, v19, v20
	v_lshrrev_b32_e32 v20, s43, v20
	v_mul_lo_u32 v20, v20, s28
	s_movk_i32 s1, 0x90
	v_sub_u32_e32 v19, v19, v20
	v_mov_b32_e32 v20, 0x480
	v_mul_u32_u24_e32 v83, 0x90, v18
	v_mad_u32_u24 v84, v18, s1, v20
	v_lshrrev_b32_e32 v18, 4, v46
	v_mad_i64_i32 v[28:29], s[2:3], v19, s44, 0
	v_lshl_add_u32 v56, v69, 2, v18
	v_lshlrev_b32_e32 v18, 2, v46
	v_mul_lo_u32 v30, s40, v56
	s_lshl_b32 s2, s40, 4
	v_and_b32_e32 v24, 60, v18
	v_mov_b32_e32 v18, 0x1100
	v_add_u32_e32 v32, s2, v30
	v_mad_u32_u24 v86, v56, s0, v18
	v_mov_b32_e32 v18, 0x2200
	v_add_u32_e32 v34, s2, v32
	v_lshlrev_b32_e32 v49, 4, v69
	v_mad_u32_u24 v87, v56, s0, v18
	v_mov_b32_e32 v18, 0x3300
	v_add_u32_e32 v36, s2, v34
	v_and_b32_e32 v74, 16, v49
	s_ashr_i32 s1, s40, 31
	v_mul_u32_u24_e32 v85, 0x110, v56
	v_ashrrev_i32_e32 v31, 31, v30
	v_add_u32_e32 v57, 16, v56
	v_ashrrev_i32_e32 v33, 31, v32
	v_add_u32_e32 v58, 32, v56
	;; [unrolled: 2-line block ×3, first 2 shown]
	v_mad_u32_u24 v88, v56, s0, v18
	v_ashrrev_i32_e32 v37, 31, v36
	v_mul_u32_u24_e32 v89, 0x110, v74
	s_mov_b64 s[2:3], 0
	s_mov_b32 s13, 0xfeffffff
	s_mov_b32 s12, 0
	s_branch .LBB25_442
.LBB25_440:
                                        ; implicit-def: $sgpr58_sgpr59
	s_load_dwordx2 s[42:43], s[4:5], 0x5c
	s_branch .LBB25_7
.LBB25_441:
	s_mov_b64 s[2:3], -1
                                        ; implicit-def: $sgpr12
                                        ; implicit-def: $sgpr5
                                        ; implicit-def: $sgpr13
                                        ; implicit-def: $vgpr83
                                        ; implicit-def: $vgpr26_vgpr27
                                        ; implicit-def: $vgpr84
                                        ; implicit-def: $vgpr28_vgpr29
                                        ; implicit-def: $vgpr56
                                        ; implicit-def: $vgpr85
                                        ; implicit-def: $vgpr24
                                        ; implicit-def: $vgpr30_vgpr31
                                        ; implicit-def: $vgpr57
                                        ; implicit-def: $vgpr86
                                        ; implicit-def: $vgpr32_vgpr33
                                        ; implicit-def: $vgpr58
                                        ; implicit-def: $vgpr87
                                        ; implicit-def: $vgpr34_vgpr35
                                        ; implicit-def: $vgpr59
                                        ; implicit-def: $vgpr88
                                        ; implicit-def: $vgpr36_vgpr37
                                        ; implicit-def: $vgpr49
                                        ; implicit-def: $vgpr74
                                        ; implicit-def: $vgpr89
                                        ; implicit-def: $sgpr0_sgpr1
.LBB25_442:
	s_andn2_b64 vcc, exec, s[2:3]
	v_mov_b32_e32 v78, s12
	v_mov_b32_e32 v77, s5
	;; [unrolled: 1-line block ×3, first 2 shown]
	v_lshlrev_b32_e32 v91, 1, v16
	v_lshrrev_b32_e32 v55, 2, v46
	v_and_or_b32 v76, v46, 14, v17
	v_mbcnt_lo_u32_b32 v75, -1, 0
	v_and_b32_e32 v51, 8, v71
	v_lshlrev_b32_e32 v50, 1, v47
	v_mov_b32_e32 v79, s12
	v_mov_b32_e32 v62, s12
	;; [unrolled: 1-line block ×15, first 2 shown]
	s_cbranch_vccnz .LBB25_478
; %bb.443:
	v_mov_b32_e32 v16, s11
	v_add_co_u32_e32 v92, vcc, s10, v91
	v_addc_co_u32_e32 v93, vcc, 0, v16, vcc
	v_lshrrev_b32_e32 v16, 5, v46
	v_lshl_add_u32 v16, v69, 1, v16
	v_add_u32_e32 v17, s4, v16
	v_mul_hi_u32 v18, s42, v17
	v_add_u32_e32 v18, v17, v18
	v_lshrrev_b32_e32 v18, s43, v18
	v_mul_lo_u32 v18, v18, s28
	v_sub_u32_e32 v18, v17, v18
	v_add_u32_e32 v17, 8, v17
	v_mad_i64_i32 v[26:27], s[0:1], v18, s44, 0
	v_mul_hi_u32 v18, s42, v17
	v_add_u32_e32 v18, v17, v18
	v_lshrrev_b32_e32 v18, s43, v18
	v_mul_lo_u32 v18, v18, s28
	s_movk_i32 s2, 0x90
	v_sub_u32_e32 v17, v17, v18
	v_mov_b32_e32 v18, 0x480
	v_mul_u32_u24_e32 v83, 0x90, v16
	v_mad_u32_u24 v84, v16, s2, v18
	v_lshrrev_b32_e32 v16, 4, v46
	v_lshl_add_u32 v56, v69, 2, v16
	v_lshlrev_b32_e32 v16, 2, v46
	v_and_b32_e32 v24, 60, v16
	v_mad_i64_i32 v[28:29], s[0:1], v17, s44, 0
	v_mul_u32_u24_e32 v85, 0x110, v56
	v_lshlrev_b32_e32 v16, 2, v24
	s_movk_i32 s0, 0x110
	v_add3_u32 v94, 0, v85, v16
	v_mov_b32_e32 v16, 0x1100
	v_mad_u32_u24 v86, v56, s0, v16
	v_mov_b32_e32 v16, 0x2200
	v_lshlrev_b32_e32 v49, 4, v69
	v_mad_u32_u24 v87, v56, s0, v16
	v_mov_b32_e32 v16, 0x3300
	v_and_b32_e32 v74, 16, v49
	v_and_b32_e32 v40, 0xfc, v55
	v_lshrrev_b32_e32 v17, 1, v76
	v_mad_u32_u24 v88, v56, s0, v16
	v_add_u32_e32 v16, v40, v74
	v_mad_u32_u24 v17, v17, s2, 0
	v_add_u16_e32 v18, v40, v74
	v_lshl_add_u32 v16, v16, 1, v17
	v_lshrrev_b16_e32 v18, 1, v18
	v_add_u32_e32 v98, 64, v16
	v_add_u32_e32 v99, 0x44, v16
	v_mbcnt_hi_u32_b32 v16, -1, v75
	v_lshl_add_u32 v41, v18, 2, v17
	v_and_b32_e32 v17, 64, v16
	v_add_u32_e32 v17, 64, v17
	v_xor_b32_e32 v18, 32, v16
	v_cmp_lt_i32_e32 vcc, v18, v17
	v_cndmask_b32_e32 v18, v16, v18, vcc
	v_lshlrev_b32_e32 v100, 2, v18
	v_xor_b32_e32 v18, 16, v16
	v_cmp_lt_i32_e32 vcc, v18, v17
	v_cndmask_b32_e32 v16, v16, v18, vcc
	v_lshlrev_b32_e32 v101, 2, v16
	v_mul_lo_u32 v16, s30, v56
	s_lshl_b32 s2, s30, 4
	v_add_u32_e32 v18, s2, v16
	v_add_u32_e32 v20, s2, v18
	v_mul_lo_u32 v30, s40, v56
	s_lshl_b32 s3, s40, 4
	v_add_u32_e32 v22, s2, v20
	v_mul_u32_u24_e32 v42, 0x88, v40
	s_movk_i32 s2, 0x220
	v_add_u32_e32 v32, s3, v30
	v_or_b32_e32 v42, v42, v47
	v_mul_u32_u24_e32 v43, 0x110, v40
	v_or_b32_e32 v44, 3, v55
	v_mul_u32_u24_e32 v45, 0x220, v51
	v_mad_u32_u24 v52, v51, s2, 0
	v_add_u32_e32 v34, s3, v32
	v_mul_u32_u24_e32 v44, 0x110, v44
	v_lshlrev_b32_e32 v42, 1, v42
	v_add3_u32 v103, v52, v43, v50
	v_add3_u32 v43, 0, 32, v45
	v_add_u32_e32 v36, s3, v34
	v_add_u32_e32 v102, v52, v42
	v_add3_u32 v104, v52, v44, v50
	v_add_u32_e32 v107, v43, v42
	v_mad_u32_u24 v52, v40, s0, v43
	v_add3_u32 v110, v43, v44, v50
	v_add3_u32 v43, 0, 64, v45
	s_add_i32 s3, 0, 0x60
	v_add_u32_e32 v112, v43, v42
	v_mad_u32_u24 v45, v40, s0, v43
	v_add3_u32 v115, v43, v44, v50
	v_mov_b32_e32 v43, s3
	s_movk_i32 s4, 0x2200
	v_mad_u32_u24 v43, v51, s2, v43
	s_add_i32 s3, 0, 0x80
	v_add3_u32 v113, v45, v50, s4
	v_add_u32_e32 v117, v43, v42
	v_mad_u32_u24 v45, v40, s0, v43
	v_add3_u32 v120, v43, v44, v50
	v_mov_b32_e32 v43, s3
	v_mad_u32_u24 v43, v51, s2, v43
	s_add_i32 s3, 0, 0xa0
	v_add3_u32 v118, v45, v50, s4
	v_add_u32_e32 v122, v43, v42
	v_mad_u32_u24 v45, v40, s0, v43
	v_add3_u32 v125, v43, v44, v50
	v_mov_b32_e32 v43, s3
	;; [unrolled: 7-line block ×4, first 2 shown]
	v_mad_u32_u24 v43, v51, s2, v43
	v_add_u32_e32 v38, 0, v91
	v_mov_b32_e32 v25, 0
	v_add3_u32 v39, 0, v81, v82
	v_mul_u32_u24_e32 v89, 0x110, v74
	v_ashrrev_i32_e32 v17, 31, v16
	v_ashrrev_i32_e32 v19, 31, v18
	;; [unrolled: 1-line block ×4, first 2 shown]
	v_add_u32_e32 v137, v43, v42
	v_mad_u32_u24 v40, v40, s0, v43
	s_ashr_i32 s1, s40, 31
	v_ashrrev_i32_e32 v31, 31, v30
	v_add_u32_e32 v57, 16, v56
	v_add_u32_e32 v95, 0x1100, v94
	v_ashrrev_i32_e32 v33, 31, v32
	v_add_u32_e32 v58, 32, v56
	v_add_u32_e32 v96, 0x2200, v94
	;; [unrolled: 3-line block ×4, first 2 shown]
	v_add3_u32 v108, v52, v50, s4
	v_add_u32_e32 v109, 0x2200, v107
	v_add_u32_e32 v111, 64, v103
	;; [unrolled: 1-line block ×10, first 2 shown]
	v_add3_u32 v133, v45, v50, s4
	v_add_u32_e32 v134, 0x2200, v132
	v_add_u32_e32 v136, 0xe0, v103
	v_add3_u32 v138, v40, v50, s4
	v_add_u32_e32 v139, 0x2200, v137
	v_add3_u32 v140, v43, v44, v50
	s_mov_b32 s35, s34
	s_lshl_b32 s2, s76, 6
	v_mov_b32_e32 v77, 0xfeffffff
	v_add_u32_e32 v141, v38, v83
	v_lshlrev_b32_e32 v142, 2, v24
	v_add_u32_e32 v143, v39, v89
	s_mov_b32 s0, 0x3f200000
	s_mov_b32 s12, 0x3fb8aa3b
	;; [unrolled: 1-line block ×4, first 2 shown]
	v_mov_b32_e32 v144, 0xbd5c1c4e
	v_mov_b32_e32 v145, 0x3e088382
	;; [unrolled: 1-line block ×3, first 2 shown]
	s_brev_b32 s15, -2
	v_add_u32_e32 v147, 0x4400, v41
	s_mov_b32 s16, 0xc1a00000
	v_lshlrev_b64 v[38:39], 2, v[16:17]
	v_lshlrev_b64 v[40:41], 2, v[18:19]
	v_lshlrev_b64 v[42:43], 2, v[20:21]
	v_lshlrev_b64 v[44:45], 2, v[22:23]
	s_mov_b32 s17, 0x5040100
	v_mov_b32_e32 v148, 0x7f800000
	v_mov_b32_e32 v149, v25
	;; [unrolled: 1-line block ×18, first 2 shown]
.LBB25_444:                             ; =>This Inner Loop Header: Depth=1
	s_ashr_i32 s3, s2, 31
	s_lshl_b64 s[4:5], s[2:3], 1
	v_mov_b32_e32 v16, s5
	v_add_co_u32_e32 v20, vcc, s4, v92
	v_addc_co_u32_e32 v21, vcc, v93, v16, vcc
	v_lshlrev_b64 v[16:17], 1, v[26:27]
	v_add_co_u32_e32 v16, vcc, v20, v16
	s_mul_hi_i32 s5, s2, s40
	s_mul_i32 s4, s2, s40
	v_addc_co_u32_e32 v17, vcc, v21, v17, vcc
	v_lshlrev_b64 v[18:19], 1, v[28:29]
	s_lshl_b64 s[4:5], s[4:5], 2
	v_add_co_u32_e32 v18, vcc, v20, v18
	s_add_u32 s3, s8, s4
	v_addc_co_u32_e32 v19, vcc, v21, v19, vcc
	global_load_dword v158, v[16:17], off
	global_load_dword v159, v[18:19], off
	s_addc_u32 s4, s9, s5
	v_lshlrev_b64 v[16:17], 2, v[30:31]
	v_mov_b32_e32 v18, s4
	v_add_co_u32_e32 v16, vcc, s3, v16
	v_addc_co_u32_e32 v17, vcc, v18, v17, vcc
	v_add_co_u32_e32 v16, vcc, v16, v142
	v_addc_co_u32_e32 v17, vcc, 0, v17, vcc
	v_lshlrev_b64 v[18:19], 2, v[32:33]
	v_mov_b32_e32 v20, s4
	v_add_co_u32_e32 v18, vcc, s3, v18
	v_addc_co_u32_e32 v19, vcc, v20, v19, vcc
	v_add_co_u32_e32 v20, vcc, v18, v142
	v_addc_co_u32_e32 v21, vcc, 0, v19, vcc
	;; [unrolled: 6-line block ×4, first 2 shown]
	global_load_dwordx4 v[16:19], v[16:17], off
	s_nop 0
	global_load_dwordx4 v[20:23], v[20:21], off
	s_nop 0
	;; [unrolled: 2-line block ×3, first 2 shown]
	global_load_dwordx4 v[154:157], v[154:155], off
	s_waitcnt vmcnt(5)
	ds_write_b32 v141, v158 offset:17408
	s_waitcnt vmcnt(4)
	ds_write_b32 v141, v159 offset:18560
	s_waitcnt vmcnt(3)
	ds_write_b128 v94, v[16:19]
	s_waitcnt vmcnt(2)
	ds_write_b128 v95, v[20:23]
	;; [unrolled: 2-line block ×4, first 2 shown]
	v_add_u32_e32 v158, 0x2000, v143
	s_waitcnt lgkmcnt(0)
	s_barrier
	ds_read2_b64 v[16:19], v143 offset1:4
	ds_read2_b64 v[150:153], v158 offset0:64 offset1:68
	s_waitcnt lgkmcnt(1)
	v_mfma_f32_16x16x16f16 v[20:23], v[16:17], v[12:13], 0
	s_waitcnt lgkmcnt(0)
	v_mfma_f32_16x16x16f16 v[154:157], v[150:151], v[12:13], 0
	v_mfma_f32_16x16x16f16 v[16:19], v[18:19], v[14:15], v[20:23]
	;; [unrolled: 1-line block ×3, first 2 shown]
	ds_read2_b64 v[150:153], v143 offset0:8 offset1:12
	s_nop 7
	ds_read2_b64 v[154:157], v158 offset0:72 offset1:76
	s_waitcnt lgkmcnt(1)
	v_mfma_f32_16x16x16f16 v[16:19], v[150:151], v[8:9], v[16:19]
	s_waitcnt lgkmcnt(0)
	v_mfma_f32_16x16x16f16 v[20:23], v[154:155], v[8:9], v[20:23]
	v_mfma_f32_16x16x16f16 v[16:19], v[152:153], v[10:11], v[16:19]
	ds_read2_b64 v[150:153], v143 offset0:16 offset1:20
	v_mfma_f32_16x16x16f16 v[20:23], v[156:157], v[10:11], v[20:23]
	ds_read2_b64 v[154:157], v158 offset0:80 offset1:84
	s_waitcnt lgkmcnt(1)
	v_mfma_f32_16x16x16f16 v[16:19], v[150:151], v[4:5], v[16:19]
	s_waitcnt lgkmcnt(0)
	v_mfma_f32_16x16x16f16 v[20:23], v[154:155], v[4:5], v[20:23]
	v_mfma_f32_16x16x16f16 v[16:19], v[152:153], v[6:7], v[16:19]
	ds_read2_b64 v[150:153], v143 offset0:24 offset1:28
	v_mfma_f32_16x16x16f16 v[20:23], v[156:157], v[6:7], v[20:23]
	ds_read2_b64 v[154:157], v158 offset0:88 offset1:92
	s_waitcnt lgkmcnt(0)
	s_barrier
	v_mfma_f32_16x16x16f16 v[16:19], v[150:151], v[0:1], v[16:19]
                                        ; implicit-def: $vgpr150
	v_mfma_f32_16x16x16f16 v[20:23], v[154:155], v[0:1], v[20:23]
	v_mfma_f32_16x16x16f16 v[16:19], v[152:153], v[2:3], v[16:19]
	;; [unrolled: 1-line block ×3, first 2 shown]
	s_nop 7
	s_nop 1
	v_cmp_nlt_f32_e64 s[4:5], |v16|, s0
	s_and_saveexec_b64 s[18:19], s[4:5]
	s_xor_b64 s[4:5], exec, s[18:19]
	s_cbranch_execz .LBB25_446
; %bb.445:                              ;   in Loop: Header=BB25_444 Depth=1
	v_add_f32_e64 v150, |v16|, |v16|
	v_mul_f32_e32 v151, 0x3fb8aa3b, v150
	v_rndne_f32_e32 v152, v151
	v_sub_f32_e32 v153, v151, v152
	v_fma_f32 v151, v150, s12, -v151
	v_fmac_f32_e32 v151, 0x32a5705f, v150
	v_add_f32_e32 v151, v153, v151
	v_cvt_i32_f32_e32 v152, v152
	v_exp_f32_e32 v151, v151
	v_cmp_ngt_f32_e32 vcc, s13, v150
	v_ldexp_f32 v151, v151, v152
	v_cndmask_b32_e32 v151, 0, v151, vcc
	v_cmp_nlt_f32_e32 vcc, s14, v150
	v_cndmask_b32_e32 v150, v148, v151, vcc
	v_add_f32_e32 v150, 1.0, v150
	v_rcp_f32_e32 v150, v150
	v_fma_f32 v150, v150, -2.0, 1.0
.LBB25_446:                             ;   in Loop: Header=BB25_444 Depth=1
	s_andn2_saveexec_b64 s[4:5], s[4:5]
; %bb.447:                              ;   in Loop: Header=BB25_444 Depth=1
	v_mul_f32_e32 v150, v16, v16
	v_mov_b32_e32 v151, 0x3ca908c9
	v_fmac_f32_e32 v151, 0xbbbac73d, v150
	v_fma_f32 v151, v150, v151, v144
	v_fma_f32 v151, v150, v151, v145
	;; [unrolled: 1-line block ×3, first 2 shown]
	v_mul_f32_e64 v151, |v16|, v151
	v_fma_f32 v150, v150, v151, |v16|
; %bb.448:                              ;   in Loop: Header=BB25_444 Depth=1
	s_or_b64 exec, exec, s[4:5]
	v_cmp_nlt_f32_e64 s[4:5], |v17|, s0
                                        ; implicit-def: $vgpr151
	s_and_saveexec_b64 s[18:19], s[4:5]
	s_xor_b64 s[4:5], exec, s[18:19]
	s_cbranch_execz .LBB25_450
; %bb.449:                              ;   in Loop: Header=BB25_444 Depth=1
	v_add_f32_e64 v151, |v17|, |v17|
	v_mul_f32_e32 v152, 0x3fb8aa3b, v151
	v_rndne_f32_e32 v153, v152
	v_sub_f32_e32 v154, v152, v153
	v_fma_f32 v152, v151, s12, -v152
	v_fmac_f32_e32 v152, 0x32a5705f, v151
	v_add_f32_e32 v152, v154, v152
	v_cvt_i32_f32_e32 v153, v153
	v_exp_f32_e32 v152, v152
	v_cmp_ngt_f32_e32 vcc, s13, v151
	v_ldexp_f32 v152, v152, v153
	v_cndmask_b32_e32 v152, 0, v152, vcc
	v_cmp_nlt_f32_e32 vcc, s14, v151
	v_cndmask_b32_e32 v151, v148, v152, vcc
	v_add_f32_e32 v151, 1.0, v151
	v_rcp_f32_e32 v151, v151
	v_fma_f32 v151, v151, -2.0, 1.0
.LBB25_450:                             ;   in Loop: Header=BB25_444 Depth=1
	s_andn2_saveexec_b64 s[4:5], s[4:5]
; %bb.451:                              ;   in Loop: Header=BB25_444 Depth=1
	v_mul_f32_e32 v151, v17, v17
	v_mov_b32_e32 v152, 0x3ca908c9
	v_fmac_f32_e32 v152, 0xbbbac73d, v151
	v_fma_f32 v152, v151, v152, v144
	v_fma_f32 v152, v151, v152, v145
	;; [unrolled: 1-line block ×3, first 2 shown]
	v_mul_f32_e64 v152, |v17|, v152
	v_fma_f32 v151, v151, v152, |v17|
; %bb.452:                              ;   in Loop: Header=BB25_444 Depth=1
	s_or_b64 exec, exec, s[4:5]
	v_cmp_nlt_f32_e64 s[4:5], |v18|, s0
                                        ; implicit-def: $vgpr152
	s_and_saveexec_b64 s[18:19], s[4:5]
	s_xor_b64 s[4:5], exec, s[18:19]
	s_cbranch_execz .LBB25_454
; %bb.453:                              ;   in Loop: Header=BB25_444 Depth=1
	v_add_f32_e64 v152, |v18|, |v18|
	v_mul_f32_e32 v153, 0x3fb8aa3b, v152
	v_rndne_f32_e32 v154, v153
	v_sub_f32_e32 v155, v153, v154
	v_fma_f32 v153, v152, s12, -v153
	v_fmac_f32_e32 v153, 0x32a5705f, v152
	v_add_f32_e32 v153, v155, v153
	v_cvt_i32_f32_e32 v154, v154
	v_exp_f32_e32 v153, v153
	v_cmp_ngt_f32_e32 vcc, s13, v152
	v_ldexp_f32 v153, v153, v154
	v_cndmask_b32_e32 v153, 0, v153, vcc
	v_cmp_nlt_f32_e32 vcc, s14, v152
	v_cndmask_b32_e32 v152, v148, v153, vcc
	v_add_f32_e32 v152, 1.0, v152
	v_rcp_f32_e32 v152, v152
	v_fma_f32 v152, v152, -2.0, 1.0
.LBB25_454:                             ;   in Loop: Header=BB25_444 Depth=1
	s_andn2_saveexec_b64 s[4:5], s[4:5]
; %bb.455:                              ;   in Loop: Header=BB25_444 Depth=1
	v_mul_f32_e32 v152, v18, v18
	v_mov_b32_e32 v153, 0x3ca908c9
	v_fmac_f32_e32 v153, 0xbbbac73d, v152
	v_fma_f32 v153, v152, v153, v144
	v_fma_f32 v153, v152, v153, v145
	v_fma_f32 v153, v152, v153, v146
	v_mul_f32_e64 v153, |v18|, v153
	v_fma_f32 v152, v152, v153, |v18|
; %bb.456:                              ;   in Loop: Header=BB25_444 Depth=1
	s_or_b64 exec, exec, s[4:5]
	v_cmp_nlt_f32_e64 s[4:5], |v19|, s0
                                        ; implicit-def: $vgpr153
	s_and_saveexec_b64 s[18:19], s[4:5]
	s_xor_b64 s[4:5], exec, s[18:19]
	s_cbranch_execz .LBB25_458
; %bb.457:                              ;   in Loop: Header=BB25_444 Depth=1
	v_add_f32_e64 v153, |v19|, |v19|
	v_mul_f32_e32 v154, 0x3fb8aa3b, v153
	v_rndne_f32_e32 v155, v154
	v_sub_f32_e32 v156, v154, v155
	v_fma_f32 v154, v153, s12, -v154
	v_fmac_f32_e32 v154, 0x32a5705f, v153
	v_add_f32_e32 v154, v156, v154
	v_cvt_i32_f32_e32 v155, v155
	v_exp_f32_e32 v154, v154
	v_cmp_ngt_f32_e32 vcc, s13, v153
	v_ldexp_f32 v154, v154, v155
	v_cndmask_b32_e32 v154, 0, v154, vcc
	v_cmp_nlt_f32_e32 vcc, s14, v153
	v_cndmask_b32_e32 v153, v148, v154, vcc
	v_add_f32_e32 v153, 1.0, v153
	v_rcp_f32_e32 v153, v153
	v_fma_f32 v153, v153, -2.0, 1.0
.LBB25_458:                             ;   in Loop: Header=BB25_444 Depth=1
	s_andn2_saveexec_b64 s[4:5], s[4:5]
; %bb.459:                              ;   in Loop: Header=BB25_444 Depth=1
	v_mul_f32_e32 v153, v19, v19
	v_mov_b32_e32 v154, 0x3ca908c9
	v_fmac_f32_e32 v154, 0xbbbac73d, v153
	v_fma_f32 v154, v153, v154, v144
	v_fma_f32 v154, v153, v154, v145
	;; [unrolled: 1-line block ×3, first 2 shown]
	v_mul_f32_e64 v154, |v19|, v154
	v_fma_f32 v153, v153, v154, |v19|
; %bb.460:                              ;   in Loop: Header=BB25_444 Depth=1
	s_or_b64 exec, exec, s[4:5]
	v_cmp_nlt_f32_e64 s[4:5], |v20|, s0
                                        ; implicit-def: $vgpr154
	s_and_saveexec_b64 s[18:19], s[4:5]
	s_xor_b64 s[4:5], exec, s[18:19]
	s_cbranch_execz .LBB25_462
; %bb.461:                              ;   in Loop: Header=BB25_444 Depth=1
	v_add_f32_e64 v154, |v20|, |v20|
	v_mul_f32_e32 v155, 0x3fb8aa3b, v154
	v_rndne_f32_e32 v156, v155
	v_sub_f32_e32 v157, v155, v156
	v_fma_f32 v155, v154, s12, -v155
	v_fmac_f32_e32 v155, 0x32a5705f, v154
	v_add_f32_e32 v155, v157, v155
	v_cvt_i32_f32_e32 v156, v156
	v_exp_f32_e32 v155, v155
	v_cmp_ngt_f32_e32 vcc, s13, v154
	v_ldexp_f32 v155, v155, v156
	v_cndmask_b32_e32 v155, 0, v155, vcc
	v_cmp_nlt_f32_e32 vcc, s14, v154
	v_cndmask_b32_e32 v154, v148, v155, vcc
	v_add_f32_e32 v154, 1.0, v154
	v_rcp_f32_e32 v154, v154
	v_fma_f32 v154, v154, -2.0, 1.0
.LBB25_462:                             ;   in Loop: Header=BB25_444 Depth=1
	s_andn2_saveexec_b64 s[4:5], s[4:5]
; %bb.463:                              ;   in Loop: Header=BB25_444 Depth=1
	v_mul_f32_e32 v154, v20, v20
	v_mov_b32_e32 v155, 0x3ca908c9
	v_fmac_f32_e32 v155, 0xbbbac73d, v154
	v_fma_f32 v155, v154, v155, v144
	v_fma_f32 v155, v154, v155, v145
	v_fma_f32 v155, v154, v155, v146
	v_mul_f32_e64 v155, |v20|, v155
	v_fma_f32 v154, v154, v155, |v20|
; %bb.464:                              ;   in Loop: Header=BB25_444 Depth=1
	s_or_b64 exec, exec, s[4:5]
	v_cmp_nlt_f32_e64 s[4:5], |v21|, s0
                                        ; implicit-def: $vgpr155
	s_and_saveexec_b64 s[18:19], s[4:5]
	s_xor_b64 s[4:5], exec, s[18:19]
	s_cbranch_execz .LBB25_466
; %bb.465:                              ;   in Loop: Header=BB25_444 Depth=1
	v_add_f32_e64 v155, |v21|, |v21|
	v_mul_f32_e32 v156, 0x3fb8aa3b, v155
	v_rndne_f32_e32 v157, v156
	v_sub_f32_e32 v158, v156, v157
	v_fma_f32 v156, v155, s12, -v156
	v_fmac_f32_e32 v156, 0x32a5705f, v155
	v_add_f32_e32 v156, v158, v156
	v_cvt_i32_f32_e32 v157, v157
	v_exp_f32_e32 v156, v156
	v_cmp_ngt_f32_e32 vcc, s13, v155
	v_ldexp_f32 v156, v156, v157
	v_cndmask_b32_e32 v156, 0, v156, vcc
	v_cmp_nlt_f32_e32 vcc, s14, v155
	v_cndmask_b32_e32 v155, v148, v156, vcc
	v_add_f32_e32 v155, 1.0, v155
	v_rcp_f32_e32 v155, v155
	v_fma_f32 v155, v155, -2.0, 1.0
.LBB25_466:                             ;   in Loop: Header=BB25_444 Depth=1
	s_andn2_saveexec_b64 s[4:5], s[4:5]
; %bb.467:                              ;   in Loop: Header=BB25_444 Depth=1
	v_mul_f32_e32 v155, v21, v21
	v_mov_b32_e32 v156, 0x3ca908c9
	v_fmac_f32_e32 v156, 0xbbbac73d, v155
	v_fma_f32 v156, v155, v156, v144
	v_fma_f32 v156, v155, v156, v145
	;; [unrolled: 1-line block ×3, first 2 shown]
	v_mul_f32_e64 v156, |v21|, v156
	v_fma_f32 v155, v155, v156, |v21|
; %bb.468:                              ;   in Loop: Header=BB25_444 Depth=1
	s_or_b64 exec, exec, s[4:5]
	v_cmp_nlt_f32_e64 s[4:5], |v22|, s0
                                        ; implicit-def: $vgpr156
	s_and_saveexec_b64 s[18:19], s[4:5]
	s_xor_b64 s[4:5], exec, s[18:19]
	s_cbranch_execz .LBB25_470
; %bb.469:                              ;   in Loop: Header=BB25_444 Depth=1
	v_add_f32_e64 v156, |v22|, |v22|
	v_mul_f32_e32 v157, 0x3fb8aa3b, v156
	v_rndne_f32_e32 v158, v157
	v_sub_f32_e32 v159, v157, v158
	v_fma_f32 v157, v156, s12, -v157
	v_fmac_f32_e32 v157, 0x32a5705f, v156
	v_add_f32_e32 v157, v159, v157
	v_cvt_i32_f32_e32 v158, v158
	v_exp_f32_e32 v157, v157
	v_cmp_ngt_f32_e32 vcc, s13, v156
	v_ldexp_f32 v157, v157, v158
	v_cndmask_b32_e32 v157, 0, v157, vcc
	v_cmp_nlt_f32_e32 vcc, s14, v156
	v_cndmask_b32_e32 v156, v148, v157, vcc
	v_add_f32_e32 v156, 1.0, v156
	v_rcp_f32_e32 v156, v156
	v_fma_f32 v156, v156, -2.0, 1.0
.LBB25_470:                             ;   in Loop: Header=BB25_444 Depth=1
	s_andn2_saveexec_b64 s[4:5], s[4:5]
; %bb.471:                              ;   in Loop: Header=BB25_444 Depth=1
	v_mul_f32_e32 v156, v22, v22
	v_mov_b32_e32 v157, 0x3ca908c9
	v_fmac_f32_e32 v157, 0xbbbac73d, v156
	v_fma_f32 v157, v156, v157, v144
	v_fma_f32 v157, v156, v157, v145
	;; [unrolled: 1-line block ×3, first 2 shown]
	v_mul_f32_e64 v157, |v22|, v157
	v_fma_f32 v156, v156, v157, |v22|
; %bb.472:                              ;   in Loop: Header=BB25_444 Depth=1
	s_or_b64 exec, exec, s[4:5]
	v_cmp_nlt_f32_e64 s[4:5], |v23|, s0
                                        ; implicit-def: $vgpr157
	s_and_saveexec_b64 s[18:19], s[4:5]
	s_xor_b64 s[4:5], exec, s[18:19]
	s_cbranch_execz .LBB25_474
; %bb.473:                              ;   in Loop: Header=BB25_444 Depth=1
	v_add_f32_e64 v157, |v23|, |v23|
	v_mul_f32_e32 v158, 0x3fb8aa3b, v157
	v_rndne_f32_e32 v159, v158
	v_sub_f32_e32 v160, v158, v159
	v_fma_f32 v158, v157, s12, -v158
	v_fmac_f32_e32 v158, 0x32a5705f, v157
	v_add_f32_e32 v158, v160, v158
	v_cvt_i32_f32_e32 v159, v159
	v_exp_f32_e32 v158, v158
	v_cmp_ngt_f32_e32 vcc, s13, v157
	v_ldexp_f32 v158, v158, v159
	v_cndmask_b32_e32 v158, 0, v158, vcc
	v_cmp_nlt_f32_e32 vcc, s14, v157
	v_cndmask_b32_e32 v157, v148, v158, vcc
	v_add_f32_e32 v157, 1.0, v157
	v_rcp_f32_e32 v157, v157
	v_fma_f32 v157, v157, -2.0, 1.0
.LBB25_474:                             ;   in Loop: Header=BB25_444 Depth=1
	s_andn2_saveexec_b64 s[4:5], s[4:5]
; %bb.475:                              ;   in Loop: Header=BB25_444 Depth=1
	v_mul_f32_e32 v157, v23, v23
	v_mov_b32_e32 v158, 0x3ca908c9
	v_fmac_f32_e32 v158, 0xbbbac73d, v157
	v_fma_f32 v158, v157, v158, v144
	v_fma_f32 v158, v157, v158, v145
	;; [unrolled: 1-line block ×3, first 2 shown]
	v_mul_f32_e64 v158, |v23|, v158
	v_fma_f32 v157, v157, v158, |v23|
; %bb.476:                              ;   in Loop: Header=BB25_444 Depth=1
	s_or_b64 exec, exec, s[4:5]
	v_bfi_b32 v21, s15, v155, v21
	v_bfi_b32 v20, s15, v154, v20
	ds_read2_b32 v[154:155], v147 offset1:1
	v_bfi_b32 v19, s15, v153, v19
	ds_read_b32 v153, v98 offset:17408
	ds_read_b32 v158, v99 offset:17408
	v_bfi_b32 v23, s15, v157, v23
	v_bfi_b32 v22, s15, v156, v22
	s_waitcnt lgkmcnt(2)
	v_cvt_f32_f16_e32 v156, v154
	v_cvt_f32_f16_sdwa v157, v154 dst_sel:DWORD dst_unused:UNUSED_PAD src0_sel:WORD_1
	v_bfi_b32 v17, s15, v151, v17
	v_bfi_b32 v16, s15, v150, v16
	;; [unrolled: 1-line block ×3, first 2 shown]
	v_pk_fma_f32 v[150:151], v[16:17], s[34:35], v[156:157]
	s_waitcnt lgkmcnt(0)
	v_cvt_f32_f16_sdwa v17, v158 dst_sel:DWORD dst_unused:UNUSED_PAD src0_sel:WORD_1
	v_cvt_f32_f16_e32 v16, v158
	v_add_f32_e32 v152, 0x40051340, v150
	v_add_f32_e32 v154, 0x40051340, v151
	v_max3_f32 v154, v77, v152, v154
	v_pk_fma_f32 v[16:17], v[22:23], s[34:35], v[16:17]
	v_cvt_f32_f16_sdwa v23, v153 dst_sel:DWORD dst_unused:UNUSED_PAD src0_sel:WORD_1
	v_cvt_f32_f16_e32 v22, v153
	v_cvt_f32_f16_e32 v152, v155
	v_cvt_f32_f16_sdwa v153, v155 dst_sel:DWORD dst_unused:UNUSED_PAD src0_sel:WORD_1
	v_add_f32_e32 v156, 0x40051340, v16
	v_pk_fma_f32 v[22:23], v[20:21], s[34:35], v[22:23]
	v_add_f32_e32 v20, 0x40051340, v22
	v_pk_fma_f32 v[18:19], v[18:19], s[34:35], v[152:153]
	v_add_f32_e32 v152, 0x40051340, v18
	v_add_f32_e32 v153, 0x40051340, v19
	;; [unrolled: 1-line block ×3, first 2 shown]
	v_max3_f32 v152, v154, v152, v153
	v_add_f32_e32 v157, 0x40051340, v17
	v_max3_f32 v20, v152, v20, v21
	v_max3_f32 v20, v20, v156, v157
	ds_bpermute_b32 v21, v100, v20
	s_mul_hi_i32 s5, s2, s30
	s_mul_i32 s4, s2, s30
	s_lshl_b64 s[4:5], s[4:5], 2
	s_add_u32 s3, s6, s4
	s_waitcnt lgkmcnt(0)
	v_max_f32_e32 v21, v21, v21
	v_max_f32_e32 v20, v20, v21
	ds_bpermute_b32 v21, v101, v20
	s_addc_u32 s4, s7, s5
	s_add_i32 s76, s76, 1
	s_add_i32 s2, s2, 64
	s_waitcnt lgkmcnt(0)
	v_max_f32_e32 v21, v21, v21
	v_max_f32_e32 v20, v20, v21
	v_pk_add_f32 v[150:151], v[150:151], v[20:21] op_sel_hi:[1,0] neg_lo:[0,1] neg_hi:[0,1]
	v_mul_f32_e32 v21, 0x3fb8aa3b, v151
	v_fma_f32 v152, v151, s12, -v21
	v_rndne_f32_e32 v153, v21
	v_fmac_f32_e32 v152, 0x32a5705f, v151
	v_sub_f32_e32 v21, v21, v153
	v_add_f32_e32 v21, v21, v152
	v_exp_f32_e32 v21, v21
	v_cvt_i32_f32_e32 v152, v153
	v_cmp_ngt_f32_e32 vcc, s13, v151
	v_ldexp_f32 v21, v21, v152
	v_mul_f32_e32 v152, 0x3fb8aa3b, v150
	v_fma_f32 v153, v150, s12, -v152
	v_rndne_f32_e32 v154, v152
	v_fmac_f32_e32 v153, 0x32a5705f, v150
	v_sub_f32_e32 v152, v152, v154
	v_add_f32_e32 v152, v152, v153
	v_exp_f32_e32 v152, v152
	v_cvt_i32_f32_e32 v153, v154
	v_cndmask_b32_e32 v21, 0, v21, vcc
	v_cmp_nlt_f32_e32 vcc, s14, v151
	v_cndmask_b32_e32 v21, v148, v21, vcc
	v_pk_add_f32 v[18:19], v[18:19], v[20:21] op_sel_hi:[1,0] neg_lo:[0,1] neg_hi:[0,1]
	v_ldexp_f32 v151, v152, v153
	v_mul_f32_e32 v152, 0x3fb8aa3b, v19
	v_fma_f32 v153, v19, s12, -v152
	v_rndne_f32_e32 v154, v152
	v_fmac_f32_e32 v153, 0x32a5705f, v19
	v_sub_f32_e32 v152, v152, v154
	v_add_f32_e32 v152, v152, v153
	v_exp_f32_e32 v152, v152
	v_cvt_i32_f32_e32 v153, v154
	v_cmp_ngt_f32_e32 vcc, s13, v150
	v_cndmask_b32_e32 v151, 0, v151, vcc
	v_cmp_nlt_f32_e32 vcc, s14, v150
	v_cndmask_b32_e32 v166, v148, v151, vcc
	v_mul_f32_e32 v151, 0x3fb8aa3b, v18
	v_ldexp_f32 v150, v152, v153
	v_fma_f32 v152, v18, s12, -v151
	v_rndne_f32_e32 v153, v151
	v_fmac_f32_e32 v152, 0x32a5705f, v18
	v_sub_f32_e32 v151, v151, v153
	v_add_f32_e32 v151, v151, v152
	v_exp_f32_e32 v151, v151
	v_cvt_i32_f32_e32 v152, v153
	v_cmp_ngt_f32_e32 vcc, s13, v19
	v_cndmask_b32_e32 v150, 0, v150, vcc
	v_cmp_nlt_f32_e32 vcc, s14, v19
	v_pk_add_f32 v[22:23], v[22:23], v[20:21] op_sel_hi:[1,0] neg_lo:[0,1] neg_hi:[0,1]
	v_cndmask_b32_e32 v167, v148, v150, vcc
	v_mul_f32_e32 v150, 0x3fb8aa3b, v23
	v_ldexp_f32 v19, v151, v152
	v_fma_f32 v151, v23, s12, -v150
	v_rndne_f32_e32 v152, v150
	v_fmac_f32_e32 v151, 0x32a5705f, v23
	v_sub_f32_e32 v150, v150, v152
	v_add_f32_e32 v150, v150, v151
	v_exp_f32_e32 v150, v150
	v_cvt_i32_f32_e32 v151, v152
	v_cmp_ngt_f32_e32 vcc, s13, v18
	v_cndmask_b32_e32 v19, 0, v19, vcc
	v_cmp_nlt_f32_e32 vcc, s14, v18
	v_cndmask_b32_e32 v168, v148, v19, vcc
	v_mul_f32_e32 v19, 0x3fb8aa3b, v22
	v_ldexp_f32 v18, v150, v151
	v_fma_f32 v150, v22, s12, -v19
	v_rndne_f32_e32 v151, v19
	v_fmac_f32_e32 v150, 0x32a5705f, v22
	v_sub_f32_e32 v19, v19, v151
	v_add_f32_e32 v19, v19, v150
	v_exp_f32_e32 v19, v19
	v_cvt_i32_f32_e32 v150, v151
	v_cmp_ngt_f32_e32 vcc, s13, v23
	v_cndmask_b32_e32 v18, 0, v18, vcc
	v_cmp_nlt_f32_e32 vcc, s14, v23
	v_cndmask_b32_e32 v169, v148, v18, vcc
	v_ldexp_f32 v23, v19, v150
	v_mov_b32_e32 v18, s4
	v_add_co_u32_e32 v19, vcc, s3, v38
	v_addc_co_u32_e32 v150, vcc, v18, v39, vcc
	v_add_co_u32_e32 v18, vcc, v19, v142
	v_addc_co_u32_e32 v19, vcc, 0, v150, vcc
	v_mov_b32_e32 v150, s4
	v_add_co_u32_e32 v151, vcc, s3, v40
	v_addc_co_u32_e32 v150, vcc, v150, v41, vcc
	v_add_co_u32_e32 v154, vcc, v151, v142
	v_addc_co_u32_e32 v155, vcc, 0, v150, vcc
	;; [unrolled: 5-line block ×4, first 2 shown]
	global_load_dwordx4 v[150:153], v[18:19], off
	s_nop 0
	global_load_dwordx4 v[154:157], v[154:155], off
	s_nop 0
	;; [unrolled: 2-line block ×3, first 2 shown]
	global_load_dwordx4 v[162:165], v[162:163], off
	v_pk_add_f32 v[16:17], v[16:17], v[20:21] op_sel_hi:[1,0] neg_lo:[0,1] neg_hi:[0,1]
	v_mul_f32_e32 v18, 0x3fb8aa3b, v17
	v_fma_f32 v19, v17, s12, -v18
	v_rndne_f32_e32 v170, v18
	v_fmac_f32_e32 v19, 0x32a5705f, v17
	v_sub_f32_e32 v18, v18, v170
	v_add_f32_e32 v18, v18, v19
	v_exp_f32_e32 v18, v18
	v_cvt_i32_f32_e32 v19, v170
	v_cmp_ngt_f32_e32 vcc, s13, v22
	v_cndmask_b32_e32 v23, 0, v23, vcc
	v_cmp_nlt_f32_e32 vcc, s14, v22
	v_ldexp_f32 v18, v18, v19
	v_mul_f32_e32 v19, 0x3fb8aa3b, v16
	v_cndmask_b32_e32 v170, v148, v23, vcc
	v_fma_f32 v22, v16, s12, -v19
	v_rndne_f32_e32 v23, v19
	v_fmac_f32_e32 v22, 0x32a5705f, v16
	v_sub_f32_e32 v19, v19, v23
	v_add_f32_e32 v19, v19, v22
	v_exp_f32_e32 v19, v19
	v_cvt_i32_f32_e32 v22, v23
	v_cmp_ngt_f32_e32 vcc, s13, v17
	v_cndmask_b32_e32 v18, 0, v18, vcc
	v_cmp_nlt_f32_e32 vcc, s14, v17
	v_cndmask_b32_e32 v171, v148, v18, vcc
	v_ldexp_f32 v17, v19, v22
	v_cmp_ngt_f32_e32 vcc, s13, v16
	v_cndmask_b32_e32 v17, 0, v17, vcc
	v_cmp_nlt_f32_e32 vcc, s14, v16
	v_cndmask_b32_e32 v172, v148, v17, vcc
	v_sub_f32_e32 v17, v77, v20
	v_mul_f32_e32 v18, 0x3fb8aa3b, v17
	v_fma_f32 v19, v17, s12, -v18
	v_rndne_f32_e32 v22, v18
	v_fmac_f32_e32 v19, 0x32a5705f, v17
	v_sub_f32_e32 v18, v18, v22
	v_add_f32_e32 v18, v18, v19
	v_exp_f32_e32 v18, v18
	v_cvt_i32_f32_e32 v19, v22
	v_cmp_ngt_f32_e32 vcc, s13, v17
	v_add_f32_e32 v16, v166, v21
	v_add_f32_e32 v16, v168, v16
	v_ldexp_f32 v18, v18, v19
	v_cndmask_b32_e32 v18, 0, v18, vcc
	v_cmp_nlt_f32_e32 vcc, s14, v17
	v_cndmask_b32_e32 v18, v148, v18, vcc
	v_cmp_le_f32_e32 vcc, s16, v17
	v_add_f32_e32 v16, v167, v16
	v_cndmask_b32_e32 v17, 0, v18, vcc
	v_add_f32_e32 v16, v170, v16
	v_cvt_f16_f32_e32 v173, v17
	v_add_f32_e32 v16, v169, v16
	v_add_f32_e32 v16, v172, v16
	;; [unrolled: 1-line block ×3, first 2 shown]
	v_fmac_f32_e32 v77, v149, v17
	v_pk_mul_f16 v149, v173, v60 op_sel_hi:[0,1]
	v_cvt_f16_f32_e32 v23, v167
	v_cvt_f16_f32_e32 v60, v168
	v_cvt_f16_f32_e32 v16, v166
	v_cvt_f16_f32_e32 v18, v21
	v_pk_mul_f16 v19, v173, v78 op_sel_hi:[0,1]
	v_pk_mul_f16 v78, v173, v80 op_sel_hi:[0,1]
	;; [unrolled: 1-line block ×5, first 2 shown]
	v_pack_b32_f16 v23, v60, v23
	s_waitcnt vmcnt(3)
	ds_write_b128 v94, v[150:153]
	s_waitcnt vmcnt(2)
	ds_write_b128 v95, v[154:157]
	;; [unrolled: 2-line block ×4, first 2 shown]
	s_waitcnt lgkmcnt(0)
	s_barrier
	ds_read_u16 v60, v103 offset:544
	ds_read_u16 v61, v104
	ds_read_u16 v63, v104 offset:32
	ds_read_u16 v72, v104 offset:64
	;; [unrolled: 1-line block ×4, first 2 shown]
	v_pk_mul_f16 v174, v173, v64 op_sel_hi:[0,1]
	v_pk_mul_f16 v166, v173, v65 op_sel_hi:[0,1]
	s_waitcnt lgkmcnt(4)
	v_perm_b32 v61, v61, v60, s17
	ds_read_u16 v60, v103 offset:272
	ds_read_u16 v64, v102 offset:8704
	ds_read_u16 v65, v102
	ds_read_u16 v150, v102 offset:32
	ds_read_u16 v151, v102 offset:64
	;; [unrolled: 1-line block ×7, first 2 shown]
	v_pk_mul_f16 v17, v173, v79 op_sel_hi:[0,1]
	s_waitcnt lgkmcnt(7)
	v_perm_b32 v60, v60, v65, s17
	v_pack_b32_f16 v22, v16, v18
	v_cvt_f32_f16_e32 v16, v17
	v_cvt_f32_f16_sdwa v17, v17 dst_sel:DWORD dst_unused:UNUSED_PAD src0_sel:WORD_1
	v_cvt_f32_f16_e32 v18, v19
	v_cvt_f32_f16_sdwa v19, v19 dst_sel:DWORD dst_unused:UNUSED_PAD src0_sel:WORD_1
	v_pk_mul_f16 v79, v173, v62 op_sel_hi:[0,1]
	v_cvt_f16_f32_e32 v62, v169
	v_mfma_f32_16x16x16f16 v[16:19], v[60:61], v[22:23], v[16:19]
	ds_read_u16 v60, v105 offset:544
	ds_read_u16 v162, v106 offset:272
	;; [unrolled: 1-line block ×5, first 2 shown]
	v_cvt_f16_f32_e32 v65, v170
	v_cvt_f16_f32_e32 v152, v171
	;; [unrolled: 1-line block ×3, first 2 shown]
	ds_read_u16 v164, v104 offset:160
	ds_read_u16 v165, v104 offset:192
	;; [unrolled: 1-line block ×3, first 2 shown]
	s_waitcnt lgkmcnt(3)
	v_perm_b32 v61, v61, v60, s17
	v_perm_b32 v60, v154, v64, s17
	v_cvt_f16_f32_e32 v16, v16
	v_cvt_f16_f32_e32 v17, v17
	;; [unrolled: 1-line block ×4, first 2 shown]
	v_cvt_f32_f16_e32 v16, v16
	v_cvt_f32_f16_e32 v17, v17
	;; [unrolled: 1-line block ×4, first 2 shown]
	v_pack_b32_f16 v154, v65, v62
	v_pack_b32_f16 v155, v155, v152
	v_perm_b32 v65, v63, v163, s17
	v_perm_b32 v64, v162, v150, s17
	v_mfma_f32_16x16x16f16 v[16:19], v[60:61], v[154:155], v[16:19]
	v_cvt_f32_f16_e32 v60, v78
	v_cvt_f32_f16_sdwa v61, v78 dst_sel:DWORD dst_unused:UNUSED_PAD src0_sel:WORD_1
	v_cvt_f32_f16_e32 v62, v79
	v_cvt_f32_f16_sdwa v63, v79 dst_sel:DWORD dst_unused:UNUSED_PAD src0_sel:WORD_1
	v_pk_mul_f16 v162, v173, v53 op_sel_hi:[0,1]
	v_pk_mul_f16 v163, v173, v52 op_sel_hi:[0,1]
	;; [unrolled: 1-line block ×3, first 2 shown]
	v_mfma_f32_16x16x16f16 v[60:63], v[64:65], v[22:23], v[60:63]
	s_nop 2
	v_cvt_f16_f32_e32 v78, v16
	v_pk_mul_f16 v66, v173, v66 op_sel_hi:[0,1]
	v_cvt_f16_f32_e32 v168, v18
	v_cvt_f16_f32_e32 v169, v19
	v_pk_mul_f16 v68, v173, v68 op_sel_hi:[0,1]
	v_pk_mul_f16 v54, v173, v54 op_sel_hi:[0,1]
	v_cmp_lt_i32_e32 vcc, s76, v90
	s_nop 0
	v_cvt_f16_f32_e32 v16, v60
	v_cvt_f16_f32_e32 v52, v61
	;; [unrolled: 1-line block ×4, first 2 shown]
	v_cvt_f32_f16_e32 v60, v16
	v_cvt_f32_f16_e32 v61, v52
	;; [unrolled: 1-line block ×3, first 2 shown]
	ds_read_u16 v16, v107 offset:8704
	ds_read_u16 v52, v108 offset:272
	;; [unrolled: 1-line block ×8, first 2 shown]
	s_waitcnt lgkmcnt(4)
	v_perm_b32 v53, v64, v53, s17
	v_perm_b32 v52, v52, v16, s17
	v_cvt_f32_f16_e32 v63, v63
	v_cvt_f16_f32_e32 v64, v17
	s_and_b64 vcc, exec, vcc
	v_mfma_f32_16x16x16f16 v[16:19], v[52:53], v[154:155], v[60:63]
	s_waitcnt lgkmcnt(2)
	v_perm_b32 v53, v72, v79, s17
	v_perm_b32 v52, v65, v151, s17
	v_pack_b32_f16 v79, v78, v64
	v_pack_b32_f16 v78, v168, v169
	s_nop 1
	v_cvt_f32_f16_e32 v60, v70
	v_cvt_f32_f16_sdwa v61, v70 dst_sel:DWORD dst_unused:UNUSED_PAD src0_sel:WORD_1
	v_cvt_f32_f16_e32 v62, v66
	v_cvt_f32_f16_sdwa v63, v66 dst_sel:DWORD dst_unused:UNUSED_PAD src0_sel:WORD_1
	v_cvt_f16_f32_e32 v64, v16
	v_cvt_f16_f32_e32 v170, v17
	v_mfma_f32_16x16x16f16 v[60:63], v[52:53], v[22:23], v[60:63]
	v_cvt_f16_f32_e32 v171, v18
	v_cvt_f16_f32_e32 v172, v19
	v_cvt_f32_f16_sdwa v151, v80 dst_sel:DWORD dst_unused:UNUSED_PAD src0_sel:WORD_1
	s_nop 7
	v_cvt_f16_f32_e32 v16, v60
	v_cvt_f16_f32_e32 v52, v61
	;; [unrolled: 1-line block ×4, first 2 shown]
	v_cvt_f32_f16_e32 v60, v16
	v_cvt_f32_f16_e32 v61, v52
	ds_read_u16 v16, v114 offset:544
	ds_read_u16 v52, v115 offset:8704
	;; [unrolled: 1-line block ×8, first 2 shown]
	v_cvt_f32_f16_e32 v62, v53
	s_waitcnt lgkmcnt(6)
	v_perm_b32 v53, v52, v16, s17
	v_perm_b32 v52, v152, v150, s17
	v_cvt_f32_f16_e32 v63, v63
	v_cvt_f32_f16_e32 v150, v80
	;; [unrolled: 1-line block ×3, first 2 shown]
	v_mfma_f32_16x16x16f16 v[16:19], v[52:53], v[154:155], v[60:63]
	s_waitcnt lgkmcnt(4)
	v_perm_b32 v53, v153, v66, s17
	v_perm_b32 v52, v65, v157, s17
	v_cvt_f32_f16_sdwa v153, v149 dst_sel:DWORD dst_unused:UNUSED_PAD src0_sel:WORD_1
	v_pack_b32_f16 v80, v64, v170
	s_nop 1
	v_pack_b32_f16 v62, v171, v172
	s_nop 2
	v_cvt_f16_f32_e32 v60, v16
	v_mfma_f32_16x16x16f16 v[150:153], v[52:53], v[22:23], v[150:153]
	v_cvt_f16_f32_e32 v63, v18
	v_cvt_f16_f32_e32 v64, v19
	v_pack_b32_f16 v66, v63, v64
	s_nop 7
	v_cvt_f16_f32_e32 v52, v151
	v_cvt_f16_f32_e32 v53, v152
	;; [unrolled: 1-line block ×4, first 2 shown]
	v_cvt_f32_f16_e32 v151, v52
	v_cvt_f32_f16_e32 v152, v53
	s_waitcnt lgkmcnt(0)
	v_perm_b32 v53, v169, v168, s17
	v_perm_b32 v52, v72, v70, s17
	v_cvt_f32_f16_e32 v150, v16
	v_cvt_f32_f16_e32 v153, v61
	v_cvt_f16_f32_e32 v61, v17
	v_pack_b32_f16 v70, v60, v61
	v_mfma_f32_16x16x16f16 v[16:19], v[52:53], v[154:155], v[150:153]
	ds_read_u16 v52, v121 offset:272
	ds_read_u16 v53, v121 offset:544
	;; [unrolled: 1-line block ×8, first 2 shown]
	s_waitcnt lgkmcnt(6)
	v_perm_b32 v53, v156, v53, s17
	v_perm_b32 v52, v52, v158, s17
	v_cvt_f32_f16_e32 v150, v174
	v_cvt_f32_f16_sdwa v151, v174 dst_sel:DWORD dst_unused:UNUSED_PAD src0_sel:WORD_1
	v_cvt_f32_f16_e32 v152, v175
	v_cvt_f32_f16_sdwa v153, v175 dst_sel:DWORD dst_unused:UNUSED_PAD src0_sel:WORD_1
	v_cvt_f16_f32_e32 v60, v16
	v_cvt_f16_f32_e32 v63, v18
	v_mfma_f32_16x16x16f16 v[150:153], v[52:53], v[22:23], v[150:153]
	v_cvt_f16_f32_e32 v64, v19
	s_nop 7
	s_nop 1
	v_cvt_f16_f32_e32 v52, v151
	v_cvt_f16_f32_e32 v53, v152
	;; [unrolled: 1-line block ×4, first 2 shown]
	v_cvt_f32_f16_e32 v151, v52
	v_cvt_f32_f16_e32 v152, v53
	s_waitcnt lgkmcnt(2)
	v_perm_b32 v53, v157, v149, s17
	v_perm_b32 v52, v72, v65, s17
	v_cvt_f32_f16_e32 v150, v16
	v_cvt_f32_f16_e32 v153, v61
	v_cvt_f16_f32_e32 v61, v17
	v_pack_b32_f16 v61, v60, v61
	v_mfma_f32_16x16x16f16 v[16:19], v[52:53], v[154:155], v[150:153]
	s_waitcnt lgkmcnt(0)
	v_perm_b32 v53, v164, v169, s17
	v_perm_b32 v52, v168, v159, s17
	v_pack_b32_f16 v60, v63, v64
	s_nop 2
	v_cvt_f32_f16_e32 v150, v68
	v_cvt_f32_f16_sdwa v151, v68 dst_sel:DWORD dst_unused:UNUSED_PAD src0_sel:WORD_1
	v_cvt_f32_f16_e32 v152, v166
	v_cvt_f32_f16_sdwa v153, v166 dst_sel:DWORD dst_unused:UNUSED_PAD src0_sel:WORD_1
	v_cvt_f16_f32_e32 v63, v16
	v_cvt_f16_f32_e32 v157, v19
	v_mfma_f32_16x16x16f16 v[150:153], v[52:53], v[22:23], v[150:153]
	s_nop 7
	s_nop 2
	v_cvt_f16_f32_e32 v16, v150
	v_cvt_f16_f32_e32 v52, v151
	;; [unrolled: 1-line block ×4, first 2 shown]
	v_cvt_f32_f16_e32 v150, v16
	v_cvt_f32_f16_e32 v151, v52
	;; [unrolled: 1-line block ×3, first 2 shown]
	ds_read_u16 v16, v127 offset:8704
	ds_read_u16 v52, v128 offset:272
	;; [unrolled: 1-line block ×8, first 2 shown]
	s_waitcnt lgkmcnt(4)
	v_perm_b32 v53, v65, v53, s17
	v_perm_b32 v52, v52, v16, s17
	v_cvt_f32_f16_e32 v153, v64
	v_cvt_f16_f32_e32 v64, v17
	v_cvt_f16_f32_e32 v65, v18
	v_mfma_f32_16x16x16f16 v[16:19], v[52:53], v[154:155], v[150:153]
	s_waitcnt lgkmcnt(2)
	v_perm_b32 v53, v165, v72, s17
	v_perm_b32 v52, v68, v160, s17
	v_pack_b32_f16 v64, v63, v64
	v_pack_b32_f16 v63, v65, v157
	s_nop 1
	v_cvt_f32_f16_e32 v150, v21
	v_cvt_f32_f16_sdwa v151, v21 dst_sel:DWORD dst_unused:UNUSED_PAD src0_sel:WORD_1
	v_cvt_f32_f16_e32 v152, v54
	v_cvt_f32_f16_sdwa v153, v54 dst_sel:DWORD dst_unused:UNUSED_PAD src0_sel:WORD_1
	v_cvt_f16_f32_e32 v21, v16
	s_nop 0
	v_mfma_f32_16x16x16f16 v[150:153], v[52:53], v[22:23], v[150:153]
	s_nop 7
	s_nop 2
	v_cvt_f16_f32_e32 v16, v150
	v_cvt_f16_f32_e32 v52, v151
	;; [unrolled: 1-line block ×4, first 2 shown]
	v_cvt_f32_f16_e32 v150, v16
	v_cvt_f32_f16_e32 v151, v52
	ds_read_u16 v16, v134 offset:544
	ds_read_u16 v52, v135 offset:8704
	;; [unrolled: 1-line block ×8, first 2 shown]
	v_cvt_f32_f16_e32 v152, v53
	s_waitcnt lgkmcnt(6)
	v_perm_b32 v53, v52, v16, s17
	v_perm_b32 v52, v156, v149, s17
	v_cvt_f32_f16_e32 v153, v54
	v_cvt_f16_f32_e32 v54, v17
	v_cvt_f16_f32_e32 v149, v18
	;; [unrolled: 1-line block ×3, first 2 shown]
	v_mfma_f32_16x16x16f16 v[16:19], v[52:53], v[154:155], v[150:153]
	s_waitcnt lgkmcnt(4)
	v_perm_b32 v53, v167, v68, s17
	v_perm_b32 v52, v65, v161, s17
	v_pack_b32_f16 v68, v21, v54
	v_pack_b32_f16 v65, v149, v156
	s_waitcnt lgkmcnt(0)
	s_nop 0
	v_cvt_f32_f16_e32 v150, v162
	v_cvt_f32_f16_sdwa v151, v162 dst_sel:DWORD dst_unused:UNUSED_PAD src0_sel:WORD_1
	v_cvt_f32_f16_e32 v152, v163
	v_cvt_f32_f16_sdwa v153, v163 dst_sel:DWORD dst_unused:UNUSED_PAD src0_sel:WORD_1
	v_cvt_f16_f32_e32 v21, v16
	v_cvt_f16_f32_e32 v54, v19
	v_mfma_f32_16x16x16f16 v[150:153], v[52:53], v[22:23], v[150:153]
	v_cvt_f16_f32_e32 v53, v18
	s_barrier
	v_pack_b32_f16 v54, v53, v54
	s_nop 7
	v_cvt_f16_f32_e32 v22, v151
	v_cvt_f16_f32_e32 v23, v152
	;; [unrolled: 1-line block ×4, first 2 shown]
	v_cvt_f32_f16_e32 v151, v22
	v_cvt_f32_f16_e32 v152, v23
	v_perm_b32 v23, v159, v158, s17
	v_perm_b32 v22, v157, v72, s17
	v_cvt_f32_f16_e32 v150, v16
	v_cvt_f32_f16_e32 v153, v52
	v_cvt_f16_f32_e32 v52, v17
	v_pack_b32_f16 v72, v21, v52
	v_mfma_f32_16x16x16f16 v[16:19], v[22:23], v[154:155], v[150:153]
	s_nop 7
	s_nop 2
	v_cvt_f16_f32_e32 v16, v16
	v_cvt_f16_f32_e32 v17, v17
	;; [unrolled: 1-line block ×4, first 2 shown]
	v_pack_b32_f16 v53, v16, v17
	v_pack_b32_f16 v52, v18, v19
	s_cbranch_vccz .LBB25_478
; %bb.477:                              ;   in Loop: Header=BB25_444 Depth=1
	v_mov_b32_e32 v149, v77
	v_mov_b32_e32 v77, v20
	s_branch .LBB25_444
.LBB25_478:
	s_lshl_b32 s2, s76, 6
	s_ashr_i32 s3, s2, 31
	s_lshl_b64 s[4:5], s[2:3], 1
	s_add_u32 s0, s10, s4
	s_addc_u32 s4, s11, s5
	v_mov_b32_e32 v16, s4
	v_add_co_u32_e32 v21, vcc, s0, v91
	s_mul_i32 s0, s40, s3
	s_mul_hi_u32 s3, s40, s2
	v_addc_co_u32_e32 v22, vcc, 0, v16, vcc
	v_lshlrev_b64 v[16:17], 1, v[26:27]
	s_add_i32 s0, s3, s0
	s_mul_i32 s1, s1, s2
	v_add_co_u32_e32 v16, vcc, v21, v16
	s_add_i32 s1, s0, s1
	s_mul_i32 s0, s40, s2
	v_addc_co_u32_e32 v17, vcc, v22, v17, vcc
	v_lshlrev_b64 v[18:19], 1, v[28:29]
	s_lshl_b64 s[0:1], s[0:1], 2
	v_add_co_u32_e32 v18, vcc, v21, v18
	s_add_u32 s0, s8, s0
	v_addc_co_u32_e32 v19, vcc, v22, v19, vcc
	global_load_dword v42, v[16:17], off
	global_load_dword v43, v[18:19], off
	s_addc_u32 s1, s9, s1
	v_lshlrev_b64 v[16:17], 2, v[30:31]
	v_mov_b32_e32 v18, s1
	v_add_co_u32_e32 v19, vcc, s0, v16
	v_addc_co_u32_e32 v21, vcc, v18, v17, vcc
	v_lshlrev_b64 v[16:17], 2, v[24:25]
	v_add_co_u32_e32 v18, vcc, v19, v16
	v_addc_co_u32_e32 v19, vcc, v21, v17, vcc
	v_lshlrev_b64 v[22:23], 2, v[32:33]
	v_mov_b32_e32 v21, s1
	v_add_co_u32_e32 v22, vcc, s0, v22
	v_addc_co_u32_e32 v21, vcc, v21, v23, vcc
	v_add_co_u32_e32 v22, vcc, v22, v16
	v_addc_co_u32_e32 v23, vcc, v21, v17, vcc
	global_load_dwordx4 v[26:29], v[18:19], off
	global_load_dwordx4 v[30:33], v[22:23], off
	v_lshlrev_b64 v[18:19], 2, v[34:35]
	v_mov_b32_e32 v21, s1
	v_add_co_u32_e32 v18, vcc, s0, v18
	v_addc_co_u32_e32 v19, vcc, v21, v19, vcc
	v_add_co_u32_e32 v18, vcc, v18, v16
	v_addc_co_u32_e32 v19, vcc, v19, v17, vcc
	v_lshlrev_b64 v[22:23], 2, v[36:37]
	v_add_co_u32_e32 v22, vcc, s0, v22
	v_addc_co_u32_e32 v21, vcc, v21, v23, vcc
	v_add_co_u32_e32 v22, vcc, v22, v16
	v_addc_co_u32_e32 v23, vcc, v21, v17, vcc
	global_load_dwordx4 v[34:37], v[18:19], off
	global_load_dwordx4 v[38:41], v[22:23], off
	v_add_u32_e32 v18, 0, v91
	v_lshlrev_b32_e32 v22, 2, v24
	v_add_u32_e32 v23, v18, v83
	v_add_u32_e32 v24, v18, v84
	v_add3_u32 v18, 0, v85, v22
	v_add3_u32 v19, 0, v86, v22
	;; [unrolled: 1-line block ×4, first 2 shown]
	s_mov_b32 s0, 0x3f200000
	s_waitcnt vmcnt(5)
	ds_write_b32 v23, v42 offset:17408
	s_waitcnt vmcnt(4)
	ds_write_b32 v24, v43 offset:17408
	s_waitcnt vmcnt(3)
	ds_write_b128 v18, v[26:29]
	s_waitcnt vmcnt(2)
	ds_write_b128 v19, v[30:33]
	;; [unrolled: 2-line block ×4, first 2 shown]
	v_add_u32_e32 v23, 0, v81
	v_add3_u32 v23, v23, v82, v89
	v_add_u32_e32 v40, 0x2000, v23
	s_waitcnt lgkmcnt(0)
	s_barrier
	ds_read2_b64 v[24:27], v23 offset1:4
	ds_read2_b64 v[32:35], v40 offset0:64 offset1:68
	s_waitcnt lgkmcnt(1)
	v_mfma_f32_16x16x16f16 v[28:31], v[24:25], v[12:13], 0
	s_waitcnt lgkmcnt(0)
	v_mfma_f32_16x16x16f16 v[36:39], v[32:33], v[12:13], 0
	v_mfma_f32_16x16x16f16 v[24:27], v[26:27], v[14:15], v[28:31]
	;; [unrolled: 1-line block ×3, first 2 shown]
	s_nop 6
	ds_read2_b64 v[28:31], v23 offset0:8 offset1:12
	ds_read2_b64 v[32:35], v40 offset0:72 offset1:76
	s_waitcnt lgkmcnt(1)
	v_mfma_f32_16x16x16f16 v[24:27], v[28:29], v[8:9], v[24:27]
	s_waitcnt lgkmcnt(0)
	v_mfma_f32_16x16x16f16 v[12:15], v[32:33], v[8:9], v[12:15]
	v_mfma_f32_16x16x16f16 v[24:27], v[30:31], v[10:11], v[24:27]
	ds_read2_b64 v[28:31], v40 offset0:80 offset1:84
	v_mfma_f32_16x16x16f16 v[8:11], v[34:35], v[10:11], v[12:15]
	s_nop 7
	ds_read2_b64 v[12:15], v23 offset0:16 offset1:20
	s_waitcnt lgkmcnt(0)
	v_mfma_f32_16x16x16f16 v[24:27], v[12:13], v[4:5], v[24:27]
	v_mfma_f32_16x16x16f16 v[8:11], v[28:29], v[4:5], v[8:11]
	;; [unrolled: 1-line block ×4, first 2 shown]
	s_nop 7
	ds_read2_b64 v[24:27], v40 offset0:88 offset1:92
	ds_read2_b64 v[8:11], v23 offset0:24 offset1:28
	s_waitcnt lgkmcnt(0)
	v_mfma_f32_16x16x16f16 v[12:15], v[8:9], v[0:1], v[12:15]
	s_barrier
	s_waitcnt lgkmcnt(0)
                                        ; implicit-def: $vgpr8
	v_mfma_f32_16x16x16f16 v[28:31], v[24:25], v[0:1], v[4:7]
	v_mfma_f32_16x16x16f16 v[4:7], v[10:11], v[2:3], v[12:15]
	v_mfma_f32_16x16x16f16 v[0:3], v[26:27], v[2:3], v[28:31]
	s_nop 7
	s_nop 1
	v_cmp_nlt_f32_e64 s[0:1], |v4|, s0
	s_and_saveexec_b64 s[4:5], s[0:1]
	s_xor_b64 s[0:1], exec, s[4:5]
	s_cbranch_execz .LBB25_480
; %bb.479:
	v_add_f32_e64 v8, |v4|, |v4|
	v_mul_f32_e32 v9, 0x3fb8aa3b, v8
	s_mov_b32 s3, 0x3fb8aa3b
	v_rndne_f32_e32 v10, v9
	v_sub_f32_e32 v11, v9, v10
	v_fma_f32 v9, v8, s3, -v9
	v_fmac_f32_e32 v9, 0x32a5705f, v8
	v_add_f32_e32 v9, v11, v9
	v_exp_f32_e32 v9, v9
	v_cvt_i32_f32_e32 v10, v10
	s_mov_b32 s3, 0xc2ce8ed0
	v_cmp_ngt_f32_e32 vcc, s3, v8
	s_mov_b32 s3, 0x42b17218
	v_ldexp_f32 v9, v9, v10
	v_cndmask_b32_e32 v9, 0, v9, vcc
	v_mov_b32_e32 v10, 0x7f800000
	v_cmp_nlt_f32_e32 vcc, s3, v8
	v_cndmask_b32_e32 v8, v10, v9, vcc
	v_add_f32_e32 v8, 1.0, v8
	v_rcp_f32_e32 v8, v8
	v_fma_f32 v8, v8, -2.0, 1.0
.LBB25_480:
	s_andn2_saveexec_b64 s[0:1], s[0:1]
; %bb.481:
	v_mul_f32_e32 v8, v4, v4
	v_mov_b32_e32 v9, 0x3ca908c9
	v_fmac_f32_e32 v9, 0xbbbac73d, v8
	v_mov_b32_e32 v10, 0xbd5c1c4e
	v_fmac_f32_e32 v10, v8, v9
	;; [unrolled: 2-line block ×4, first 2 shown]
	v_mul_f32_e64 v9, |v4|, v10
	v_fma_f32 v8, v8, v9, |v4|
; %bb.482:
	s_or_b64 exec, exec, s[0:1]
	s_mov_b32 s0, 0x3f200000
	v_cmp_nlt_f32_e64 s[0:1], |v5|, s0
                                        ; implicit-def: $vgpr9
	s_and_saveexec_b64 s[4:5], s[0:1]
	s_xor_b64 s[0:1], exec, s[4:5]
	s_cbranch_execz .LBB25_484
; %bb.483:
	v_add_f32_e64 v9, |v5|, |v5|
	v_mul_f32_e32 v10, 0x3fb8aa3b, v9
	s_mov_b32 s3, 0x3fb8aa3b
	v_rndne_f32_e32 v11, v10
	v_sub_f32_e32 v12, v10, v11
	v_fma_f32 v10, v9, s3, -v10
	v_fmac_f32_e32 v10, 0x32a5705f, v9
	v_add_f32_e32 v10, v12, v10
	v_exp_f32_e32 v10, v10
	v_cvt_i32_f32_e32 v11, v11
	s_mov_b32 s3, 0xc2ce8ed0
	v_cmp_ngt_f32_e32 vcc, s3, v9
	s_mov_b32 s3, 0x42b17218
	v_ldexp_f32 v10, v10, v11
	v_cndmask_b32_e32 v10, 0, v10, vcc
	v_mov_b32_e32 v11, 0x7f800000
	v_cmp_nlt_f32_e32 vcc, s3, v9
	v_cndmask_b32_e32 v9, v11, v10, vcc
	v_add_f32_e32 v9, 1.0, v9
	v_rcp_f32_e32 v9, v9
	v_fma_f32 v9, v9, -2.0, 1.0
.LBB25_484:
	s_andn2_saveexec_b64 s[0:1], s[0:1]
; %bb.485:
	v_mul_f32_e32 v9, v5, v5
	v_mov_b32_e32 v10, 0x3ca908c9
	v_fmac_f32_e32 v10, 0xbbbac73d, v9
	v_mov_b32_e32 v11, 0xbd5c1c4e
	v_fmac_f32_e32 v11, v9, v10
	;; [unrolled: 2-line block ×4, first 2 shown]
	v_mul_f32_e64 v10, |v5|, v11
	v_fma_f32 v9, v9, v10, |v5|
; %bb.486:
	s_or_b64 exec, exec, s[0:1]
	s_mov_b32 s0, 0x3f200000
	v_cmp_nlt_f32_e64 s[0:1], |v6|, s0
                                        ; implicit-def: $vgpr10
	s_and_saveexec_b64 s[4:5], s[0:1]
	s_xor_b64 s[0:1], exec, s[4:5]
	s_cbranch_execz .LBB25_488
; %bb.487:
	v_add_f32_e64 v10, |v6|, |v6|
	v_mul_f32_e32 v11, 0x3fb8aa3b, v10
	s_mov_b32 s3, 0x3fb8aa3b
	v_rndne_f32_e32 v12, v11
	v_sub_f32_e32 v13, v11, v12
	v_fma_f32 v11, v10, s3, -v11
	v_fmac_f32_e32 v11, 0x32a5705f, v10
	v_add_f32_e32 v11, v13, v11
	v_exp_f32_e32 v11, v11
	v_cvt_i32_f32_e32 v12, v12
	s_mov_b32 s3, 0xc2ce8ed0
	v_cmp_ngt_f32_e32 vcc, s3, v10
	s_mov_b32 s3, 0x42b17218
	v_ldexp_f32 v11, v11, v12
	v_cndmask_b32_e32 v11, 0, v11, vcc
	v_mov_b32_e32 v12, 0x7f800000
	v_cmp_nlt_f32_e32 vcc, s3, v10
	v_cndmask_b32_e32 v10, v12, v11, vcc
	v_add_f32_e32 v10, 1.0, v10
	v_rcp_f32_e32 v10, v10
	v_fma_f32 v10, v10, -2.0, 1.0
.LBB25_488:
	s_andn2_saveexec_b64 s[0:1], s[0:1]
; %bb.489:
	v_mul_f32_e32 v10, v6, v6
	v_mov_b32_e32 v11, 0x3ca908c9
	v_fmac_f32_e32 v11, 0xbbbac73d, v10
	v_mov_b32_e32 v12, 0xbd5c1c4e
	v_fmac_f32_e32 v12, v10, v11
	;; [unrolled: 2-line block ×4, first 2 shown]
	v_mul_f32_e64 v11, |v6|, v12
	v_fma_f32 v10, v10, v11, |v6|
; %bb.490:
	s_or_b64 exec, exec, s[0:1]
	s_mov_b32 s0, 0x3f200000
	v_cmp_nlt_f32_e64 s[0:1], |v7|, s0
                                        ; implicit-def: $vgpr11
	s_and_saveexec_b64 s[4:5], s[0:1]
	s_xor_b64 s[0:1], exec, s[4:5]
	s_cbranch_execz .LBB25_492
; %bb.491:
	v_add_f32_e64 v11, |v7|, |v7|
	v_mul_f32_e32 v12, 0x3fb8aa3b, v11
	s_mov_b32 s3, 0x3fb8aa3b
	v_rndne_f32_e32 v13, v12
	v_sub_f32_e32 v14, v12, v13
	v_fma_f32 v12, v11, s3, -v12
	v_fmac_f32_e32 v12, 0x32a5705f, v11
	v_add_f32_e32 v12, v14, v12
	v_exp_f32_e32 v12, v12
	v_cvt_i32_f32_e32 v13, v13
	s_mov_b32 s3, 0xc2ce8ed0
	v_cmp_ngt_f32_e32 vcc, s3, v11
	s_mov_b32 s3, 0x42b17218
	v_ldexp_f32 v12, v12, v13
	v_cndmask_b32_e32 v12, 0, v12, vcc
	v_mov_b32_e32 v13, 0x7f800000
	v_cmp_nlt_f32_e32 vcc, s3, v11
	v_cndmask_b32_e32 v11, v13, v12, vcc
	v_add_f32_e32 v11, 1.0, v11
	v_rcp_f32_e32 v11, v11
	v_fma_f32 v11, v11, -2.0, 1.0
.LBB25_492:
	s_andn2_saveexec_b64 s[0:1], s[0:1]
; %bb.493:
	v_mul_f32_e32 v11, v7, v7
	v_mov_b32_e32 v12, 0x3ca908c9
	v_fmac_f32_e32 v12, 0xbbbac73d, v11
	v_mov_b32_e32 v13, 0xbd5c1c4e
	v_fmac_f32_e32 v13, v11, v12
	;; [unrolled: 2-line block ×4, first 2 shown]
	v_mul_f32_e64 v12, |v7|, v13
	v_fma_f32 v11, v11, v12, |v7|
; %bb.494:
	s_or_b64 exec, exec, s[0:1]
	s_mov_b32 s0, 0x3f200000
	v_cmp_nlt_f32_e64 s[0:1], |v0|, s0
                                        ; implicit-def: $vgpr12
	s_and_saveexec_b64 s[4:5], s[0:1]
	s_xor_b64 s[0:1], exec, s[4:5]
	s_cbranch_execz .LBB25_496
; %bb.495:
	v_add_f32_e64 v12, |v0|, |v0|
	v_mul_f32_e32 v13, 0x3fb8aa3b, v12
	s_mov_b32 s3, 0x3fb8aa3b
	v_rndne_f32_e32 v14, v13
	v_sub_f32_e32 v15, v13, v14
	v_fma_f32 v13, v12, s3, -v13
	v_fmac_f32_e32 v13, 0x32a5705f, v12
	v_add_f32_e32 v13, v15, v13
	v_exp_f32_e32 v13, v13
	v_cvt_i32_f32_e32 v14, v14
	s_mov_b32 s3, 0xc2ce8ed0
	v_cmp_ngt_f32_e32 vcc, s3, v12
	s_mov_b32 s3, 0x42b17218
	v_ldexp_f32 v13, v13, v14
	v_cndmask_b32_e32 v13, 0, v13, vcc
	v_mov_b32_e32 v14, 0x7f800000
	v_cmp_nlt_f32_e32 vcc, s3, v12
	v_cndmask_b32_e32 v12, v14, v13, vcc
	v_add_f32_e32 v12, 1.0, v12
	v_rcp_f32_e32 v12, v12
	v_fma_f32 v12, v12, -2.0, 1.0
.LBB25_496:
	s_andn2_saveexec_b64 s[0:1], s[0:1]
; %bb.497:
	v_mul_f32_e32 v12, v0, v0
	v_mov_b32_e32 v13, 0x3ca908c9
	v_fmac_f32_e32 v13, 0xbbbac73d, v12
	v_mov_b32_e32 v14, 0xbd5c1c4e
	v_fmac_f32_e32 v14, v12, v13
	;; [unrolled: 2-line block ×4, first 2 shown]
	v_mul_f32_e64 v13, |v0|, v14
	v_fma_f32 v12, v12, v13, |v0|
; %bb.498:
	s_or_b64 exec, exec, s[0:1]
	s_mov_b32 s0, 0x3f200000
	v_cmp_nlt_f32_e64 s[0:1], |v1|, s0
                                        ; implicit-def: $vgpr13
	s_and_saveexec_b64 s[4:5], s[0:1]
	s_xor_b64 s[0:1], exec, s[4:5]
	s_cbranch_execz .LBB25_500
; %bb.499:
	v_add_f32_e64 v13, |v1|, |v1|
	v_mul_f32_e32 v14, 0x3fb8aa3b, v13
	s_mov_b32 s3, 0x3fb8aa3b
	v_rndne_f32_e32 v15, v14
	v_sub_f32_e32 v23, v14, v15
	v_fma_f32 v14, v13, s3, -v14
	v_fmac_f32_e32 v14, 0x32a5705f, v13
	v_add_f32_e32 v14, v23, v14
	v_exp_f32_e32 v14, v14
	v_cvt_i32_f32_e32 v15, v15
	s_mov_b32 s3, 0xc2ce8ed0
	v_cmp_ngt_f32_e32 vcc, s3, v13
	s_mov_b32 s3, 0x42b17218
	v_ldexp_f32 v14, v14, v15
	v_cndmask_b32_e32 v14, 0, v14, vcc
	v_mov_b32_e32 v15, 0x7f800000
	v_cmp_nlt_f32_e32 vcc, s3, v13
	v_cndmask_b32_e32 v13, v15, v14, vcc
	v_add_f32_e32 v13, 1.0, v13
	v_rcp_f32_e32 v13, v13
	v_fma_f32 v13, v13, -2.0, 1.0
.LBB25_500:
	s_andn2_saveexec_b64 s[0:1], s[0:1]
; %bb.501:
	v_mul_f32_e32 v13, v1, v1
	v_mov_b32_e32 v14, 0x3ca908c9
	v_fmac_f32_e32 v14, 0xbbbac73d, v13
	v_mov_b32_e32 v15, 0xbd5c1c4e
	v_fmac_f32_e32 v15, v13, v14
	;; [unrolled: 2-line block ×4, first 2 shown]
	v_mul_f32_e64 v14, |v1|, v15
	v_fma_f32 v13, v13, v14, |v1|
; %bb.502:
	s_or_b64 exec, exec, s[0:1]
	s_mov_b32 s0, 0x3f200000
	v_cmp_nlt_f32_e64 s[0:1], |v2|, s0
                                        ; implicit-def: $vgpr14
	s_and_saveexec_b64 s[4:5], s[0:1]
	s_xor_b64 s[0:1], exec, s[4:5]
	s_cbranch_execz .LBB25_504
; %bb.503:
	v_add_f32_e64 v14, |v2|, |v2|
	v_mul_f32_e32 v15, 0x3fb8aa3b, v14
	s_mov_b32 s3, 0x3fb8aa3b
	v_rndne_f32_e32 v23, v15
	v_sub_f32_e32 v24, v15, v23
	v_fma_f32 v15, v14, s3, -v15
	v_fmac_f32_e32 v15, 0x32a5705f, v14
	v_add_f32_e32 v15, v24, v15
	v_exp_f32_e32 v15, v15
	v_cvt_i32_f32_e32 v23, v23
	s_mov_b32 s3, 0xc2ce8ed0
	v_cmp_ngt_f32_e32 vcc, s3, v14
	s_mov_b32 s3, 0x42b17218
	v_ldexp_f32 v15, v15, v23
	v_cndmask_b32_e32 v15, 0, v15, vcc
	v_mov_b32_e32 v23, 0x7f800000
	v_cmp_nlt_f32_e32 vcc, s3, v14
	v_cndmask_b32_e32 v14, v23, v15, vcc
	v_add_f32_e32 v14, 1.0, v14
	v_rcp_f32_e32 v14, v14
	v_fma_f32 v14, v14, -2.0, 1.0
.LBB25_504:
	s_andn2_saveexec_b64 s[0:1], s[0:1]
; %bb.505:
	v_mul_f32_e32 v14, v2, v2
	v_mov_b32_e32 v15, 0x3ca908c9
	v_fmac_f32_e32 v15, 0xbbbac73d, v14
	v_mov_b32_e32 v23, 0xbd5c1c4e
	v_fmac_f32_e32 v23, v14, v15
	;; [unrolled: 2-line block ×4, first 2 shown]
	v_mul_f32_e64 v15, |v2|, v23
	v_fma_f32 v14, v14, v15, |v2|
; %bb.506:
	s_or_b64 exec, exec, s[0:1]
	s_mov_b32 s0, 0x3f200000
	v_cmp_nlt_f32_e64 s[0:1], |v3|, s0
                                        ; implicit-def: $vgpr15
	s_and_saveexec_b64 s[4:5], s[0:1]
	s_xor_b64 s[0:1], exec, s[4:5]
	s_cbranch_execz .LBB25_508
; %bb.507:
	v_add_f32_e64 v15, |v3|, |v3|
	v_mul_f32_e32 v23, 0x3fb8aa3b, v15
	s_mov_b32 s3, 0x3fb8aa3b
	v_rndne_f32_e32 v24, v23
	v_sub_f32_e32 v25, v23, v24
	v_fma_f32 v23, v15, s3, -v23
	v_fmac_f32_e32 v23, 0x32a5705f, v15
	v_add_f32_e32 v23, v25, v23
	v_exp_f32_e32 v23, v23
	v_cvt_i32_f32_e32 v24, v24
	s_mov_b32 s3, 0xc2ce8ed0
	v_cmp_ngt_f32_e32 vcc, s3, v15
	s_mov_b32 s3, 0x42b17218
	v_ldexp_f32 v23, v23, v24
	v_cndmask_b32_e32 v23, 0, v23, vcc
	v_mov_b32_e32 v24, 0x7f800000
	v_cmp_nlt_f32_e32 vcc, s3, v15
	v_cndmask_b32_e32 v15, v24, v23, vcc
	v_add_f32_e32 v15, 1.0, v15
	v_rcp_f32_e32 v15, v15
	v_fma_f32 v15, v15, -2.0, 1.0
.LBB25_508:
	s_andn2_saveexec_b64 s[0:1], s[0:1]
; %bb.509:
	v_mul_f32_e32 v15, v3, v3
	v_mov_b32_e32 v23, 0x3ca908c9
	v_fmac_f32_e32 v23, 0xbbbac73d, v15
	v_mov_b32_e32 v24, 0xbd5c1c4e
	v_fmac_f32_e32 v24, v15, v23
	;; [unrolled: 2-line block ×4, first 2 shown]
	v_mul_f32_e64 v23, |v3|, v24
	v_fma_f32 v15, v15, v23, |v3|
; %bb.510:
	s_or_b64 exec, exec, s[0:1]
	s_brev_b32 s0, -2
	v_bfi_b32 v12, s0, v12, v0
	v_bfi_b32 v0, s0, v14, v2
	;; [unrolled: 1-line block ×3, first 2 shown]
	v_and_b32_e32 v42, 0xfc, v55
	v_lshrrev_b32_e32 v6, 1, v76
	v_bfi_b32 v13, s0, v13, v1
	v_bfi_b32 v1, s0, v15, v3
	;; [unrolled: 1-line block ×3, first 2 shown]
	v_mul_u32_u24_e32 v6, 0x90, v6
	v_add_lshl_u32 v7, v74, v42, 1
	v_add3_u32 v6, 0, v6, v7
	v_bfi_b32 v4, s0, v8, v4
	v_add_u32_e32 v8, 0x4400, v6
	v_bfi_b32 v5, s0, v9, v5
	ds_read2_b32 v[6:7], v8 offset1:1
	ds_read2_b32 v[8:9], v8 offset0:16 offset1:17
	v_mbcnt_hi_u32_b32 v23, -1, v75
	v_and_b32_e32 v10, 64, v23
	v_add_u32_e32 v24, 64, v10
	v_xor_b32_e32 v10, 32, v23
	v_cmp_lt_i32_e32 vcc, v10, v24
	v_cndmask_b32_e32 v14, v23, v10, vcc
	v_lshlrev_b32_e32 v30, 2, v14
	s_waitcnt lgkmcnt(0)
	v_cvt_f32_f16_e32 v14, v8
	v_cvt_f32_f16_sdwa v15, v8 dst_sel:DWORD dst_unused:UNUSED_PAD src0_sel:WORD_1
	v_cvt_f32_f16_e32 v10, v9
	v_cvt_f32_f16_sdwa v11, v9 dst_sel:DWORD dst_unused:UNUSED_PAD src0_sel:WORD_1
	s_mov_b32 s3, 0x3fb8aa3b
	v_pk_fma_f32 v[8:9], v[12:13], s[34:35], v[14:15] op_sel_hi:[1,0,1]
	v_cvt_f32_f16_e32 v12, v6
	v_cvt_f32_f16_sdwa v13, v6 dst_sel:DWORD dst_unused:UNUSED_PAD src0_sel:WORD_1
	v_pk_fma_f32 v[0:1], v[0:1], s[34:35], v[10:11] op_sel_hi:[1,0,1]
	v_cvt_f32_f16_e32 v10, v7
	v_cvt_f32_f16_sdwa v11, v7 dst_sel:DWORD dst_unused:UNUSED_PAD src0_sel:WORD_1
	v_pk_fma_f32 v[4:5], v[4:5], s[34:35], v[12:13] op_sel_hi:[1,0,1]
	v_add_f32_e32 v12, 0x40051340, v5
	v_add_f32_e32 v14, 0x40051340, v8
	v_pk_fma_f32 v[2:3], v[2:3], s[34:35], v[10:11] op_sel_hi:[1,0,1]
	v_add_f32_e32 v11, 0x40051340, v4
	v_add_f32_e32 v6, 0x40051340, v2
	;; [unrolled: 1-line block ×3, first 2 shown]
	v_max3_f32 v11, v20, v11, v12
	v_add_f32_e32 v7, 0x40051340, v9
	v_max3_f32 v6, v11, v6, v10
	v_add_f32_e32 v25, 0x40051340, v0
	v_add_f32_e32 v26, 0x40051340, v1
	v_max3_f32 v6, v6, v14, v7
	v_max3_f32 v6, v6, v25, v26
	ds_bpermute_b32 v7, v30, v6
	v_xor_b32_e32 v10, 16, v23
	v_cmp_lt_i32_e32 vcc, v10, v24
	v_cndmask_b32_e32 v10, v23, v10, vcc
	v_lshlrev_b32_e32 v33, 2, v10
	s_waitcnt lgkmcnt(0)
	v_max_f32_e32 v7, v7, v7
	v_max_f32_e32 v6, v6, v7
	ds_bpermute_b32 v7, v33, v6
	s_mov_b32 s0, 0xc2ce8ed0
	s_mov_b32 s1, 0x42b17218
	v_mov_b32_e32 v43, 0x7f800000
	s_mul_hi_i32 s5, s2, s30
	s_waitcnt lgkmcnt(0)
	v_max_f32_e32 v7, v7, v7
	v_max_f32_e32 v32, v6, v7
	v_pk_add_f32 v[4:5], v[4:5], v[32:33] op_sel_hi:[1,0] neg_lo:[0,1] neg_hi:[0,1]
	v_mul_f32_e32 v6, 0x3fb8aa3b, v5
	v_fma_f32 v7, v5, s3, -v6
	v_rndne_f32_e32 v10, v6
	v_fmac_f32_e32 v7, 0x32a5705f, v5
	v_sub_f32_e32 v6, v6, v10
	v_add_f32_e32 v6, v6, v7
	v_exp_f32_e32 v6, v6
	v_cvt_i32_f32_e32 v7, v10
	v_cmp_ngt_f32_e32 vcc, s0, v5
	v_pk_add_f32 v[2:3], v[2:3], v[32:33] op_sel_hi:[1,0] neg_lo:[0,1] neg_hi:[0,1]
	v_pk_add_f32 v[28:29], v[8:9], v[32:33] op_sel_hi:[1,0] neg_lo:[0,1] neg_hi:[0,1]
	v_ldexp_f32 v6, v6, v7
	v_mul_f32_e32 v7, 0x3fb8aa3b, v4
	v_fma_f32 v10, v4, s3, -v7
	v_rndne_f32_e32 v11, v7
	v_fmac_f32_e32 v10, 0x32a5705f, v4
	v_sub_f32_e32 v7, v7, v11
	v_add_f32_e32 v7, v7, v10
	v_exp_f32_e32 v7, v7
	v_cvt_i32_f32_e32 v10, v11
	v_cndmask_b32_e32 v6, 0, v6, vcc
	v_cmp_nlt_f32_e32 vcc, s1, v5
	v_cndmask_b32_e32 v23, v43, v6, vcc
	v_mul_f32_e32 v6, 0x3fb8aa3b, v3
	v_ldexp_f32 v5, v7, v10
	v_fma_f32 v7, v3, s3, -v6
	v_rndne_f32_e32 v10, v6
	v_fmac_f32_e32 v7, 0x32a5705f, v3
	v_sub_f32_e32 v6, v6, v10
	v_add_f32_e32 v6, v6, v7
	v_exp_f32_e32 v6, v6
	v_cvt_i32_f32_e32 v7, v10
	v_cmp_ngt_f32_e32 vcc, s0, v4
	v_cndmask_b32_e32 v5, 0, v5, vcc
	v_cmp_nlt_f32_e32 vcc, s1, v4
	v_cndmask_b32_e32 v24, v43, v5, vcc
	v_mul_f32_e32 v5, 0x3fb8aa3b, v2
	v_ldexp_f32 v4, v6, v7
	v_fma_f32 v6, v2, s3, -v5
	v_rndne_f32_e32 v7, v5
	v_fmac_f32_e32 v6, 0x32a5705f, v2
	v_sub_f32_e32 v5, v5, v7
	v_add_f32_e32 v5, v5, v6
	v_exp_f32_e32 v5, v5
	v_cvt_i32_f32_e32 v6, v7
	v_cmp_ngt_f32_e32 vcc, s0, v3
	;; [unrolled: 13-line block ×3, first 2 shown]
	s_mul_i32 s4, s2, s30
	v_cndmask_b32_e32 v3, 0, v3, vcc
	v_cmp_nlt_f32_e32 vcc, s1, v2
	s_lshl_b64 s[4:5], s[4:5], 2
	v_mul_lo_u32 v2, v56, s30
	v_cndmask_b32_e32 v26, v43, v3, vcc
	s_add_u32 s2, s6, s4
	v_ashrrev_i32_e32 v3, 31, v2
	s_addc_u32 s4, s7, s5
	v_lshlrev_b64 v[2:3], 2, v[2:3]
	v_ldexp_f32 v27, v4, v5
	v_mov_b32_e32 v4, s4
	v_add_co_u32_e32 v2, vcc, s2, v2
	v_addc_co_u32_e32 v3, vcc, v4, v3, vcc
	v_add_co_u32_e32 v34, vcc, v2, v16
	v_mul_lo_u32 v2, v57, s30
	v_addc_co_u32_e32 v35, vcc, v3, v17, vcc
	v_ashrrev_i32_e32 v3, 31, v2
	v_lshlrev_b64 v[2:3], 2, v[2:3]
	v_add_co_u32_e32 v2, vcc, s2, v2
	v_addc_co_u32_e32 v3, vcc, v4, v3, vcc
	v_add_co_u32_e32 v36, vcc, v2, v16
	v_mul_lo_u32 v2, v58, s30
	v_addc_co_u32_e32 v37, vcc, v3, v17, vcc
	v_ashrrev_i32_e32 v3, 31, v2
	v_lshlrev_b64 v[2:3], 2, v[2:3]
	;; [unrolled: 7-line block ×3, first 2 shown]
	v_add_co_u32_e32 v2, vcc, s2, v2
	v_addc_co_u32_e32 v3, vcc, v4, v3, vcc
	v_add_co_u32_e32 v40, vcc, v2, v16
	v_addc_co_u32_e32 v41, vcc, v3, v17, vcc
	global_load_dwordx4 v[2:5], v[34:35], off
	global_load_dwordx4 v[6:9], v[36:37], off
	;; [unrolled: 1-line block ×4, first 2 shown]
	v_mul_f32_e32 v31, 0x3fb8aa3b, v28
	v_fma_f32 v44, v28, s3, -v31
	v_rndne_f32_e32 v34, v31
	v_fmac_f32_e32 v44, 0x32a5705f, v28
	v_sub_f32_e32 v31, v31, v34
	v_add_f32_e32 v31, v31, v44
	v_exp_f32_e32 v31, v31
	v_cvt_i32_f32_e32 v34, v34
	v_cmp_ngt_f32_e32 vcc, s0, v29
	v_pk_add_f32 v[0:1], v[0:1], v[32:33] op_sel_hi:[1,0] neg_lo:[0,1] neg_hi:[0,1]
	v_cndmask_b32_e32 v27, 0, v27, vcc
	v_cmp_nlt_f32_e32 vcc, s1, v29
	v_ldexp_f32 v29, v31, v34
	v_mul_f32_e32 v31, 0x3fb8aa3b, v1
	v_fma_f32 v34, v1, s3, -v31
	v_rndne_f32_e32 v35, v31
	v_fmac_f32_e32 v34, 0x32a5705f, v1
	v_sub_f32_e32 v31, v31, v35
	v_add_f32_e32 v31, v31, v34
	v_exp_f32_e32 v31, v31
	v_cvt_i32_f32_e32 v34, v35
	v_cndmask_b32_e32 v27, v43, v27, vcc
	v_cmp_ngt_f32_e32 vcc, s0, v28
	v_cndmask_b32_e32 v29, 0, v29, vcc
	v_cmp_nlt_f32_e32 vcc, s1, v28
	v_cndmask_b32_e32 v37, v43, v29, vcc
	v_mul_f32_e32 v29, 0x3fb8aa3b, v0
	v_ldexp_f32 v28, v31, v34
	v_fma_f32 v31, v0, s3, -v29
	v_rndne_f32_e32 v34, v29
	v_fmac_f32_e32 v31, 0x32a5705f, v0
	v_sub_f32_e32 v29, v29, v34
	v_sub_f32_e32 v20, v20, v32
	v_add_f32_e32 v29, v29, v31
	v_mul_f32_e32 v31, 0x3fb8aa3b, v20
	v_fma_f32 v35, v20, s3, -v31
	v_rndne_f32_e32 v36, v31
	v_fmac_f32_e32 v35, 0x32a5705f, v20
	v_sub_f32_e32 v31, v31, v36
	v_add_f32_e32 v31, v31, v35
	v_exp_f32_e32 v35, v31
	v_cvt_i32_f32_e32 v36, v36
	v_cmp_ngt_f32_e32 vcc, s0, v1
	v_cndmask_b32_e32 v28, 0, v28, vcc
	v_exp_f32_e32 v29, v29
	v_cvt_i32_f32_e32 v34, v34
	v_cmp_nlt_f32_e32 vcc, s1, v1
	v_cndmask_b32_e32 v31, v43, v28, vcc
	v_ldexp_f32 v28, v35, v36
	v_cmp_ngt_f32_e32 vcc, s0, v20
	v_cndmask_b32_e32 v28, 0, v28, vcc
	v_cmp_nlt_f32_e32 vcc, s1, v20
	s_mov_b32 s2, 0xc1a00000
	v_cndmask_b32_e32 v28, v43, v28, vcc
	v_cmp_le_f32_e32 vcc, s2, v20
	v_ldexp_f32 v1, v29, v34
	v_cndmask_b32_e32 v34, 0, v28, vcc
	v_cmp_ngt_f32_e32 vcc, s0, v0
	v_cndmask_b32_e32 v1, 0, v1, vcc
	v_cmp_nlt_f32_e32 vcc, s1, v0
	v_cvt_f16_f32_e32 v0, v23
	v_cvt_f16_f32_e32 v20, v24
	;; [unrolled: 1-line block ×5, first 2 shown]
	s_movk_i32 s1, 0x220
	v_pack_b32_f16 v28, v20, v0
	v_pack_b32_f16 v29, v38, v29
	v_mul_u32_u24_e32 v0, 0x88, v42
	v_mul_u32_u24_e32 v39, 0x110, v42
	v_or_b32_e32 v38, 3, v55
	s_waitcnt vmcnt(3)
	ds_write_b128 v18, v[2:5]
	s_waitcnt vmcnt(2)
	ds_write_b128 v19, v[6:9]
	;; [unrolled: 2-line block ×4, first 2 shown]
	v_mad_u32_u24 v2, v51, s1, 0
	v_or_b32_e32 v0, v0, v47
	v_mul_u32_u24_e32 v38, 0x110, v38
	v_add3_u32 v6, v2, v39, v50
	s_waitcnt lgkmcnt(0)
	s_barrier
	v_lshlrev_b32_e32 v40, 1, v0
	v_add3_u32 v22, v2, v38, v50
	s_mov_b32 s0, 0x5040100
	ds_read_u16 v7, v6 offset:8976
	ds_read_u16 v8, v22 offset:32
	;; [unrolled: 1-line block ×5, first 2 shown]
	ds_read_u16 v4, v22
	ds_read_u16 v9, v6 offset:9248
	ds_read_u16 v5, v6 offset:544
	;; [unrolled: 1-line block ×9, first 2 shown]
	v_cndmask_b32_e32 v35, v43, v1, vcc
	v_pk_mul_f16 v1, v36, v79 op_sel_hi:[0,1]
	v_pk_mul_f16 v41, v36, v78 op_sel_hi:[0,1]
	v_pk_mul_f16 v43, v36, v80 op_sel_hi:[0,1]
	v_add_u32_e32 v3, v2, v40
	s_waitcnt lgkmcnt(7)
	v_perm_b32 v5, v4, v5, s0
	ds_read_u16 v13, v6 offset:304
	ds_read_u16 v14, v6 offset:336
	ds_read_u16 v18, v6 offset:368
	ds_read_u16 v42, v6 offset:400
	ds_read_u16 v59, v6 offset:432
	ds_read_u16 v74, v6 offset:464
	ds_read_u16 v4, v6 offset:272
	ds_read_u16 v17, v3 offset:8704
	ds_read_u16 v56, v3
	ds_read_u16 v75, v3 offset:32
	ds_read_u16 v76, v3 offset:64
	;; [unrolled: 1-line block ×7, first 2 shown]
	s_waitcnt lgkmcnt(7)
	v_perm_b32 v4, v4, v56, s0
	v_cvt_f32_f16_e32 v0, v1
	v_cvt_f32_f16_sdwa v1, v1 dst_sel:DWORD dst_unused:UNUSED_PAD src0_sel:WORD_1
	v_cvt_f32_f16_e32 v2, v41
	v_cvt_f32_f16_sdwa v3, v41 dst_sel:DWORD dst_unused:UNUSED_PAD src0_sel:WORD_1
	v_mul_u32_u24_e32 v83, 0x220, v51
	v_cvt_f16_f32_e32 v20, v27
	v_mfma_f32_16x16x16f16 v[0:3], v[4:5], v[28:29], v[0:3]
	v_add3_u32 v4, 0, 32, v83
	v_add_u32_e32 v5, v4, v40
	v_add3_u32 v56, v4, v39, v50
	v_add3_u32 v4, v4, v38, v50
	v_cvt_f16_f32_e32 v44, v37
	v_cvt_f16_f32_e32 v41, v31
	;; [unrolled: 1-line block ×3, first 2 shown]
	s_nop 3
	v_cvt_f16_f32_e32 v0, v0
	v_cvt_f16_f32_e32 v1, v1
	v_cvt_f16_f32_e32 v2, v2
	v_cvt_f16_f32_e32 v3, v3
	ds_read_u16 v84, v22 offset:8704
	ds_read_u16 v85, v5 offset:8704
	;; [unrolled: 1-line block ×6, first 2 shown]
	s_waitcnt lgkmcnt(5)
	v_perm_b32 v5, v84, v9, s0
	v_perm_b32 v4, v7, v17, s0
	v_cvt_f32_f16_e32 v0, v0
	v_cvt_f32_f16_e32 v1, v1
	;; [unrolled: 1-line block ×4, first 2 shown]
	v_pk_mul_f16 v7, v36, v62 op_sel_hi:[0,1]
	v_pack_b32_f16 v56, v44, v20
	v_pack_b32_f16 v57, v57, v41
	v_perm_b32 v9, v8, v10, s0
	v_perm_b32 v8, v13, v75, s0
	ds_read_u16 v84, v6 offset:768
	v_mfma_f32_16x16x16f16 v[0:3], v[4:5], v[56:57], v[0:3]
	v_cvt_f32_f16_e32 v4, v43
	v_cvt_f32_f16_sdwa v5, v43 dst_sel:DWORD dst_unused:UNUSED_PAD src0_sel:WORD_1
	v_cvt_f32_f16_e32 v6, v7
	v_cvt_f32_f16_sdwa v7, v7 dst_sel:DWORD dst_unused:UNUSED_PAD src0_sel:WORD_1
	v_pk_mul_f16 v10, v36, v70 op_sel_hi:[0,1]
	v_pk_mul_f16 v17, v36, v66 op_sel_hi:[0,1]
	v_perm_b32 v13, v11, v12, s0
	v_mfma_f32_16x16x16f16 v[4:7], v[8:9], v[28:29], v[4:7]
	s_waitcnt lgkmcnt(2)
	v_perm_b32 v9, v88, v87, s0
	v_perm_b32 v8, v86, v85, s0
	;; [unrolled: 1-line block ×3, first 2 shown]
	v_cvt_f32_f16_sdwa v11, v17 dst_sel:DWORD dst_unused:UNUSED_PAD src0_sel:WORD_1
	s_add_i32 s2, 0, 0x60
	v_perm_b32 v21, v19, v21, s0
	v_pk_mul_f16 v65, v36, v65 op_sel_hi:[0,1]
	s_nop 2
	v_cvt_f16_f32_e32 v4, v4
	v_cvt_f16_f32_e32 v5, v5
	;; [unrolled: 1-line block ×4, first 2 shown]
	v_cvt_f32_f16_e32 v4, v4
	v_cvt_f32_f16_e32 v5, v5
	;; [unrolled: 1-line block ×4, first 2 shown]
	v_add_f32_e32 v24, v24, v23
	v_add_f32_e32 v24, v26, v24
	v_mfma_f32_16x16x16f16 v[4:7], v[8:9], v[56:57], v[4:7]
	v_cvt_f32_f16_e32 v8, v10
	v_cvt_f32_f16_sdwa v9, v10 dst_sel:DWORD dst_unused:UNUSED_PAD src0_sel:WORD_1
	v_cvt_f32_f16_e32 v10, v17
	v_mov_b32_e32 v17, s2
	v_mad_u32_u24 v17, v51, s1, v17
	v_add_u32_e32 v20, v17, v40
	v_add3_u32 v41, v17, v39, v50
	v_mfma_f32_16x16x16f16 v[8:11], v[12:13], v[28:29], v[8:11]
	v_add3_u32 v12, 0, 64, v83
	v_add_u32_e32 v13, v12, v40
	v_add3_u32 v14, v12, v39, v50
	v_add3_u32 v12, v12, v38, v50
	v_add3_u32 v17, v17, v38, v50
	ds_read_u16 v43, v13 offset:8704
	ds_read_u16 v44, v14 offset:8976
	;; [unrolled: 1-line block ×8, first 2 shown]
	s_waitcnt lgkmcnt(4)
	v_perm_b32 v13, v12, v13, s0
	v_cvt_f16_f32_e32 v8, v8
	v_cvt_f16_f32_e32 v9, v9
	;; [unrolled: 1-line block ×4, first 2 shown]
	v_perm_b32 v12, v44, v43, s0
	v_cvt_f32_f16_e32 v8, v8
	v_cvt_f32_f16_e32 v9, v9
	;; [unrolled: 1-line block ×4, first 2 shown]
	v_pk_mul_f16 v14, v36, v61 op_sel_hi:[0,1]
	v_pk_mul_f16 v43, v36, v60 op_sel_hi:[0,1]
	v_perm_b32 v17, v15, v16, s0
	v_perm_b32 v16, v18, v78, s0
	v_mfma_f32_16x16x16f16 v[8:11], v[12:13], v[56:57], v[8:11]
	v_cvt_f32_f16_e32 v12, v14
	v_cvt_f32_f16_sdwa v13, v14 dst_sel:DWORD dst_unused:UNUSED_PAD src0_sel:WORD_1
	v_cvt_f32_f16_e32 v14, v43
	v_cvt_f32_f16_sdwa v15, v43 dst_sel:DWORD dst_unused:UNUSED_PAD src0_sel:WORD_1
	v_pk_mul_f16 v18, v36, v64 op_sel_hi:[0,1]
	s_add_i32 s2, 0, 0x80
	v_add_f32_e32 v24, v25, v24
	v_mfma_f32_16x16x16f16 v[12:15], v[16:17], v[28:29], v[12:15]
	s_waitcnt lgkmcnt(0)
	v_perm_b32 v17, v66, v41, s0
	v_perm_b32 v16, v62, v20, s0
	v_pk_mul_f16 v41, v36, v63 op_sel_hi:[0,1]
	v_perm_b32 v20, v42, v79, s0
	v_cvt_f32_f16_sdwa v19, v41 dst_sel:DWORD dst_unused:UNUSED_PAD src0_sel:WORD_1
	v_add_f32_e32 v26, v37, v24
	s_movk_i32 s4, 0x110
	s_nop 2
	v_cvt_f16_f32_e32 v12, v12
	v_cvt_f16_f32_e32 v13, v13
	;; [unrolled: 1-line block ×4, first 2 shown]
	v_cvt_f32_f16_e32 v12, v12
	v_cvt_f32_f16_e32 v13, v13
	;; [unrolled: 1-line block ×4, first 2 shown]
	s_nop 1
	v_mfma_f32_16x16x16f16 v[12:15], v[16:17], v[56:57], v[12:15]
	v_cvt_f32_f16_e32 v16, v18
	v_cvt_f32_f16_sdwa v17, v18 dst_sel:DWORD dst_unused:UNUSED_PAD src0_sel:WORD_1
	v_cvt_f32_f16_e32 v18, v41
	s_nop 1
	v_mfma_f32_16x16x16f16 v[16:19], v[20:21], v[28:29], v[16:19]
	v_mov_b32_e32 v20, s2
	s_add_i32 s2, 0, 0xa0
	v_mad_u32_u24 v20, v51, s1, v20
	v_mov_b32_e32 v42, s2
	v_add_u32_e32 v21, v20, v40
	v_add3_u32 v41, v20, v39, v50
	v_add3_u32 v20, v20, v38, v50
	s_nop 3
	v_cvt_f16_f32_e32 v16, v16
	v_cvt_f16_f32_e32 v17, v17
	;; [unrolled: 1-line block ×4, first 2 shown]
	v_mad_u32_u24 v42, v51, s1, v42
	v_add_u32_e32 v43, v42, v40
	v_add3_u32 v44, v42, v39, v50
	v_add3_u32 v42, v42, v38, v50
	ds_read_u16 v60, v21 offset:8704
	ds_read_u16 v61, v41 offset:8976
	;; [unrolled: 1-line block ×8, first 2 shown]
	s_waitcnt lgkmcnt(4)
	v_perm_b32 v21, v20, v21, s0
	v_perm_b32 v20, v61, v60, s0
	v_cvt_f32_f16_e32 v16, v16
	v_cvt_f32_f16_e32 v17, v17
	;; [unrolled: 1-line block ×4, first 2 shown]
	ds_read_u16 v60, v22 offset:160
	ds_read_u16 v61, v22 offset:192
	v_pk_mul_f16 v22, v36, v68 op_sel_hi:[0,1]
	v_mfma_f32_16x16x16f16 v[16:19], v[20:21], v[56:57], v[16:19]
	s_waitcnt lgkmcnt(1)
	v_perm_b32 v21, v60, v45, s0
	v_perm_b32 v20, v59, v80, s0
	v_cvt_f32_f16_e32 v42, v22
	v_cvt_f32_f16_sdwa v43, v22 dst_sel:DWORD dst_unused:UNUSED_PAD src0_sel:WORD_1
	v_cvt_f32_f16_e32 v44, v65
	v_cvt_f32_f16_sdwa v45, v65 dst_sel:DWORD dst_unused:UNUSED_PAD src0_sel:WORD_1
	v_pk_mul_f16 v59, v36, v54 op_sel_hi:[0,1]
	s_waitcnt lgkmcnt(0)
	v_perm_b32 v55, v61, v55, s0
	v_mfma_f32_16x16x16f16 v[42:45], v[20:21], v[28:29], v[42:45]
	v_perm_b32 v54, v74, v81, s0
	s_add_i32 s2, 0, 0xc0
	s_nop 7
	s_nop 0
	v_cvt_f16_f32_e32 v20, v42
	v_cvt_f16_f32_e32 v21, v43
	;; [unrolled: 1-line block ×4, first 2 shown]
	v_cvt_f32_f16_e32 v42, v20
	v_cvt_f32_f16_e32 v43, v21
	v_perm_b32 v21, v64, v63, s0
	v_perm_b32 v20, v62, v41, s0
	v_cvt_f32_f16_e32 v44, v22
	v_cvt_f32_f16_e32 v45, v45
	v_pk_mul_f16 v41, v36, v72 op_sel_hi:[0,1]
	s_nop 0
	v_mfma_f32_16x16x16f16 v[20:23], v[20:21], v[56:57], v[42:45]
	s_nop 6
	v_cvt_f32_f16_e32 v42, v41
	v_cvt_f32_f16_sdwa v43, v41 dst_sel:DWORD dst_unused:UNUSED_PAD src0_sel:WORD_1
	v_cvt_f32_f16_e32 v44, v59
	v_cvt_f32_f16_sdwa v45, v59 dst_sel:DWORD dst_unused:UNUSED_PAD src0_sel:WORD_1
	v_add_f32_e32 v59, v27, v26
	v_add_f32_e32 v35, v35, v59
	v_mfma_f32_16x16x16f16 v[42:45], v[54:55], v[28:29], v[42:45]
	s_nop 7
	s_nop 2
	v_cvt_f16_f32_e32 v24, v42
	v_cvt_f16_f32_e32 v25, v43
	;; [unrolled: 1-line block ×3, first 2 shown]
	v_mov_b32_e32 v42, s2
	v_mad_u32_u24 v42, v51, s1, v42
	s_add_i32 s2, 0, 0xe0
	v_cvt_f16_f32_e32 v41, v45
	v_add_u32_e32 v45, v42, v40
	v_add3_u32 v54, v42, v39, v50
	v_add3_u32 v55, v42, v38, v50
	v_cvt_f32_f16_e32 v42, v24
	v_mov_b32_e32 v24, s2
	v_mad_u32_u24 v24, v51, s1, v24
	v_cvt_f32_f16_e32 v43, v25
	v_cvt_f32_f16_e32 v44, v37
	v_add_u32_e32 v25, v24, v40
	v_add3_u32 v37, v24, v39, v50
	v_add3_u32 v24, v24, v38, v50
	ds_read_u16 v38, v45 offset:8704
	ds_read_u16 v39, v54 offset:8976
	;; [unrolled: 1-line block ×8, first 2 shown]
	s_waitcnt lgkmcnt(4)
	v_perm_b32 v25, v45, v40, s0
	v_perm_b32 v24, v39, v38, s0
	v_cvt_f32_f16_e32 v45, v41
	v_pk_mul_f16 v37, v36, v53 op_sel_hi:[0,1]
	v_pk_mul_f16 v39, v36, v52 op_sel_hi:[0,1]
	v_perm_b32 v41, v89, v84, s0
	v_perm_b32 v40, v58, v82, s0
	v_cvt_f32_f16_e32 v36, v37
	v_cvt_f32_f16_sdwa v37, v37 dst_sel:DWORD dst_unused:UNUSED_PAD src0_sel:WORD_1
	v_cvt_f32_f16_e32 v38, v39
	v_cvt_f32_f16_sdwa v39, v39 dst_sel:DWORD dst_unused:UNUSED_PAD src0_sel:WORD_1
	v_mfma_f32_16x16x16f16 v[24:27], v[24:25], v[56:57], v[42:45]
	s_waitcnt lgkmcnt(0)
	s_barrier
	s_nop 4
	v_add_f32_e32 v42, v31, v35
	v_fmac_f32_e32 v42, v77, v34
	v_mfma_f32_16x16x16f16 v[34:37], v[40:41], v[28:29], v[36:39]
	s_nop 6
	ds_bpermute_b32 v38, v30, v42
	s_nop 2
	v_cvt_f16_f32_e32 v28, v34
	v_cvt_f16_f32_e32 v29, v35
	;; [unrolled: 1-line block ×4, first 2 shown]
	v_cvt_f32_f16_e32 v34, v28
	v_cvt_f32_f16_e32 v35, v29
	v_perm_b32 v29, v55, v54, s0
	v_perm_b32 v28, v51, v50, s0
	v_cvt_f32_f16_e32 v36, v31
	v_cvt_f32_f16_e32 v37, v37
	v_cmp_gt_u32_e64 s[0:1], 16, v46
	s_nop 0
	v_mfma_f32_16x16x16f16 v[28:31], v[28:29], v[56:57], v[34:37]
	s_waitcnt lgkmcnt(0)
	s_nop 5
	v_add_f32_e32 v34, v42, v38
	ds_bpermute_b32 v35, v33, v34
	s_and_saveexec_b64 s[2:3], s[0:1]
	s_cbranch_execz .LBB25_512
; %bb.511:
	s_waitcnt lgkmcnt(0)
	v_add_f32_e32 v34, v34, v35
	v_or_b32_e32 v35, v49, v46
	v_mad_i32_i24 v35, v35, s4, 0
	ds_write2_b32 v35, v32, v34 offset0:64 offset1:65
.LBB25_512:
	s_or_b64 exec, exec, s[2:3]
	v_cmp_eq_u32_e32 vcc, 0, v73
	v_cmp_ne_u32_e64 s[2:3], 0, v73
	s_waitcnt lgkmcnt(0)
	s_barrier
	s_and_saveexec_b64 s[4:5], s[2:3]
	s_xor_b64 s[2:3], exec, s[4:5]
	s_cbranch_execz .LBB25_514
; %bb.513:
	s_barrier
	s_waitcnt lgkmcnt(0)
                                        ; implicit-def: $vgpr71
                                        ; implicit-def: $vgpr33
.LBB25_514:
	s_andn2_saveexec_b64 s[4:5], s[2:3]
	s_cbranch_execz .LBB25_520
; %bb.515:
	v_and_b32_e32 v32, 31, v46
	v_add_u32_e32 v36, v49, v32
	s_movk_i32 s2, 0x110
	v_mad_i32_i24 v32, v36, s2, 0
	ds_read_b64 v[38:39], v32 offset:256
	s_mov_b32 s2, 0x3fb8aa3b
	s_mov_b32 s6, 0x42b17218
	s_waitcnt lgkmcnt(0)
	s_barrier
	ds_bpermute_b32 v32, v33, v38
	v_max_f32_e32 v34, v38, v38
	s_waitcnt lgkmcnt(0)
	v_max_f32_e32 v32, v32, v32
	v_max_f32_e32 v32, v34, v32
	v_sub_f32_e32 v34, v38, v32
	v_mul_f32_e32 v35, 0x3fb8aa3b, v34
	v_fma_f32 v37, v34, s2, -v35
	v_rndne_f32_e32 v38, v35
	v_fmac_f32_e32 v37, 0x32a5705f, v34
	v_sub_f32_e32 v35, v35, v38
	v_add_f32_e32 v35, v35, v37
	v_cvt_i32_f32_e32 v38, v38
	v_exp_f32_e32 v35, v35
	s_mov_b32 s2, 0xc2ce8ed0
	v_cmp_ngt_f32_e64 s[2:3], s2, v34
	v_mov_b32_e32 v37, 0x7f800000
	v_ldexp_f32 v35, v35, v38
	v_cndmask_b32_e64 v35, 0, v35, s[2:3]
	v_cmp_nlt_f32_e64 s[2:3], s6, v34
	v_cndmask_b32_e64 v34, v37, v35, s[2:3]
	v_mul_f32_e32 v35, v39, v34
	ds_bpermute_b32 v35, v33, v35
	v_cmp_gt_u32_e64 s[2:3], 32, v46
	s_waitcnt lgkmcnt(0)
	v_fmac_f32_e32 v35, v39, v34
	s_and_saveexec_b64 s[8:9], s[2:3]
	s_cbranch_execz .LBB25_517
; %bb.516:
	v_mul_i32_i24_e32 v33, 0x110, v36
	v_add_u32_e32 v33, 0, v33
	ds_write_b64 v33, v[34:35] offset:256
.LBB25_517:
	s_or_b64 exec, exec, s[8:9]
	s_and_saveexec_b64 s[2:3], s[0:1]
	s_cbranch_execz .LBB25_519
; %bb.518:
	s_add_i32 s0, s41, s51
	s_lshl_b32 s0, s0, 5
	s_mov_b32 s1, 0
	s_lshl_b64 s[0:1], s[0:1], 3
	s_add_u32 s0, s26, s0
	v_or_b32_e32 v33, v71, v46
	s_addc_u32 s1, s27, s1
	v_lshlrev_b32_e32 v34, 3, v33
	v_mov_b32_e32 v33, v35
	global_store_dwordx2 v34, v[32:33], s[0:1]
.LBB25_519:
	s_or_b64 exec, exec, s[2:3]
.LBB25_520:
	s_or_b64 exec, exec, s[4:5]
	v_cvt_f16_f32_e32 v0, v0
	v_cvt_f16_f32_e32 v1, v1
	v_cvt_f16_f32_e32 v2, v2
	v_cvt_f16_f32_e32 v3, v3
	v_cvt_f16_f32_e32 v4, v4
	v_cvt_f16_f32_e32 v6, v6
	v_cvt_f16_f32_e32 v7, v7
	v_cvt_f16_f32_e32 v5, v5
	v_pack_b32_f16 v2, v2, v3
	v_pack_b32_f16 v0, v0, v1
	v_pack_b32_f16 v1, v6, v7
	v_pack_b32_f16 v3, v4, v5
	v_cvt_f16_f32_e32 v4, v8
	v_cvt_f16_f32_e32 v5, v9
	v_cvt_f16_f32_e32 v6, v10
	v_cvt_f16_f32_e32 v7, v11
	v_cvt_f16_f32_e32 v8, v12
	v_cvt_f16_f32_e32 v9, v14
	v_cvt_f16_f32_e32 v10, v15
	v_cvt_f16_f32_e32 v11, v13
	v_pack_b32_f16 v6, v6, v7
	v_pack_b32_f16 v4, v4, v5
	v_pack_b32_f16 v5, v9, v10
	v_pack_b32_f16 v7, v8, v11
	;; [unrolled: 12-line block ×3, first 2 shown]
	v_cvt_f16_f32_e32 v14, v26
	v_cvt_f16_f32_e32 v15, v27
	;; [unrolled: 1-line block ×8, first 2 shown]
	v_pack_b32_f16 v14, v14, v15
	v_pack_b32_f16 v15, v16, v19
	v_or_b32_e32 v16, v49, v47
	s_movk_i32 s0, 0x44
	v_mad_i32_i24 v16, v16, s0, v48
	s_mov_b32 s3, 0
	v_lshl_add_u32 v16, v16, 2, 0
	v_pack_b32_f16 v12, v12, v13
	v_pack_b32_f16 v13, v17, v18
	ds_write2_b32 v16, v0, v2 offset1:1
	ds_write2_b32 v16, v3, v1 offset0:8 offset1:9
	ds_write2_b32 v16, v4, v6 offset0:16 offset1:17
	;; [unrolled: 1-line block ×7, first 2 shown]
	s_waitcnt lgkmcnt(0)
	s_barrier
	s_and_saveexec_b64 s[0:1], vcc
	s_cbranch_execz .LBB25_522
; %bb.521:
	s_lshl_b32 s2, s41, 6
	s_lshl_b64 s[4:5], s[2:3], 3
	s_add_u32 s6, s26, s4
	v_bfe_u32 v8, v69, 1, 4
	s_movk_i32 s4, 0x3e0
	v_and_or_b32 v0, v69, s4, v8
	s_movk_i32 s4, 0x110
	v_mad_u32_u24 v2, v0, s4, 0
	v_lshlrev_b32_e32 v9, 2, v46
	v_add_u32_e32 v0, v2, v9
	ds_read2st64_b32 v[0:1], v0 offset1:17
	ds_read2st64_b32 v[2:3], v2 offset0:1 offset1:18
	s_addc_u32 s5, s27, s5
	s_lshl_b32 s2, s51, 11
	s_lshl_b64 s[2:3], s[2:3], 3
	s_waitcnt lgkmcnt(1)
	v_cvt_f32_f16_e32 v4, v0
	v_cvt_f32_f16_sdwa v5, v0 dst_sel:DWORD dst_unused:UNUSED_PAD src0_sel:WORD_1
	v_cvt_f32_f16_e32 v0, v1
	v_cvt_f32_f16_sdwa v1, v1 dst_sel:DWORD dst_unused:UNUSED_PAD src0_sel:WORD_1
	s_add_u32 s2, s6, s2
	s_waitcnt lgkmcnt(0)
	v_pk_fma_f32 v[4:5], v[2:3], v[4:5], 0 op_sel_hi:[0,1,0]
	v_mov_b32_e32 v2, v3
	v_pk_fma_f32 v[0:1], v[2:3], v[0:1], v[4:5] op_sel_hi:[0,1,1]
	v_add_u32_e32 v4, 2, v67
	s_addc_u32 s3, s5, s3
	v_lshlrev_b32_e32 v2, 1, v4
	v_and_b32_e32 v3, 15, v4
	s_movk_i32 s5, 0x7e0
	v_and_or_b32 v2, v2, s5, v3
	v_mad_u32_u24 v5, v2, s4, 0
	v_add_u32_e32 v2, v5, v9
	v_lshlrev_b32_e32 v6, 5, v69
	ds_read2st64_b32 v[2:3], v2 offset1:17
	v_add_lshl_u32 v6, v6, v46, 3
	v_add_u32_e32 v11, 4, v67
	global_store_dwordx2 v6, v[0:1], s[2:3]
	v_lshlrev_b32_e32 v6, 1, v11
	v_and_b32_e32 v7, 15, v11
	v_and_or_b32 v6, v6, s5, v7
	v_lshlrev_b32_e32 v4, 6, v4
	ds_read2st64_b32 v[0:1], v5 offset0:1 offset1:18
	v_mad_u32_u24 v12, v6, s4, 0
	v_add_lshl_u32 v10, v4, v46, 3
	s_waitcnt lgkmcnt(1)
	v_cvt_f32_f16_e32 v4, v2
	v_cvt_f32_f16_sdwa v5, v2 dst_sel:DWORD dst_unused:UNUSED_PAD src0_sel:WORD_1
	v_add_u32_e32 v6, v12, v9
	v_cvt_f32_f16_e32 v2, v3
	v_cvt_f32_f16_sdwa v3, v3 dst_sel:DWORD dst_unused:UNUSED_PAD src0_sel:WORD_1
	ds_read2st64_b32 v[6:7], v6 offset1:17
	s_waitcnt lgkmcnt(1)
	v_pk_fma_f32 v[4:5], v[0:1], v[4:5], 0 op_sel_hi:[0,1,0]
	v_mov_b32_e32 v0, v1
	v_pk_fma_f32 v[0:1], v[0:1], v[2:3], v[4:5] op_sel_hi:[0,1,1]
	ds_read2st64_b32 v[2:3], v12 offset0:1 offset1:18
	s_waitcnt lgkmcnt(1)
	v_cvt_f32_f16_e32 v4, v6
	v_cvt_f32_f16_sdwa v5, v6 dst_sel:DWORD dst_unused:UNUSED_PAD src0_sel:WORD_1
	global_store_dwordx2 v10, v[0:1], s[2:3]
	v_lshlrev_b32_e32 v0, 6, v11
	v_add_lshl_u32 v10, v0, v46, 3
	s_waitcnt lgkmcnt(0)
	v_pk_fma_f32 v[0:1], v[2:3], v[4:5], 0 op_sel_hi:[0,1,0]
	v_mov_b32_e32 v2, v3
	v_add_u32_e32 v3, 6, v67
	v_cvt_f32_f16_e32 v4, v7
	v_cvt_f32_f16_sdwa v5, v7 dst_sel:DWORD dst_unused:UNUSED_PAD src0_sel:WORD_1
	v_lshlrev_b32_e32 v6, 1, v3
	v_and_b32_e32 v7, 15, v3
	v_and_or_b32 v6, v6, s5, v7
	v_mad_u32_u24 v11, v6, s4, 0
	v_add_u32_e32 v6, v11, v9
	ds_read2st64_b32 v[6:7], v6 offset1:17
	v_pk_fma_f32 v[0:1], v[2:3], v[4:5], v[0:1] op_sel_hi:[0,1,1]
	global_store_dwordx2 v10, v[0:1], s[2:3]
	ds_read2st64_b32 v[0:1], v11 offset0:1 offset1:18
	v_lshlrev_b32_e32 v10, 6, v3
	s_waitcnt lgkmcnt(1)
	v_cvt_f32_f16_e32 v2, v6
	v_cvt_f32_f16_sdwa v3, v6 dst_sel:DWORD dst_unused:UNUSED_PAD src0_sel:WORD_1
	v_cvt_f32_f16_e32 v4, v7
	v_cvt_f32_f16_sdwa v5, v7 dst_sel:DWORD dst_unused:UNUSED_PAD src0_sel:WORD_1
	v_add_lshl_u32 v6, v10, v46, 3
	s_waitcnt lgkmcnt(0)
	v_pk_fma_f32 v[2:3], v[0:1], v[2:3], 0 op_sel_hi:[0,1,0]
	v_mov_b32_e32 v0, v1
	v_pk_fma_f32 v[0:1], v[0:1], v[4:5], v[2:3] op_sel_hi:[0,1,1]
	v_add_u32_e32 v4, 8, v67
	v_lshlrev_b32_e32 v2, 1, v4
	v_and_b32_e32 v3, 15, v4
	v_and_or_b32 v2, v2, s5, v3
	v_mad_u32_u24 v5, v2, s4, 0
	v_add_u32_e32 v2, v5, v9
	ds_read2st64_b32 v[2:3], v2 offset1:17
	v_add_u32_e32 v11, 10, v67
	global_store_dwordx2 v6, v[0:1], s[2:3]
	v_lshlrev_b32_e32 v6, 1, v11
	v_and_b32_e32 v7, 15, v11
	v_and_or_b32 v6, v6, s5, v7
	v_lshlrev_b32_e32 v4, 6, v4
	ds_read2st64_b32 v[0:1], v5 offset0:1 offset1:18
	v_mad_u32_u24 v12, v6, s4, 0
	v_add_lshl_u32 v10, v4, v46, 3
	s_waitcnt lgkmcnt(1)
	v_cvt_f32_f16_e32 v4, v2
	v_cvt_f32_f16_sdwa v5, v2 dst_sel:DWORD dst_unused:UNUSED_PAD src0_sel:WORD_1
	v_add_u32_e32 v6, v12, v9
	v_cvt_f32_f16_e32 v2, v3
	v_cvt_f32_f16_sdwa v3, v3 dst_sel:DWORD dst_unused:UNUSED_PAD src0_sel:WORD_1
	ds_read2st64_b32 v[6:7], v6 offset1:17
	s_waitcnt lgkmcnt(1)
	v_pk_fma_f32 v[4:5], v[0:1], v[4:5], 0 op_sel_hi:[0,1,0]
	v_mov_b32_e32 v0, v1
	v_pk_fma_f32 v[0:1], v[0:1], v[2:3], v[4:5] op_sel_hi:[0,1,1]
	ds_read2st64_b32 v[2:3], v12 offset0:1 offset1:18
	s_waitcnt lgkmcnt(1)
	v_cvt_f32_f16_e32 v4, v6
	v_cvt_f32_f16_sdwa v5, v6 dst_sel:DWORD dst_unused:UNUSED_PAD src0_sel:WORD_1
	global_store_dwordx2 v10, v[0:1], s[2:3]
	v_lshlrev_b32_e32 v0, 6, v11
	v_add_lshl_u32 v10, v0, v46, 3
	s_waitcnt lgkmcnt(0)
	v_pk_fma_f32 v[0:1], v[2:3], v[4:5], 0 op_sel_hi:[0,1,0]
	v_mov_b32_e32 v2, v3
	v_add_u32_e32 v3, 12, v67
	v_cvt_f32_f16_e32 v4, v7
	v_cvt_f32_f16_sdwa v5, v7 dst_sel:DWORD dst_unused:UNUSED_PAD src0_sel:WORD_1
	v_lshlrev_b32_e32 v6, 1, v3
	v_and_b32_e32 v7, 15, v3
	v_and_or_b32 v6, v6, s5, v7
	v_mad_u32_u24 v11, v6, s4, 0
	v_add_u32_e32 v6, v11, v9
	ds_read2st64_b32 v[6:7], v6 offset1:17
	v_pk_fma_f32 v[0:1], v[2:3], v[4:5], v[0:1] op_sel_hi:[0,1,1]
	global_store_dwordx2 v10, v[0:1], s[2:3]
	ds_read2st64_b32 v[0:1], v11 offset0:1 offset1:18
	v_lshlrev_b32_e32 v10, 6, v3
	s_waitcnt lgkmcnt(1)
	v_cvt_f32_f16_e32 v2, v6
	v_cvt_f32_f16_sdwa v3, v6 dst_sel:DWORD dst_unused:UNUSED_PAD src0_sel:WORD_1
	v_cvt_f32_f16_e32 v4, v7
	v_cvt_f32_f16_sdwa v5, v7 dst_sel:DWORD dst_unused:UNUSED_PAD src0_sel:WORD_1
	v_add_lshl_u32 v6, v10, v46, 3
	s_waitcnt lgkmcnt(0)
	v_pk_fma_f32 v[2:3], v[0:1], v[2:3], 0 op_sel_hi:[0,1,0]
	v_mov_b32_e32 v0, v1
	v_pk_fma_f32 v[0:1], v[0:1], v[4:5], v[2:3] op_sel_hi:[0,1,1]
	v_add_u32_e32 v4, 14, v67
	v_lshlrev_b32_e32 v2, 1, v4
	v_and_b32_e32 v3, 15, v4
	v_and_or_b32 v2, v2, s5, v3
	v_mad_u32_u24 v5, v2, s4, 0
	v_add_u32_e32 v2, v5, v9
	ds_read2st64_b32 v[2:3], v2 offset1:17
	v_add_u32_e32 v11, 16, v67
	global_store_dwordx2 v6, v[0:1], s[2:3]
	v_lshlrev_b32_e32 v6, 1, v11
	v_and_or_b32 v6, v6, s5, v8
	v_lshlrev_b32_e32 v4, 6, v4
	ds_read2st64_b32 v[0:1], v5 offset0:1 offset1:18
	v_mad_u32_u24 v8, v6, s4, 0
	v_add_lshl_u32 v10, v4, v46, 3
	s_waitcnt lgkmcnt(1)
	v_cvt_f32_f16_e32 v4, v2
	v_cvt_f32_f16_sdwa v5, v2 dst_sel:DWORD dst_unused:UNUSED_PAD src0_sel:WORD_1
	v_add_u32_e32 v6, v8, v9
	v_cvt_f32_f16_e32 v2, v3
	v_cvt_f32_f16_sdwa v3, v3 dst_sel:DWORD dst_unused:UNUSED_PAD src0_sel:WORD_1
	ds_read2st64_b32 v[6:7], v6 offset1:17
	s_waitcnt lgkmcnt(1)
	v_pk_fma_f32 v[4:5], v[0:1], v[4:5], 0 op_sel_hi:[0,1,0]
	v_mov_b32_e32 v0, v1
	v_pk_fma_f32 v[0:1], v[0:1], v[2:3], v[4:5] op_sel_hi:[0,1,1]
	ds_read2st64_b32 v[2:3], v8 offset0:1 offset1:18
	s_waitcnt lgkmcnt(1)
	v_cvt_f32_f16_e32 v4, v6
	v_cvt_f32_f16_sdwa v5, v6 dst_sel:DWORD dst_unused:UNUSED_PAD src0_sel:WORD_1
	global_store_dwordx2 v10, v[0:1], s[2:3]
	v_lshlrev_b32_e32 v0, 6, v11
	v_add_lshl_u32 v8, v0, v46, 3
	s_waitcnt lgkmcnt(0)
	v_pk_fma_f32 v[0:1], v[2:3], v[4:5], 0 op_sel_hi:[0,1,0]
	v_mov_b32_e32 v2, v3
	v_add_u32_e32 v3, 18, v67
	v_cvt_f32_f16_e32 v4, v7
	v_cvt_f32_f16_sdwa v5, v7 dst_sel:DWORD dst_unused:UNUSED_PAD src0_sel:WORD_1
	v_lshlrev_b32_e32 v6, 1, v3
	v_and_b32_e32 v7, 15, v3
	v_and_or_b32 v6, v6, s5, v7
	v_mad_u32_u24 v10, v6, s4, 0
	v_add_u32_e32 v6, v10, v9
	ds_read2st64_b32 v[6:7], v6 offset1:17
	v_pk_fma_f32 v[0:1], v[2:3], v[4:5], v[0:1] op_sel_hi:[0,1,1]
	global_store_dwordx2 v8, v[0:1], s[2:3]
	ds_read2st64_b32 v[0:1], v10 offset0:1 offset1:18
	v_lshlrev_b32_e32 v8, 6, v3
	s_waitcnt lgkmcnt(1)
	v_cvt_f32_f16_e32 v2, v6
	v_cvt_f32_f16_sdwa v3, v6 dst_sel:DWORD dst_unused:UNUSED_PAD src0_sel:WORD_1
	v_cvt_f32_f16_e32 v4, v7
	v_cvt_f32_f16_sdwa v5, v7 dst_sel:DWORD dst_unused:UNUSED_PAD src0_sel:WORD_1
	v_add_lshl_u32 v6, v8, v46, 3
	s_waitcnt lgkmcnt(0)
	v_pk_fma_f32 v[2:3], v[0:1], v[2:3], 0 op_sel_hi:[0,1,0]
	v_mov_b32_e32 v0, v1
	v_pk_fma_f32 v[0:1], v[0:1], v[4:5], v[2:3] op_sel_hi:[0,1,1]
	v_add_u32_e32 v4, 20, v67
	v_lshlrev_b32_e32 v2, 1, v4
	v_and_b32_e32 v3, 15, v4
	v_and_or_b32 v2, v2, s5, v3
	v_mad_u32_u24 v5, v2, s4, 0
	v_add_u32_e32 v2, v5, v9
	ds_read2st64_b32 v[2:3], v2 offset1:17
	v_add_u32_e32 v10, 22, v67
	global_store_dwordx2 v6, v[0:1], s[2:3]
	v_lshlrev_b32_e32 v6, 1, v10
	v_and_b32_e32 v7, 15, v10
	v_and_or_b32 v6, v6, s5, v7
	v_lshlrev_b32_e32 v4, 6, v4
	ds_read2st64_b32 v[0:1], v5 offset0:1 offset1:18
	v_mad_u32_u24 v11, v6, s4, 0
	v_add_lshl_u32 v8, v4, v46, 3
	s_waitcnt lgkmcnt(1)
	v_cvt_f32_f16_e32 v4, v2
	v_cvt_f32_f16_sdwa v5, v2 dst_sel:DWORD dst_unused:UNUSED_PAD src0_sel:WORD_1
	v_add_u32_e32 v6, v11, v9
	v_cvt_f32_f16_e32 v2, v3
	v_cvt_f32_f16_sdwa v3, v3 dst_sel:DWORD dst_unused:UNUSED_PAD src0_sel:WORD_1
	ds_read2st64_b32 v[6:7], v6 offset1:17
	s_waitcnt lgkmcnt(1)
	v_pk_fma_f32 v[4:5], v[0:1], v[4:5], 0 op_sel_hi:[0,1,0]
	v_mov_b32_e32 v0, v1
	v_pk_fma_f32 v[0:1], v[0:1], v[2:3], v[4:5] op_sel_hi:[0,1,1]
	ds_read2st64_b32 v[2:3], v11 offset0:1 offset1:18
	s_waitcnt lgkmcnt(1)
	v_cvt_f32_f16_e32 v4, v6
	v_cvt_f32_f16_sdwa v5, v6 dst_sel:DWORD dst_unused:UNUSED_PAD src0_sel:WORD_1
	global_store_dwordx2 v8, v[0:1], s[2:3]
	v_lshlrev_b32_e32 v0, 6, v10
	v_add_lshl_u32 v8, v0, v46, 3
	s_waitcnt lgkmcnt(0)
	v_pk_fma_f32 v[0:1], v[2:3], v[4:5], 0 op_sel_hi:[0,1,0]
	v_mov_b32_e32 v2, v3
	v_add_u32_e32 v3, 24, v67
	v_cvt_f32_f16_e32 v4, v7
	v_cvt_f32_f16_sdwa v5, v7 dst_sel:DWORD dst_unused:UNUSED_PAD src0_sel:WORD_1
	v_lshlrev_b32_e32 v6, 1, v3
	v_and_b32_e32 v7, 15, v3
	v_and_or_b32 v6, v6, s5, v7
	v_mad_u32_u24 v10, v6, s4, 0
	v_add_u32_e32 v6, v10, v9
	ds_read2st64_b32 v[6:7], v6 offset1:17
	v_pk_fma_f32 v[0:1], v[2:3], v[4:5], v[0:1] op_sel_hi:[0,1,1]
	global_store_dwordx2 v8, v[0:1], s[2:3]
	ds_read2st64_b32 v[0:1], v10 offset0:1 offset1:18
	v_lshlrev_b32_e32 v8, 6, v3
	s_waitcnt lgkmcnt(1)
	v_cvt_f32_f16_e32 v2, v6
	v_cvt_f32_f16_sdwa v3, v6 dst_sel:DWORD dst_unused:UNUSED_PAD src0_sel:WORD_1
	v_cvt_f32_f16_e32 v4, v7
	v_cvt_f32_f16_sdwa v5, v7 dst_sel:DWORD dst_unused:UNUSED_PAD src0_sel:WORD_1
	v_add_lshl_u32 v6, v8, v46, 3
	s_waitcnt lgkmcnt(0)
	v_pk_fma_f32 v[2:3], v[0:1], v[2:3], 0 op_sel_hi:[0,1,0]
	v_mov_b32_e32 v0, v1
	v_pk_fma_f32 v[0:1], v[0:1], v[4:5], v[2:3] op_sel_hi:[0,1,1]
	v_add_u32_e32 v4, 26, v67
	v_lshlrev_b32_e32 v2, 1, v4
	v_and_b32_e32 v3, 15, v4
	v_and_or_b32 v2, v2, s5, v3
	v_mad_u32_u24 v5, v2, s4, 0
	v_add_u32_e32 v2, v5, v9
	ds_read2st64_b32 v[2:3], v2 offset1:17
	v_add_u32_e32 v10, 28, v67
	global_store_dwordx2 v6, v[0:1], s[2:3]
	v_lshlrev_b32_e32 v6, 1, v10
	v_and_b32_e32 v7, 15, v10
	v_and_or_b32 v6, v6, s5, v7
	v_lshlrev_b32_e32 v4, 6, v4
	ds_read2st64_b32 v[0:1], v5 offset0:1 offset1:18
	v_mad_u32_u24 v11, v6, s4, 0
	v_add_lshl_u32 v8, v4, v46, 3
	s_waitcnt lgkmcnt(1)
	v_cvt_f32_f16_e32 v4, v2
	v_cvt_f32_f16_sdwa v5, v2 dst_sel:DWORD dst_unused:UNUSED_PAD src0_sel:WORD_1
	v_add_u32_e32 v6, v11, v9
	v_cvt_f32_f16_e32 v2, v3
	v_cvt_f32_f16_sdwa v3, v3 dst_sel:DWORD dst_unused:UNUSED_PAD src0_sel:WORD_1
	ds_read2st64_b32 v[6:7], v6 offset1:17
	s_waitcnt lgkmcnt(1)
	v_pk_fma_f32 v[4:5], v[0:1], v[4:5], 0 op_sel_hi:[0,1,0]
	v_mov_b32_e32 v0, v1
	v_pk_fma_f32 v[0:1], v[0:1], v[2:3], v[4:5] op_sel_hi:[0,1,1]
	ds_read2st64_b32 v[2:3], v11 offset0:1 offset1:18
	s_waitcnt lgkmcnt(1)
	v_cvt_f32_f16_e32 v4, v6
	v_cvt_f32_f16_sdwa v5, v6 dst_sel:DWORD dst_unused:UNUSED_PAD src0_sel:WORD_1
	global_store_dwordx2 v8, v[0:1], s[2:3]
	v_lshlrev_b32_e32 v0, 6, v10
	v_add_lshl_u32 v8, v0, v46, 3
	s_waitcnt lgkmcnt(0)
	v_pk_fma_f32 v[0:1], v[2:3], v[4:5], 0 op_sel_hi:[0,1,0]
	v_mov_b32_e32 v2, v3
	v_add_u32_e32 v3, 30, v67
	v_cvt_f32_f16_e32 v4, v7
	v_cvt_f32_f16_sdwa v5, v7 dst_sel:DWORD dst_unused:UNUSED_PAD src0_sel:WORD_1
	v_lshlrev_b32_e32 v6, 1, v3
	v_and_b32_e32 v7, 15, v3
	v_and_or_b32 v6, v6, s5, v7
	v_mad_u32_u24 v10, v6, s4, 0
	v_add_u32_e32 v6, v10, v9
	ds_read2st64_b32 v[6:7], v6 offset1:17
	v_pk_fma_f32 v[0:1], v[2:3], v[4:5], v[0:1] op_sel_hi:[0,1,1]
	global_store_dwordx2 v8, v[0:1], s[2:3]
	ds_read2st64_b32 v[0:1], v10 offset0:1 offset1:18
	v_lshlrev_b32_e32 v8, 6, v3
	s_waitcnt lgkmcnt(1)
	v_cvt_f32_f16_e32 v2, v6
	v_cvt_f32_f16_sdwa v3, v6 dst_sel:DWORD dst_unused:UNUSED_PAD src0_sel:WORD_1
	v_cvt_f32_f16_e32 v4, v7
	v_cvt_f32_f16_sdwa v5, v7 dst_sel:DWORD dst_unused:UNUSED_PAD src0_sel:WORD_1
	v_add_lshl_u32 v6, v8, v46, 3
	s_waitcnt lgkmcnt(0)
	v_pk_fma_f32 v[2:3], v[0:1], v[2:3], 0 op_sel_hi:[0,1,0]
	v_mov_b32_e32 v0, v1
	v_pk_fma_f32 v[0:1], v[0:1], v[4:5], v[2:3] op_sel_hi:[0,1,1]
	global_store_dwordx2 v6, v[0:1], s[2:3]
.LBB25_522:
	s_or_b64 exec, exec, s[0:1]
	s_barrier
	s_endpgm
	.section	.rodata,"a",@progbits
	.p2align	6, 0x0
	.amdhsa_kernel _ZL18flash_attn_ext_f16ILi128ELi128ELi16ELi2ELb1ELb0EEvPKcS1_S1_S1_S1_PKiPfP15HIP_vector_typeIfLj2EEffffjfiS5_IjLj3EEiiiiiiiiiiiliiliiiiil
		.amdhsa_group_segment_fixed_size 0
		.amdhsa_private_segment_fixed_size 8
		.amdhsa_kernarg_size 464
		.amdhsa_user_sgpr_count 6
		.amdhsa_user_sgpr_private_segment_buffer 1
		.amdhsa_user_sgpr_dispatch_ptr 0
		.amdhsa_user_sgpr_queue_ptr 0
		.amdhsa_user_sgpr_kernarg_segment_ptr 1
		.amdhsa_user_sgpr_dispatch_id 0
		.amdhsa_user_sgpr_flat_scratch_init 0
		.amdhsa_user_sgpr_kernarg_preload_length 0
		.amdhsa_user_sgpr_kernarg_preload_offset 0
		.amdhsa_user_sgpr_private_segment_size 0
		.amdhsa_uses_dynamic_stack 0
		.amdhsa_system_sgpr_private_segment_wavefront_offset 1
		.amdhsa_system_sgpr_workgroup_id_x 1
		.amdhsa_system_sgpr_workgroup_id_y 0
		.amdhsa_system_sgpr_workgroup_id_z 0
		.amdhsa_system_sgpr_workgroup_info 0
		.amdhsa_system_vgpr_workitem_id 1
		.amdhsa_next_free_vgpr 256
		.amdhsa_next_free_sgpr 100
		.amdhsa_accum_offset 256
		.amdhsa_reserve_vcc 1
		.amdhsa_reserve_flat_scratch 0
		.amdhsa_float_round_mode_32 0
		.amdhsa_float_round_mode_16_64 0
		.amdhsa_float_denorm_mode_32 3
		.amdhsa_float_denorm_mode_16_64 3
		.amdhsa_dx10_clamp 1
		.amdhsa_ieee_mode 1
		.amdhsa_fp16_overflow 0
		.amdhsa_tg_split 0
		.amdhsa_exception_fp_ieee_invalid_op 0
		.amdhsa_exception_fp_denorm_src 0
		.amdhsa_exception_fp_ieee_div_zero 0
		.amdhsa_exception_fp_ieee_overflow 0
		.amdhsa_exception_fp_ieee_underflow 0
		.amdhsa_exception_fp_ieee_inexact 0
		.amdhsa_exception_int_div_zero 0
	.end_amdhsa_kernel
	.section	.text._ZL18flash_attn_ext_f16ILi128ELi128ELi16ELi2ELb1ELb0EEvPKcS1_S1_S1_S1_PKiPfP15HIP_vector_typeIfLj2EEffffjfiS5_IjLj3EEiiiiiiiiiiiliiliiiiil,"axG",@progbits,_ZL18flash_attn_ext_f16ILi128ELi128ELi16ELi2ELb1ELb0EEvPKcS1_S1_S1_S1_PKiPfP15HIP_vector_typeIfLj2EEffffjfiS5_IjLj3EEiiiiiiiiiiiliiliiiiil,comdat
.Lfunc_end25:
	.size	_ZL18flash_attn_ext_f16ILi128ELi128ELi16ELi2ELb1ELb0EEvPKcS1_S1_S1_S1_PKiPfP15HIP_vector_typeIfLj2EEffffjfiS5_IjLj3EEiiiiiiiiiiiliiliiiiil, .Lfunc_end25-_ZL18flash_attn_ext_f16ILi128ELi128ELi16ELi2ELb1ELb0EEvPKcS1_S1_S1_S1_PKiPfP15HIP_vector_typeIfLj2EEffffjfiS5_IjLj3EEiiiiiiiiiiiliiliiiiil
                                        ; -- End function
	.section	.AMDGPU.csdata,"",@progbits
; Kernel info:
; codeLenInByte = 57440
; NumSgprs: 104
; NumVgprs: 256
; NumAgprs: 0
; TotalNumVgprs: 256
; ScratchSize: 8
; MemoryBound: 0
; FloatMode: 240
; IeeeMode: 1
; LDSByteSize: 0 bytes/workgroup (compile time only)
; SGPRBlocks: 12
; VGPRBlocks: 31
; NumSGPRsForWavesPerEU: 104
; NumVGPRsForWavesPerEU: 256
; AccumOffset: 256
; Occupancy: 2
; WaveLimiterHint : 0
; COMPUTE_PGM_RSRC2:SCRATCH_EN: 1
; COMPUTE_PGM_RSRC2:USER_SGPR: 6
; COMPUTE_PGM_RSRC2:TRAP_HANDLER: 0
; COMPUTE_PGM_RSRC2:TGID_X_EN: 1
; COMPUTE_PGM_RSRC2:TGID_Y_EN: 0
; COMPUTE_PGM_RSRC2:TGID_Z_EN: 0
; COMPUTE_PGM_RSRC2:TIDIG_COMP_CNT: 1
; COMPUTE_PGM_RSRC3_GFX90A:ACCUM_OFFSET: 63
; COMPUTE_PGM_RSRC3_GFX90A:TG_SPLIT: 0
	.section	.text._ZL33flash_attn_stream_k_fixup_uniformILi128ELi16ELi2EEvPfPK15HIP_vector_typeIfLj2EEiiiiiiS1_IjLj3EES5_S5_,"axG",@progbits,_ZL33flash_attn_stream_k_fixup_uniformILi128ELi16ELi2EEvPfPK15HIP_vector_typeIfLj2EEiiiiiiS1_IjLj3EES5_S5_,comdat
	.globl	_ZL33flash_attn_stream_k_fixup_uniformILi128ELi16ELi2EEvPfPK15HIP_vector_typeIfLj2EEiiiiiiS1_IjLj3EES5_S5_ ; -- Begin function _ZL33flash_attn_stream_k_fixup_uniformILi128ELi16ELi2EEvPfPK15HIP_vector_typeIfLj2EEiiiiiiS1_IjLj3EES5_S5_
	.p2align	8
	.type	_ZL33flash_attn_stream_k_fixup_uniformILi128ELi16ELi2EEvPfPK15HIP_vector_typeIfLj2EEiiiiiiS1_IjLj3EES5_S5_,@function
_ZL33flash_attn_stream_k_fixup_uniformILi128ELi16ELi2EEvPfPK15HIP_vector_typeIfLj2EEiiiiiiS1_IjLj3EES5_S5_: ; @_ZL33flash_attn_stream_k_fixup_uniformILi128ELi16ELi2EEvPfPK15HIP_vector_typeIfLj2EEiiiiiiS1_IjLj3EES5_S5_
; %bb.0:
	s_load_dwordx8 s[12:19], s[4:5], 0x1c
	s_load_dwordx2 s[10:11], s[4:5], 0x10
	s_load_dwordx4 s[0:3], s[4:5], 0x3c
	s_waitcnt lgkmcnt(0)
	s_mul_hi_u32 s9, s15, s6
	s_add_i32 s9, s6, s9
	s_lshr_b32 s9, s9, s16
	s_mul_i32 s15, s9, s17
	s_sub_i32 s15, s6, s15
	s_mul_hi_u32 s16, s15, s18
	s_add_i32 s16, s15, s16
	s_lshr_b32 s16, s16, s19
	s_mul_i32 s0, s16, s0
	s_sub_i32 s0, s15, s0
	s_mul_hi_u32 s1, s0, s1
	s_add_i32 s1, s0, s1
	s_lshr_b32 s1, s1, s2
	s_mul_i32 s2, s1, s3
	s_sub_i32 s17, s0, s2
	s_lshl_b32 s0, s17, 4
	s_lshl_b32 s15, s1, 1
	s_add_i32 s0, s0, s7
	s_cmp_lt_i32 s0, s10
	s_cselect_b64 s[0:1], -1, 0
	s_add_i32 s2, s15, s8
	s_cmp_lt_i32 s2, s13
	s_cselect_b64 s[2:3], -1, 0
	s_and_b64 s[0:1], s[0:1], s[2:3]
	s_andn2_b64 vcc, exec, s[0:1]
	s_cbranch_vccnz .LBB26_6
; %bb.1:
	s_load_dwordx4 s[0:3], s[4:5], 0x0
	s_mul_i32 s4, s9, s10
	s_add_i32 s4, s4, s7
	s_mul_i32 s4, s4, s11
	s_mul_i32 s16, s16, s13
	s_add_i32 s4, s4, s8
	s_add_i32 s4, s4, s16
	s_mul_i32 s5, s11, s17
	s_add_i32 s4, s4, s15
	s_lshl_b32 s5, s5, 11
	s_lshl_b32 s4, s4, 7
	s_add_i32 s5, s5, s4
	v_or_b32_e32 v2, s5, v0
	v_ashrrev_i32_e32 v3, 31, v2
	v_lshlrev_b64 v[2:3], 2, v[2:3]
	s_waitcnt lgkmcnt(0)
	v_mov_b32_e32 v1, s1
	v_add_co_u32_e32 v2, vcc, s0, v2
	v_addc_co_u32_e32 v3, vcc, v1, v3, vcc
	global_load_dword v8, v[2:3], off
	s_mul_i32 s9, s6, s14
	s_lshl_b32 s4, s7, 1
	s_add_i32 s11, s9, s14
	s_add_i32 s0, s4, s8
	s_lshl_b32 s1, s11, 5
	s_add_i32 s0, s0, s1
	s_sub_i32 s0, s0, 32
	s_ashr_i32 s1, s0, 31
	s_lshl_b64 s[0:1], s[0:1], 3
	s_add_u32 s0, s2, s0
	s_addc_u32 s1, s3, s1
	s_load_dword s5, s[0:1], 0x4
	s_add_i32 s10, s11, -2
	s_cmp_lt_i32 s10, s9
	s_cbranch_scc1 .LBB26_4
; %bb.2:
	s_lshl_b32 s16, s12, 7
	s_ashr_i32 s17, s16, 31
	s_lshl_b64 s[16:17], s[16:17], 2
	s_add_u32 s10, s2, s16
	s_addc_u32 s13, s3, s17
	s_add_i32 s6, s6, 1
	s_load_dword s0, s[0:1], 0x0
	s_mul_i32 s1, s14, s6
	s_lshl_b32 s7, s7, 8
	s_lshl_b32 s14, s8, 7
	;; [unrolled: 1-line block ×3, first 2 shown]
	s_add_i32 s7, s14, s7
	s_lshl_b32 s1, s1, 5
	s_add_i32 s7, s7, s6
	s_add_i32 s1, s8, s1
	s_lshl_b32 s6, s12, 5
	s_add_i32 s1, s1, s6
	v_or_b32_e32 v0, s7, v0
	s_add_i32 s1, s1, s4
	s_add_i32 s11, s11, -1
	v_add_u32_e32 v0, 0xffffe000, v0
	s_sub_i32 s4, s1, 64
	s_waitcnt lgkmcnt(0)
	v_mov_b32_e32 v7, s5
	v_mov_b32_e32 v6, s0
	;; [unrolled: 1-line block ×3, first 2 shown]
	s_mov_b32 s6, 0x3fb8aa3b
	s_mov_b32 s7, 0xc2ce8ed0
	;; [unrolled: 1-line block ×3, first 2 shown]
	v_mov_b32_e32 v5, 0x7f800000
	s_mov_b32 s12, 0xc1a00000
.LBB26_3:                               ; =>This Inner Loop Header: Depth=1
	v_ashrrev_i32_e32 v1, 31, v0
	v_lshlrev_b64 v[10:11], 2, v[0:1]
	v_add_co_u32_e32 v10, vcc, s10, v10
	v_addc_co_u32_e32 v11, vcc, v4, v11, vcc
	global_load_dword v1, v[10:11], off
	s_ashr_i32 s5, s4, 31
	s_lshl_b64 s[0:1], s[4:5], 3
	s_add_u32 s0, s2, s0
	s_addc_u32 s1, s3, s1
	s_load_dwordx2 s[14:15], s[0:1], 0x0
	s_waitcnt vmcnt(1)
	v_mov_b32_e32 v9, v8
	v_max_f32_e32 v8, v6, v6
	v_mov_b32_e32 v10, v7
	s_add_i32 s11, s11, -1
	s_waitcnt lgkmcnt(0)
	v_max_f32_e64 v7, s14, s14
	v_max_f32_e32 v7, v8, v7
	v_sub_f32_e32 v11, s14, v7
	v_sub_f32_e32 v8, v6, v7
	v_mul_f32_e32 v12, 0x3fb8aa3b, v11
	v_mov_b32_e32 v6, v7
	v_mul_f32_e32 v7, 0x3fb8aa3b, v8
	v_fma_f32 v15, v11, s6, -v12
	v_rndne_f32_e32 v16, v12
	v_fma_f32 v13, v8, s6, -v7
	v_rndne_f32_e32 v14, v7
	v_fmac_f32_e32 v15, 0x32a5705f, v11
	v_sub_f32_e32 v12, v12, v16
	v_fmac_f32_e32 v13, 0x32a5705f, v8
	v_sub_f32_e32 v7, v7, v14
	v_add_f32_e32 v12, v12, v15
	v_cvt_i32_f32_e32 v16, v16
	v_add_f32_e32 v7, v7, v13
	v_exp_f32_e32 v12, v12
	v_cvt_i32_f32_e32 v14, v14
	v_exp_f32_e32 v7, v7
	v_cmp_ngt_f32_e32 vcc, s7, v11
	v_ldexp_f32 v12, v12, v16
	v_cmp_ngt_f32_e64 s[0:1], s7, v8
	v_ldexp_f32 v7, v7, v14
	v_cndmask_b32_e32 v12, 0, v12, vcc
	v_cmp_nlt_f32_e32 vcc, s8, v11
	v_cndmask_b32_e64 v7, 0, v7, s[0:1]
	v_cmp_nlt_f32_e64 s[0:1], s8, v8
	v_cndmask_b32_e32 v12, v5, v12, vcc
	v_cmp_le_f32_e32 vcc, s12, v11
	v_cndmask_b32_e64 v7, v5, v7, s[0:1]
	v_cmp_le_f32_e64 s[0:1], s12, v8
	v_cndmask_b32_e32 v8, 0, v12, vcc
	s_sub_i32 s4, s4, 32
	v_cndmask_b32_e64 v11, 0, v7, s[0:1]
	v_mul_f32_e32 v7, s15, v8
	v_add_u32_e32 v0, 0xfffff000, v0
	s_cmp_le_i32 s11, s9
	v_fmac_f32_e32 v7, v10, v11
	s_waitcnt vmcnt(0)
	v_mul_f32_e32 v8, v1, v8
	v_fmac_f32_e32 v8, v9, v11
	s_cbranch_scc0 .LBB26_3
	s_branch .LBB26_5
.LBB26_4:
	s_waitcnt lgkmcnt(0)
	v_mov_b32_e32 v7, s5
.LBB26_5:
	s_waitcnt vmcnt(0)
	v_div_scale_f32 v0, s[0:1], v7, v7, v8
	v_rcp_f32_e32 v1, v0
	v_div_scale_f32 v4, vcc, v8, v7, v8
	v_fma_f32 v5, -v0, v1, 1.0
	v_fmac_f32_e32 v1, v5, v1
	v_mul_f32_e32 v5, v4, v1
	v_fma_f32 v6, -v0, v5, v4
	v_fmac_f32_e32 v5, v6, v1
	v_fma_f32 v0, -v0, v5, v4
	v_div_fmas_f32 v0, v0, v1, v5
	v_div_fixup_f32 v0, v0, v7, v8
	global_store_dword v[2:3], v0, off
.LBB26_6:
	s_endpgm
	.section	.rodata,"a",@progbits
	.p2align	6, 0x0
	.amdhsa_kernel _ZL33flash_attn_stream_k_fixup_uniformILi128ELi16ELi2EEvPfPK15HIP_vector_typeIfLj2EEiiiiiiS1_IjLj3EES5_S5_
		.amdhsa_group_segment_fixed_size 0
		.amdhsa_private_segment_fixed_size 0
		.amdhsa_kernarg_size 76
		.amdhsa_user_sgpr_count 6
		.amdhsa_user_sgpr_private_segment_buffer 1
		.amdhsa_user_sgpr_dispatch_ptr 0
		.amdhsa_user_sgpr_queue_ptr 0
		.amdhsa_user_sgpr_kernarg_segment_ptr 1
		.amdhsa_user_sgpr_dispatch_id 0
		.amdhsa_user_sgpr_flat_scratch_init 0
		.amdhsa_user_sgpr_kernarg_preload_length 0
		.amdhsa_user_sgpr_kernarg_preload_offset 0
		.amdhsa_user_sgpr_private_segment_size 0
		.amdhsa_uses_dynamic_stack 0
		.amdhsa_system_sgpr_private_segment_wavefront_offset 0
		.amdhsa_system_sgpr_workgroup_id_x 1
		.amdhsa_system_sgpr_workgroup_id_y 1
		.amdhsa_system_sgpr_workgroup_id_z 1
		.amdhsa_system_sgpr_workgroup_info 0
		.amdhsa_system_vgpr_workitem_id 0
		.amdhsa_next_free_vgpr 17
		.amdhsa_next_free_sgpr 20
		.amdhsa_accum_offset 20
		.amdhsa_reserve_vcc 1
		.amdhsa_reserve_flat_scratch 0
		.amdhsa_float_round_mode_32 0
		.amdhsa_float_round_mode_16_64 0
		.amdhsa_float_denorm_mode_32 3
		.amdhsa_float_denorm_mode_16_64 3
		.amdhsa_dx10_clamp 1
		.amdhsa_ieee_mode 1
		.amdhsa_fp16_overflow 0
		.amdhsa_tg_split 0
		.amdhsa_exception_fp_ieee_invalid_op 0
		.amdhsa_exception_fp_denorm_src 0
		.amdhsa_exception_fp_ieee_div_zero 0
		.amdhsa_exception_fp_ieee_overflow 0
		.amdhsa_exception_fp_ieee_underflow 0
		.amdhsa_exception_fp_ieee_inexact 0
		.amdhsa_exception_int_div_zero 0
	.end_amdhsa_kernel
	.section	.text._ZL33flash_attn_stream_k_fixup_uniformILi128ELi16ELi2EEvPfPK15HIP_vector_typeIfLj2EEiiiiiiS1_IjLj3EES5_S5_,"axG",@progbits,_ZL33flash_attn_stream_k_fixup_uniformILi128ELi16ELi2EEvPfPK15HIP_vector_typeIfLj2EEiiiiiiS1_IjLj3EES5_S5_,comdat
.Lfunc_end26:
	.size	_ZL33flash_attn_stream_k_fixup_uniformILi128ELi16ELi2EEvPfPK15HIP_vector_typeIfLj2EEiiiiiiS1_IjLj3EES5_S5_, .Lfunc_end26-_ZL33flash_attn_stream_k_fixup_uniformILi128ELi16ELi2EEvPfPK15HIP_vector_typeIfLj2EEiiiiiiS1_IjLj3EES5_S5_
                                        ; -- End function
	.section	.AMDGPU.csdata,"",@progbits
; Kernel info:
; codeLenInByte = 856
; NumSgprs: 24
; NumVgprs: 17
; NumAgprs: 0
; TotalNumVgprs: 17
; ScratchSize: 0
; MemoryBound: 0
; FloatMode: 240
; IeeeMode: 1
; LDSByteSize: 0 bytes/workgroup (compile time only)
; SGPRBlocks: 2
; VGPRBlocks: 2
; NumSGPRsForWavesPerEU: 24
; NumVGPRsForWavesPerEU: 17
; AccumOffset: 20
; Occupancy: 8
; WaveLimiterHint : 0
; COMPUTE_PGM_RSRC2:SCRATCH_EN: 0
; COMPUTE_PGM_RSRC2:USER_SGPR: 6
; COMPUTE_PGM_RSRC2:TRAP_HANDLER: 0
; COMPUTE_PGM_RSRC2:TGID_X_EN: 1
; COMPUTE_PGM_RSRC2:TGID_Y_EN: 1
; COMPUTE_PGM_RSRC2:TGID_Z_EN: 1
; COMPUTE_PGM_RSRC2:TIDIG_COMP_CNT: 0
; COMPUTE_PGM_RSRC3_GFX90A:ACCUM_OFFSET: 4
; COMPUTE_PGM_RSRC3_GFX90A:TG_SPLIT: 0
	.section	.text._ZL33flash_attn_stream_k_fixup_generalILi128ELi16ELi2EEvPfPK15HIP_vector_typeIfLj2EEiiiiS1_IjLj3EES5_S5_S5_,"axG",@progbits,_ZL33flash_attn_stream_k_fixup_generalILi128ELi16ELi2EEvPfPK15HIP_vector_typeIfLj2EEiiiiS1_IjLj3EES5_S5_S5_,comdat
	.globl	_ZL33flash_attn_stream_k_fixup_generalILi128ELi16ELi2EEvPfPK15HIP_vector_typeIfLj2EEiiiiS1_IjLj3EES5_S5_S5_ ; -- Begin function _ZL33flash_attn_stream_k_fixup_generalILi128ELi16ELi2EEvPfPK15HIP_vector_typeIfLj2EEiiiiS1_IjLj3EES5_S5_S5_
	.p2align	8
	.type	_ZL33flash_attn_stream_k_fixup_generalILi128ELi16ELi2EEvPfPK15HIP_vector_typeIfLj2EEiiiiS1_IjLj3EES5_S5_S5_,@function
_ZL33flash_attn_stream_k_fixup_generalILi128ELi16ELi2EEvPfPK15HIP_vector_typeIfLj2EEiiiiS1_IjLj3EES5_S5_S5_: ; @_ZL33flash_attn_stream_k_fixup_generalILi128ELi16ELi2EEvPfPK15HIP_vector_typeIfLj2EEiiiiS1_IjLj3EES5_S5_S5_
; %bb.0:
	s_load_dwordx4 s[12:15], s[4:5], 0x10
	s_load_dword s9, s[4:5], 0x50
	s_mov_b32 s2, 0
	s_waitcnt lgkmcnt(0)
	s_mul_hi_i32 s3, s15, s6
	s_cmp_lg_u64 s[2:3], 0
	s_mul_i32 s2, s15, s6
	s_cbranch_scc0 .LBB27_21
; %bb.1:
	v_cvt_f32_u32_e32 v1, s9
	v_cvt_f32_ubyte0_e32 v2, 0
	s_sub_u32 s10, 0, s9
	s_subb_u32 s11, 0, 0
	v_madmk_f32 v1, v2, 0x4f800000, v1
	v_rcp_f32_e32 v1, v1
	v_mul_f32_e32 v1, 0x5f7ffffc, v1
	v_mul_f32_e32 v2, 0x2f800000, v1
	v_trunc_f32_e32 v2, v2
	v_madmk_f32 v1, v2, 0xcf800000, v1
	v_cvt_u32_f32_e32 v2, v2
	v_cvt_u32_f32_e32 v1, v1
	v_readfirstlane_b32 s16, v2
	v_readfirstlane_b32 s17, v1
	s_mul_i32 s18, s10, s16
	s_mul_hi_u32 s20, s10, s17
	s_mul_i32 s19, s11, s17
	s_add_i32 s18, s20, s18
	s_add_i32 s18, s18, s19
	s_mul_i32 s21, s10, s17
	s_mul_hi_u32 s19, s17, s18
	s_mul_i32 s20, s17, s18
	s_mul_hi_u32 s17, s17, s21
	s_add_u32 s17, s17, s20
	s_addc_u32 s19, 0, s19
	s_mul_hi_u32 s22, s16, s21
	s_mul_i32 s21, s16, s21
	s_add_u32 s17, s17, s21
	s_mul_hi_u32 s20, s16, s18
	s_addc_u32 s17, s19, s22
	s_addc_u32 s19, s20, 0
	s_mul_i32 s18, s16, s18
	s_add_u32 s17, s17, s18
	s_addc_u32 s18, 0, s19
	v_add_co_u32_e32 v1, vcc, s17, v1
	s_cmp_lg_u64 vcc, 0
	s_addc_u32 s16, s16, s18
	v_readfirstlane_b32 s18, v1
	s_mul_i32 s17, s10, s16
	s_mul_hi_u32 s19, s10, s18
	s_add_i32 s17, s19, s17
	s_mul_i32 s11, s11, s18
	s_add_i32 s17, s17, s11
	s_mul_i32 s10, s10, s18
	s_mul_hi_u32 s19, s16, s10
	s_mul_i32 s20, s16, s10
	s_mul_i32 s22, s18, s17
	s_mul_hi_u32 s10, s18, s10
	s_mul_hi_u32 s21, s18, s17
	s_add_u32 s10, s10, s22
	s_addc_u32 s18, 0, s21
	s_add_u32 s10, s10, s20
	s_mul_hi_u32 s11, s16, s17
	s_addc_u32 s10, s18, s19
	s_addc_u32 s11, s11, 0
	s_mul_i32 s17, s16, s17
	s_add_u32 s10, s10, s17
	s_addc_u32 s11, 0, s11
	v_add_co_u32_e32 v1, vcc, s10, v1
	s_cmp_lg_u64 vcc, 0
	s_addc_u32 s18, s16, s11
	s_ashr_i32 s10, s3, 31
	s_add_u32 s16, s2, s10
	s_mov_b32 s11, s10
	s_addc_u32 s17, s3, s10
	s_xor_b64 s[16:17], s[16:17], s[10:11]
	v_readfirstlane_b32 s20, v1
	s_mul_i32 s19, s16, s18
	s_mul_hi_u32 s21, s16, s20
	s_mul_hi_u32 s3, s16, s18
	s_add_u32 s19, s21, s19
	s_addc_u32 s3, 0, s3
	s_mul_hi_u32 s22, s17, s20
	s_mul_i32 s20, s17, s20
	s_add_u32 s19, s19, s20
	s_mul_hi_u32 s21, s17, s18
	s_addc_u32 s3, s3, s22
	s_addc_u32 s19, s21, 0
	s_mul_i32 s18, s17, s18
	s_add_u32 s3, s3, s18
	s_addc_u32 s18, 0, s19
	s_add_u32 s19, s3, 1
	s_addc_u32 s20, s18, 0
	s_add_u32 s21, s3, 2
	s_mul_i32 s23, s9, s18
	s_mul_hi_u32 s24, s9, s3
	s_addc_u32 s22, s18, 0
	s_add_i32 s24, s24, s23
	s_mul_i32 s23, s9, s3
	v_mov_b32_e32 v1, s23
	v_sub_co_u32_e32 v1, vcc, s16, v1
	s_cmp_lg_u64 vcc, 0
	s_subb_u32 s16, s17, s24
	v_subrev_co_u32_e32 v2, vcc, s9, v1
	s_cmp_lg_u64 vcc, 0
	s_subb_u32 s17, s16, 0
	v_readfirstlane_b32 s23, v2
	s_cmp_ge_u32 s23, s9
	s_cselect_b32 s23, -1, 0
	s_cmp_eq_u32 s17, 0
	s_cselect_b32 s17, s23, -1
	s_cmp_lg_u32 s17, 0
	s_cselect_b32 s17, s22, s20
	v_readfirstlane_b32 s20, v1
	s_cselect_b32 s19, s21, s19
	s_cmp_ge_u32 s20, s9
	s_cselect_b32 s20, -1, 0
	s_cmp_eq_u32 s16, 0
	s_cselect_b32 s16, s20, -1
	s_cmp_lg_u32 s16, 0
	s_cselect_b32 s17, s17, s18
	s_cselect_b32 s16, s19, s3
	s_xor_b64 s[16:17], s[16:17], s[10:11]
	s_sub_u32 s20, s16, s10
	s_load_dwordx4 s[16:19], s[4:5], 0x44
	s_cbranch_execnz .LBB27_3
.LBB27_2:
	v_cvt_f32_u32_e32 v1, s9
	s_sub_i32 s0, 0, s9
	v_rcp_iflag_f32_e32 v1, v1
	v_mul_f32_e32 v1, 0x4f7ffffe, v1
	v_cvt_u32_f32_e32 v1, v1
	v_readfirstlane_b32 s1, v1
	s_mul_i32 s0, s0, s1
	s_mul_hi_u32 s0, s1, s0
	s_add_i32 s1, s1, s0
	s_mul_hi_u32 s0, s2, s1
	s_mul_i32 s3, s0, s9
	s_sub_i32 s2, s2, s3
	s_add_i32 s1, s0, 1
	s_sub_i32 s3, s2, s9
	s_cmp_ge_u32 s2, s9
	s_cselect_b32 s0, s1, s0
	s_cselect_b32 s2, s3, s2
	s_add_i32 s1, s0, 1
	s_cmp_ge_u32 s2, s9
	s_cselect_b32 s20, s1, s0
.LBB27_3:
	s_add_i32 s0, s6, 1
	s_mul_hi_i32 s3, s15, s0
	s_mov_b32 s2, 0
	s_cmp_lg_u64 s[2:3], 0
	s_mul_i32 s2, s15, s0
	s_cbranch_scc0 .LBB27_22
; %bb.4:
	v_cvt_f32_u32_e32 v1, s9
	v_cvt_f32_ubyte0_e32 v2, 0
	s_sub_u32 s10, 0, s9
	s_subb_u32 s11, 0, 0
	v_madmk_f32 v1, v2, 0x4f800000, v1
	v_rcp_f32_e32 v1, v1
	v_mul_f32_e32 v1, 0x5f7ffffc, v1
	v_mul_f32_e32 v2, 0x2f800000, v1
	v_trunc_f32_e32 v2, v2
	v_madmk_f32 v1, v2, 0xcf800000, v1
	v_cvt_u32_f32_e32 v2, v2
	v_cvt_u32_f32_e32 v1, v1
	s_waitcnt lgkmcnt(0)
	v_readfirstlane_b32 s19, v2
	v_readfirstlane_b32 s21, v1
	s_mul_i32 s22, s10, s19
	s_mul_hi_u32 s24, s10, s21
	s_mul_i32 s23, s11, s21
	s_add_i32 s22, s24, s22
	s_add_i32 s22, s22, s23
	s_mul_i32 s25, s10, s21
	s_mul_hi_u32 s23, s21, s22
	s_mul_i32 s24, s21, s22
	s_mul_hi_u32 s21, s21, s25
	s_add_u32 s21, s21, s24
	s_addc_u32 s23, 0, s23
	s_mul_hi_u32 s26, s19, s25
	s_mul_i32 s25, s19, s25
	s_add_u32 s21, s21, s25
	s_mul_hi_u32 s24, s19, s22
	s_addc_u32 s21, s23, s26
	s_addc_u32 s23, s24, 0
	s_mul_i32 s22, s19, s22
	s_add_u32 s21, s21, s22
	s_addc_u32 s22, 0, s23
	v_add_co_u32_e32 v1, vcc, s21, v1
	s_cmp_lg_u64 vcc, 0
	s_addc_u32 s19, s19, s22
	v_readfirstlane_b32 s22, v1
	s_mul_i32 s21, s10, s19
	s_mul_hi_u32 s23, s10, s22
	s_add_i32 s21, s23, s21
	s_mul_i32 s11, s11, s22
	s_add_i32 s21, s21, s11
	s_mul_i32 s10, s10, s22
	s_mul_hi_u32 s23, s19, s10
	s_mul_i32 s24, s19, s10
	s_mul_i32 s26, s22, s21
	s_mul_hi_u32 s10, s22, s10
	s_mul_hi_u32 s25, s22, s21
	s_add_u32 s10, s10, s26
	s_addc_u32 s22, 0, s25
	s_add_u32 s10, s10, s24
	s_mul_hi_u32 s11, s19, s21
	s_addc_u32 s10, s22, s23
	s_addc_u32 s11, s11, 0
	s_mul_i32 s21, s19, s21
	s_add_u32 s10, s10, s21
	s_addc_u32 s11, 0, s11
	v_add_co_u32_e32 v1, vcc, s10, v1
	s_cmp_lg_u64 vcc, 0
	s_addc_u32 s19, s19, s11
	s_ashr_i32 s10, s3, 31
	s_add_u32 s22, s2, s10
	s_mov_b32 s11, s10
	s_addc_u32 s23, s3, s10
	s_xor_b64 s[22:23], s[22:23], s[10:11]
	v_readfirstlane_b32 s21, v1
	s_mul_i32 s11, s22, s19
	s_mul_hi_u32 s24, s22, s21
	s_mul_hi_u32 s3, s22, s19
	s_add_u32 s11, s24, s11
	s_addc_u32 s3, 0, s3
	s_mul_hi_u32 s25, s23, s21
	s_mul_i32 s21, s23, s21
	s_add_u32 s11, s11, s21
	s_mul_hi_u32 s24, s23, s19
	s_addc_u32 s3, s3, s25
	s_addc_u32 s11, s24, 0
	s_mul_i32 s19, s23, s19
	s_add_u32 s3, s3, s19
	s_addc_u32 s11, 0, s11
	s_mul_i32 s11, s9, s11
	s_mul_hi_u32 s24, s9, s3
	s_add_i32 s24, s24, s11
	s_mul_i32 s11, s9, s3
	v_mov_b32_e32 v1, s11
	s_add_u32 s19, s3, 1
	s_add_u32 s21, s3, 2
	v_sub_co_u32_e32 v1, vcc, s22, v1
	s_cmp_lg_u64 vcc, 0
	s_subb_u32 s11, s23, s24
	v_subrev_co_u32_e32 v2, vcc, s9, v1
	s_cmp_lg_u64 vcc, 0
	s_subb_u32 s22, s11, 0
	v_cmp_le_u32_e32 vcc, s9, v2
	s_cmp_eq_u32 s22, 0
	v_cndmask_b32_e64 v2, 0, -1, vcc
	s_cselect_b64 vcc, -1, 0
	v_cndmask_b32_e32 v2, -1, v2, vcc
	v_mov_b32_e32 v3, s19
	v_mov_b32_e32 v4, s21
	v_cmp_ne_u32_e32 vcc, 0, v2
	v_cndmask_b32_e32 v2, v3, v4, vcc
	v_cmp_le_u32_e32 vcc, s9, v1
	s_cmp_eq_u32 s11, 0
	v_cndmask_b32_e64 v1, 0, -1, vcc
	s_cselect_b64 vcc, -1, 0
	v_cndmask_b32_e32 v1, -1, v1, vcc
	v_mov_b32_e32 v3, s3
	v_cmp_ne_u32_e32 vcc, 0, v1
	v_cndmask_b32_e32 v1, v3, v2, vcc
	v_xor_b32_e32 v1, s10, v1
	v_subrev_co_u32_e32 v2, vcc, s10, v1
	s_cbranch_execnz .LBB27_6
.LBB27_5:
	v_cvt_f32_u32_e32 v1, s9
	s_sub_i32 s0, 0, s9
	s_mov_b32 s1, 0
	v_rcp_iflag_f32_e32 v1, v1
	v_mul_f32_e32 v1, 0x4f7ffffe, v1
	v_cvt_u32_f32_e32 v1, v1
	v_readfirstlane_b32 s3, v1
	s_mul_i32 s0, s0, s3
	s_mul_hi_u32 s0, s3, s0
	s_add_i32 s3, s3, s0
	s_mul_hi_u32 s0, s2, s3
	s_mul_i32 s10, s0, s9
	s_sub_i32 s2, s2, s10
	s_add_i32 s3, s0, 1
	s_sub_i32 s10, s2, s9
	s_cmp_ge_u32 s2, s9
	s_cselect_b32 s0, s3, s0
	s_cselect_b32 s2, s10, s2
	s_add_i32 s3, s0, 1
	s_cmp_ge_u32 s2, s9
	s_cselect_b32 s0, s3, s0
	v_pk_mov_b32 v[2:3], s[0:1], s[0:1] op_sel:[0,1]
.LBB27_6:
	s_waitcnt lgkmcnt(0)
	s_mul_hi_u32 s0, s20, s16
	s_add_i32 s0, s0, s20
	v_mul_hi_u32 v1, v2, s16
	s_lshr_b32 s19, s0, s17
	v_add_u32_e32 v1, v1, v2
	s_mul_i32 s0, s19, s18
	v_lshrrev_b32_e32 v1, s17, v1
	s_cmp_eq_u32 s0, s20
	v_cmp_eq_u32_e64 s[0:1], s19, v1
	v_mul_lo_u32 v1, v1, s18
	v_cmp_eq_u32_e32 vcc, s20, v2
	s_cselect_b64 s[10:11], -1, 0
	v_cmp_ne_u32_e64 s[2:3], v1, v2
	s_and_b64 s[0:1], s[0:1], s[2:3]
	s_or_b64 s[2:3], vcc, s[10:11]
	s_or_b64 s[0:1], s[2:3], s[0:1]
	s_and_b64 vcc, exec, s[0:1]
	s_cbranch_vccnz .LBB27_24
; %bb.7:
	s_load_dwordx8 s[24:31], s[4:5], 0x20
	s_load_dword s0, s[4:5], 0x40
	s_mov_b32 s10, 0
	s_waitcnt lgkmcnt(0)
	s_mul_hi_u32 s1, s20, s24
	s_add_i32 s1, s1, s20
	s_lshr_b32 s11, s1, s25
	s_mul_i32 s1, s11, s26
	s_sub_i32 s1, s20, s1
	s_mul_hi_u32 s2, s1, s27
	s_add_i32 s2, s1, s2
	s_lshr_b32 s24, s2, s28
	s_mul_i32 s2, s24, s29
	s_sub_i32 s1, s1, s2
	;; [unrolled: 5-line block ×3, first 2 shown]
	s_mul_hi_u32 s1, s0, s16
	s_add_i32 s0, s0, s1
	s_lshr_b32 s26, s0, s17
	s_lshl_b32 s0, s26, 4
	s_lshl_b32 s25, s2, 1
	s_add_i32 s0, s0, s7
	s_cmp_lt_i32 s0, s12
	s_cselect_b64 s[0:1], -1, 0
	s_add_i32 s2, s25, s8
	s_cmp_lt_i32 s2, s14
	s_cselect_b64 s[2:3], -1, 0
	s_and_b64 s[0:1], s[0:1], s[2:3]
	s_andn2_b64 vcc, exec, s[0:1]
	s_cbranch_vccnz .LBB27_24
; %bb.8:
	s_load_dwordx4 s[0:3], s[4:5], 0x0
	s_lshl_b32 s21, s7, 1
	s_lshl_b32 s4, s9, 7
	s_mov_b32 s5, s10
	s_add_i32 s21, s21, s8
	s_lshl_b64 s[4:5], s[4:5], 2
	s_waitcnt lgkmcnt(0)
	s_add_u32 s22, s2, s4
	s_mul_i32 s4, s11, s12
	s_addc_u32 s23, s3, s5
	s_add_i32 s4, s4, s7
	s_mul_i32 s4, s4, s13
	s_mul_i32 s24, s24, s14
	s_add_i32 s4, s4, s8
	s_add_i32 s4, s4, s24
	s_mul_i32 s5, s13, s26
	s_add_i32 s4, s4, s25
	s_lshl_b32 s5, s5, 11
	s_lshl_b32 s4, s4, 7
	s_add_i32 s5, s5, s4
	v_or_b32_e32 v2, s5, v0
	v_ashrrev_i32_e32 v3, 31, v2
	v_lshlrev_b64 v[2:3], 2, v[2:3]
	v_mov_b32_e32 v1, s1
	v_add_co_u32_e32 v2, vcc, s0, v2
	v_addc_co_u32_e32 v3, vcc, v1, v3, vcc
	global_load_dword v5, v[2:3], off
	v_lshl_or_b32 v4, s21, 7, v0
	v_cvt_f32_u32_e32 v0, s9
	v_cvt_f32_ubyte0_e32 v1, 0
	s_lshl_b32 s0, s6, 5
	s_add_i32 s0, s21, s0
	v_mac_f32_e32 v0, 0x4f800000, v1
	v_rcp_f32_e32 v0, v0
	v_cvt_f32_u32_e32 v1, s9
	s_ashr_i32 s1, s0, 31
	s_lshl_b64 s[0:1], s[0:1], 3
	v_mul_f32_e32 v0, 0x5f7ffffc, v0
	v_rcp_iflag_f32_e32 v1, v1
	s_add_u32 s0, s2, s0
	v_mul_f32_e32 v9, 0x2f800000, v0
	s_addc_u32 s1, s3, s1
	v_trunc_f32_e32 v10, v9
	s_load_dwordx2 s[0:1], s[0:1], 0x0
	v_mac_f32_e32 v0, 0xcf800000, v10
	v_cvt_u32_f32_e32 v9, v0
	v_mul_f32_e32 v0, 0x4f7ffffe, v1
	v_cvt_u32_f32_e32 v10, v10
	v_cvt_u32_f32_e32 v11, v0
	s_add_i32 s8, s6, -1
	s_waitcnt lgkmcnt(0)
	v_mov_b32_e32 v6, s1
	v_mov_b32_e32 v7, s0
	;; [unrolled: 1-line block ×3, first 2 shown]
	s_mov_b32 s6, 0x3fb8aa3b
	s_mov_b32 s7, 0xc2ce8ed0
	;; [unrolled: 1-line block ×4, first 2 shown]
	v_mov_b32_e32 v12, 0x7f800000
	s_mul_hi_i32 s11, s8, s15
	s_cmp_lg_u64 s[10:11], 0
	s_mul_i32 s4, s8, s15
	s_cbranch_scc0 .LBB27_15
.LBB27_9:
	s_sub_u32 s0, 0, s9
	v_readfirstlane_b32 s5, v9
	v_readfirstlane_b32 s24, v10
	s_subb_u32 s1, 0, 0
	s_mul_hi_u32 s20, s0, s5
	s_mul_i32 s25, s0, s24
	s_mul_i32 s14, s1, s5
	s_add_i32 s20, s20, s25
	s_add_i32 s20, s20, s14
	s_mul_i32 s26, s0, s5
	s_mul_hi_u32 s14, s5, s20
	s_mul_i32 s25, s5, s20
	s_mul_hi_u32 s5, s5, s26
	s_add_u32 s5, s5, s25
	s_addc_u32 s14, 0, s14
	s_mul_hi_u32 s27, s24, s26
	s_mul_i32 s26, s24, s26
	s_add_u32 s5, s5, s26
	s_mul_hi_u32 s25, s24, s20
	s_addc_u32 s5, s14, s27
	s_addc_u32 s14, s25, 0
	s_mul_i32 s20, s24, s20
	s_add_u32 s5, s5, s20
	s_addc_u32 s14, 0, s14
	v_add_co_u32_e32 v0, vcc, s5, v9
	s_cmp_lg_u64 vcc, 0
	s_addc_u32 s5, s24, s14
	v_readfirstlane_b32 s20, v0
	s_mul_i32 s14, s0, s5
	s_mul_hi_u32 s24, s0, s20
	s_add_i32 s14, s24, s14
	s_mul_i32 s1, s1, s20
	s_add_i32 s14, s14, s1
	s_mul_i32 s0, s0, s20
	s_mul_hi_u32 s24, s5, s0
	s_mul_i32 s25, s5, s0
	s_mul_i32 s27, s20, s14
	s_mul_hi_u32 s0, s20, s0
	s_mul_hi_u32 s26, s20, s14
	s_add_u32 s0, s0, s27
	s_addc_u32 s20, 0, s26
	s_add_u32 s0, s0, s25
	s_mul_hi_u32 s1, s5, s14
	s_addc_u32 s0, s20, s24
	s_addc_u32 s1, s1, 0
	s_mul_i32 s14, s5, s14
	s_add_u32 s0, s0, s14
	s_addc_u32 s1, 0, s1
	v_add_co_u32_e32 v0, vcc, s0, v0
	s_cmp_lg_u64 vcc, 0
	s_addc_u32 s5, s5, s1
	s_ashr_i32 s0, s11, 31
	s_add_u32 s24, s4, s0
	s_mov_b32 s1, s0
	s_addc_u32 s25, s11, s0
	s_xor_b64 s[24:25], s[24:25], s[0:1]
	v_readfirstlane_b32 s14, v0
	s_mul_i32 s11, s24, s5
	s_mul_hi_u32 s20, s24, s14
	s_mul_hi_u32 s1, s24, s5
	s_add_u32 s11, s20, s11
	s_addc_u32 s1, 0, s1
	s_mul_hi_u32 s26, s25, s14
	s_mul_i32 s14, s25, s14
	s_add_u32 s11, s11, s14
	s_mul_hi_u32 s20, s25, s5
	s_addc_u32 s1, s1, s26
	s_addc_u32 s11, s20, 0
	s_mul_i32 s5, s25, s5
	s_add_u32 s1, s1, s5
	s_addc_u32 s5, 0, s11
	s_mul_i32 s5, s9, s5
	s_mul_hi_u32 s20, s9, s1
	s_add_i32 s20, s20, s5
	s_mul_i32 s5, s9, s1
	v_mov_b32_e32 v0, s5
	s_add_u32 s11, s1, 1
	s_add_u32 s14, s1, 2
	v_sub_co_u32_e32 v0, vcc, s24, v0
	s_cmp_lg_u64 vcc, 0
	s_subb_u32 s5, s25, s20
	v_subrev_co_u32_e32 v1, vcc, s9, v0
	s_cmp_lg_u64 vcc, 0
	s_subb_u32 s20, s5, 0
	v_cmp_le_u32_e32 vcc, s9, v1
	s_cmp_eq_u32 s20, 0
	v_cndmask_b32_e64 v1, 0, -1, vcc
	s_cselect_b64 vcc, -1, 0
	v_cndmask_b32_e32 v1, -1, v1, vcc
	v_mov_b32_e32 v13, s11
	v_mov_b32_e32 v14, s14
	v_cmp_ne_u32_e32 vcc, 0, v1
	v_cndmask_b32_e32 v1, v13, v14, vcc
	v_cmp_le_u32_e32 vcc, s9, v0
	s_cmp_eq_u32 s5, 0
	v_cndmask_b32_e64 v0, 0, -1, vcc
	s_cselect_b64 vcc, -1, 0
	v_cndmask_b32_e32 v0, -1, v0, vcc
	v_mov_b32_e32 v13, s1
	v_cmp_ne_u32_e32 vcc, 0, v0
	v_cndmask_b32_e32 v0, v13, v1, vcc
	v_xor_b32_e32 v0, s0, v0
	v_subrev_co_u32_e32 v0, vcc, s0, v0
	s_cbranch_execnz .LBB27_11
.LBB27_10:
	s_sub_i32 s0, 0, s9
	v_mul_lo_u32 v0, s0, v11
	v_mul_hi_u32 v0, v11, v0
	v_add_u32_e32 v0, v11, v0
	v_mul_hi_u32 v0, s4, v0
	v_mul_lo_u32 v13, v0, s9
	v_sub_u32_e32 v13, s4, v13
	v_add_u32_e32 v1, 1, v0
	v_subrev_u32_e32 v14, s9, v13
	v_cmp_le_u32_e32 vcc, s9, v13
	v_cndmask_b32_e32 v13, v13, v14, vcc
	v_cndmask_b32_e32 v0, v0, v1, vcc
	v_add_u32_e32 v1, 1, v0
	v_cmp_le_u32_e32 vcc, s9, v13
	v_cndmask_b32_e32 v0, v0, v1, vcc
.LBB27_11:
	v_cmp_ne_u32_e32 vcc, v8, v0
	s_cbranch_vccz .LBB27_14
; %bb.12:
	s_add_i32 s0, s8, s9
	s_lshl_b32 s0, s0, 5
	v_mul_hi_u32 v1, v0, s16
	s_add_i32 s0, s0, s21
	s_mov_b32 s1, s10
	v_add_u32_e32 v1, v1, v0
	s_lshl_b64 s[0:1], s[0:1], 3
	v_lshrrev_b32_e32 v1, s17, v1
	s_add_u32 s4, s2, s0
	v_mul_lo_u32 v13, v1, s18
	s_addc_u32 s5, s3, s1
	v_cmp_eq_u32_e32 vcc, v13, v0
	v_cmp_gt_u32_e64 s[0:1], s19, v1
	s_or_b64 s[0:1], s[0:1], vcc
	s_and_b64 vcc, exec, s[0:1]
	s_cbranch_vccnz .LBB27_16
; %bb.13:
	s_add_i32 s11, s8, -1
	s_mov_b64 s[0:1], 0
	s_branch .LBB27_17
.LBB27_14:
                                        ; implicit-def: $sgpr0_sgpr1
                                        ; implicit-def: $vgpr14
                                        ; implicit-def: $vgpr1
                                        ; implicit-def: $vgpr13
                                        ; implicit-def: $sgpr11
                                        ; implicit-def: $vgpr0
	s_branch .LBB27_18
.LBB27_15:
                                        ; implicit-def: $vgpr0_vgpr1
	s_branch .LBB27_10
.LBB27_16:
	s_mov_b64 s[0:1], -1
	s_mov_b32 s11, s8
	v_mov_b32_e32 v0, v8
.LBB27_17:
	v_lshl_add_u32 v14, s8, 12, v4
	v_ashrrev_i32_e32 v15, 31, v14
	v_lshlrev_b64 v[14:15], 2, v[14:15]
	v_mov_b32_e32 v1, s23
	v_add_co_u32_e32 v14, vcc, s22, v14
	v_addc_co_u32_e32 v15, vcc, v1, v15, vcc
	global_load_dword v14, v[14:15], off
	s_load_dwordx2 s[4:5], s[4:5], 0x0
	v_max_f32_e32 v1, v7, v7
	s_waitcnt lgkmcnt(0)
	v_max_f32_e64 v13, s4, s4
	v_max_f32_e32 v1, v1, v13
	v_sub_f32_e32 v13, v7, v1
	v_sub_f32_e32 v15, s4, v1
	v_mul_f32_e32 v16, 0x3fb8aa3b, v13
	v_mul_f32_e32 v17, 0x3fb8aa3b, v15
	v_fma_f32 v18, v13, s6, -v16
	v_rndne_f32_e32 v19, v16
	v_fma_f32 v20, v15, s6, -v17
	v_rndne_f32_e32 v21, v17
	v_fmac_f32_e32 v18, 0x32a5705f, v13
	v_sub_f32_e32 v16, v16, v19
	v_fmac_f32_e32 v20, 0x32a5705f, v15
	v_sub_f32_e32 v17, v17, v21
	v_add_f32_e32 v16, v16, v18
	v_cvt_i32_f32_e32 v19, v19
	v_add_f32_e32 v17, v17, v20
	v_exp_f32_e32 v16, v16
	v_cvt_i32_f32_e32 v21, v21
	v_exp_f32_e32 v17, v17
	v_cmp_ngt_f32_e32 vcc, s7, v13
	v_ldexp_f32 v16, v16, v19
	v_cndmask_b32_e32 v16, 0, v16, vcc
	v_ldexp_f32 v17, v17, v21
	v_cmp_ngt_f32_e32 vcc, s7, v15
	v_cndmask_b32_e32 v17, 0, v17, vcc
	v_cmp_nlt_f32_e32 vcc, s12, v13
	v_cndmask_b32_e32 v16, v12, v16, vcc
	v_cmp_nlt_f32_e32 vcc, s12, v15
	v_cndmask_b32_e32 v17, v12, v17, vcc
	v_cmp_le_f32_e32 vcc, s13, v13
	v_cndmask_b32_e32 v16, 0, v16, vcc
	v_cmp_le_f32_e32 vcc, s13, v15
	v_cndmask_b32_e32 v15, 0, v17, vcc
	v_mul_f32_e32 v13, s5, v15
	v_fmac_f32_e32 v13, v6, v16
	s_waitcnt vmcnt(0)
	v_mul_f32_e32 v14, v14, v15
	v_fmac_f32_e32 v14, v5, v16
	s_cbranch_execnz .LBB27_19
.LBB27_18:
	s_add_i32 s11, s8, -1
	s_mov_b64 s[0:1], 0
	v_mov_b32_e32 v0, v8
	v_mov_b32_e32 v13, v6
	;; [unrolled: 1-line block ×3, first 2 shown]
	s_waitcnt vmcnt(0)
	v_mov_b32_e32 v14, v5
.LBB27_19:
	s_andn2_b64 vcc, exec, s[0:1]
	s_cbranch_vccz .LBB27_23
; %bb.20:
	v_mov_b32_e32 v8, v0
	s_mov_b32 s8, s11
	v_mov_b32_e32 v6, v13
	v_mov_b32_e32 v7, v1
	s_waitcnt vmcnt(0)
	v_mov_b32_e32 v5, v14
	s_mul_hi_i32 s11, s8, s15
	s_cmp_lg_u64 s[10:11], 0
	s_mul_i32 s4, s8, s15
	s_cbranch_scc1 .LBB27_9
	s_branch .LBB27_15
.LBB27_21:
                                        ; implicit-def: $sgpr20_sgpr21
	s_load_dwordx4 s[16:19], s[4:5], 0x44
	s_branch .LBB27_2
.LBB27_22:
                                        ; implicit-def: $vgpr2_vgpr3
	s_branch .LBB27_5
.LBB27_23:
	v_div_scale_f32 v0, s[0:1], v13, v13, v14
	v_rcp_f32_e32 v1, v0
	v_div_scale_f32 v4, vcc, v14, v13, v14
	s_waitcnt vmcnt(0)
	v_fma_f32 v5, -v0, v1, 1.0
	v_fmac_f32_e32 v1, v5, v1
	v_mul_f32_e32 v5, v4, v1
	v_fma_f32 v6, -v0, v5, v4
	v_fmac_f32_e32 v5, v6, v1
	v_fma_f32 v0, -v0, v5, v4
	v_div_fmas_f32 v0, v0, v1, v5
	v_div_fixup_f32 v0, v0, v13, v14
	global_store_dword v[2:3], v0, off
.LBB27_24:
	s_endpgm
	.section	.rodata,"a",@progbits
	.p2align	6, 0x0
	.amdhsa_kernel _ZL33flash_attn_stream_k_fixup_generalILi128ELi16ELi2EEvPfPK15HIP_vector_typeIfLj2EEiiiiS1_IjLj3EES5_S5_S5_
		.amdhsa_group_segment_fixed_size 0
		.amdhsa_private_segment_fixed_size 0
		.amdhsa_kernarg_size 336
		.amdhsa_user_sgpr_count 6
		.amdhsa_user_sgpr_private_segment_buffer 1
		.amdhsa_user_sgpr_dispatch_ptr 0
		.amdhsa_user_sgpr_queue_ptr 0
		.amdhsa_user_sgpr_kernarg_segment_ptr 1
		.amdhsa_user_sgpr_dispatch_id 0
		.amdhsa_user_sgpr_flat_scratch_init 0
		.amdhsa_user_sgpr_kernarg_preload_length 0
		.amdhsa_user_sgpr_kernarg_preload_offset 0
		.amdhsa_user_sgpr_private_segment_size 0
		.amdhsa_uses_dynamic_stack 0
		.amdhsa_system_sgpr_private_segment_wavefront_offset 0
		.amdhsa_system_sgpr_workgroup_id_x 1
		.amdhsa_system_sgpr_workgroup_id_y 1
		.amdhsa_system_sgpr_workgroup_id_z 1
		.amdhsa_system_sgpr_workgroup_info 0
		.amdhsa_system_vgpr_workitem_id 0
		.amdhsa_next_free_vgpr 22
		.amdhsa_next_free_sgpr 32
		.amdhsa_accum_offset 24
		.amdhsa_reserve_vcc 1
		.amdhsa_reserve_flat_scratch 0
		.amdhsa_float_round_mode_32 0
		.amdhsa_float_round_mode_16_64 0
		.amdhsa_float_denorm_mode_32 3
		.amdhsa_float_denorm_mode_16_64 3
		.amdhsa_dx10_clamp 1
		.amdhsa_ieee_mode 1
		.amdhsa_fp16_overflow 0
		.amdhsa_tg_split 0
		.amdhsa_exception_fp_ieee_invalid_op 0
		.amdhsa_exception_fp_denorm_src 0
		.amdhsa_exception_fp_ieee_div_zero 0
		.amdhsa_exception_fp_ieee_overflow 0
		.amdhsa_exception_fp_ieee_underflow 0
		.amdhsa_exception_fp_ieee_inexact 0
		.amdhsa_exception_int_div_zero 0
	.end_amdhsa_kernel
	.section	.text._ZL33flash_attn_stream_k_fixup_generalILi128ELi16ELi2EEvPfPK15HIP_vector_typeIfLj2EEiiiiS1_IjLj3EES5_S5_S5_,"axG",@progbits,_ZL33flash_attn_stream_k_fixup_generalILi128ELi16ELi2EEvPfPK15HIP_vector_typeIfLj2EEiiiiS1_IjLj3EES5_S5_S5_,comdat
.Lfunc_end27:
	.size	_ZL33flash_attn_stream_k_fixup_generalILi128ELi16ELi2EEvPfPK15HIP_vector_typeIfLj2EEiiiiS1_IjLj3EES5_S5_S5_, .Lfunc_end27-_ZL33flash_attn_stream_k_fixup_generalILi128ELi16ELi2EEvPfPK15HIP_vector_typeIfLj2EEiiiiS1_IjLj3EES5_S5_S5_
                                        ; -- End function
	.section	.AMDGPU.csdata,"",@progbits
; Kernel info:
; codeLenInByte = 2824
; NumSgprs: 36
; NumVgprs: 22
; NumAgprs: 0
; TotalNumVgprs: 22
; ScratchSize: 0
; MemoryBound: 0
; FloatMode: 240
; IeeeMode: 1
; LDSByteSize: 0 bytes/workgroup (compile time only)
; SGPRBlocks: 4
; VGPRBlocks: 2
; NumSGPRsForWavesPerEU: 36
; NumVGPRsForWavesPerEU: 22
; AccumOffset: 24
; Occupancy: 8
; WaveLimiterHint : 0
; COMPUTE_PGM_RSRC2:SCRATCH_EN: 0
; COMPUTE_PGM_RSRC2:USER_SGPR: 6
; COMPUTE_PGM_RSRC2:TRAP_HANDLER: 0
; COMPUTE_PGM_RSRC2:TGID_X_EN: 1
; COMPUTE_PGM_RSRC2:TGID_Y_EN: 1
; COMPUTE_PGM_RSRC2:TGID_Z_EN: 1
; COMPUTE_PGM_RSRC2:TIDIG_COMP_CNT: 0
; COMPUTE_PGM_RSRC3_GFX90A:ACCUM_OFFSET: 5
; COMPUTE_PGM_RSRC3_GFX90A:TG_SPLIT: 0
	.section	.text._ZL26flash_attn_combine_resultsILi128EEvPKfPK15HIP_vector_typeIfLj2EEPfi,"axG",@progbits,_ZL26flash_attn_combine_resultsILi128EEvPKfPK15HIP_vector_typeIfLj2EEPfi,comdat
	.globl	_ZL26flash_attn_combine_resultsILi128EEvPKfPK15HIP_vector_typeIfLj2EEPfi ; -- Begin function _ZL26flash_attn_combine_resultsILi128EEvPKfPK15HIP_vector_typeIfLj2EEPfi
	.p2align	8
	.type	_ZL26flash_attn_combine_resultsILi128EEvPKfPK15HIP_vector_typeIfLj2EEPfi,@function
_ZL26flash_attn_combine_resultsILi128EEvPKfPK15HIP_vector_typeIfLj2EEPfi: ; @_ZL26flash_attn_combine_resultsILi128EEvPKfPK15HIP_vector_typeIfLj2EEPfi
; %bb.0:
	s_load_dwordx2 s[10:11], s[4:5], 0x20
	s_load_dword s17, s[4:5], 0x18
	s_load_dwordx4 s[0:3], s[4:5], 0x0
	s_load_dwordx2 s[14:15], s[4:5], 0x10
	s_waitcnt lgkmcnt(0)
	s_mul_i32 s4, s10, s8
	s_add_i32 s4, s4, s6
	s_mul_i32 s16, s4, s11
	s_add_i32 s16, s16, s7
	s_lshl_b32 s18, s17, 1
	s_mul_i32 s4, s16, s17
	v_cmp_gt_i32_e32 vcc, s18, v0
	s_and_saveexec_b64 s[6:7], vcc
	s_cbranch_execz .LBB28_13
; %bb.1:
	v_xad_u32 v1, v0, -1, s18
	s_movk_i32 s8, 0x7f
	s_ashr_i32 s5, s4, 31
	v_cmp_lt_u32_e32 vcc, s8, v1
	s_mov_b64 s[10:11], -1
	v_mov_b32_e32 v2, v0
	s_and_saveexec_b64 s[8:9], vcc
	s_cbranch_execz .LBB28_10
; %bb.2:
	v_lshrrev_b32_e32 v6, 7, v1
	s_lshl_b64 s[10:11], s[4:5], 3
	v_add_u32_e32 v2, -1, v6
	s_add_u32 s19, s2, s10
	v_or_b32_e32 v1, 0x80, v0
	v_lshrrev_b32_e32 v3, 1, v2
	s_addc_u32 s20, s3, s11
	v_add_u32_e32 v7, 1, v3
	v_cmp_lt_u32_e32 vcc, 13, v2
	v_mov_b32_e32 v4, 0
	v_pk_mov_b32 v[2:3], v[0:1], v[0:1] op_sel:[0,1]
	s_and_saveexec_b64 s[10:11], vcc
	s_cbranch_execz .LBB28_6
; %bb.3:
	v_and_b32_e32 v8, -8, v7
	s_mov_b32 s21, 0
	v_lshl_add_u32 v9, v0, 2, 0
	s_mov_b64 s[12:13], 0
	v_mov_b32_e32 v10, s20
	v_mov_b32_e32 v5, 0
	v_pk_mov_b32 v[2:3], v[0:1], v[0:1] op_sel:[0,1]
.LBB28_4:                               ; =>This Inner Loop Header: Depth=1
	v_mov_b32_e32 v4, v2
	v_lshlrev_b64 v[26:27], 2, v[4:5]
	v_add_u32_e32 v12, 0x100, v3
	v_mov_b32_e32 v13, v5
	v_add_co_u32_e32 v26, vcc, s19, v26
	v_lshlrev_b64 v[12:13], 2, v[12:13]
	v_addc_co_u32_e32 v27, vcc, v10, v27, vcc
	v_add_u32_e32 v14, 0x200, v3
	v_mov_b32_e32 v15, v5
	v_add_co_u32_e32 v12, vcc, s19, v12
	v_lshlrev_b64 v[14:15], 2, v[14:15]
	v_addc_co_u32_e32 v13, vcc, v10, v13, vcc
	;; [unrolled: 5-line block ×7, first 2 shown]
	v_mov_b32_e32 v4, v3
	v_add_co_u32_e32 v24, vcc, s19, v24
	v_lshlrev_b64 v[28:29], 2, v[4:5]
	v_addc_co_u32_e32 v25, vcc, v10, v25, vcc
	v_add_u32_e32 v4, 0x100, v2
	v_add_co_u32_e32 v28, vcc, s19, v28
	v_addc_co_u32_e32 v29, vcc, v10, v29, vcc
	global_load_dword v1, v[26:27], off
	v_lshlrev_b64 v[26:27], 2, v[4:5]
	v_add_u32_e32 v4, 0x200, v2
	v_add_co_u32_e32 v26, vcc, s19, v26
	v_addc_co_u32_e32 v27, vcc, v10, v27, vcc
	v_lshlrev_b64 v[30:31], 2, v[4:5]
	v_add_u32_e32 v4, 0x300, v2
	global_load_dword v11, v[28:29], off
	global_load_dword v32, v[26:27], off
	;; [unrolled: 1-line block ×3, first 2 shown]
	v_add_co_u32_e32 v12, vcc, s19, v30
	v_addc_co_u32_e32 v13, vcc, v10, v31, vcc
	v_lshlrev_b64 v[26:27], 2, v[4:5]
	v_add_u32_e32 v4, 0x400, v2
	v_add_co_u32_e32 v26, vcc, s19, v26
	v_addc_co_u32_e32 v27, vcc, v10, v27, vcc
	v_lshlrev_b64 v[28:29], 2, v[4:5]
	v_add_u32_e32 v4, 0x500, v2
	global_load_dword v30, v[12:13], off
	global_load_dword v31, v[14:15], off
	;; [unrolled: 1-line block ×4, first 2 shown]
	v_add_co_u32_e32 v12, vcc, s19, v28
	v_addc_co_u32_e32 v13, vcc, v10, v29, vcc
	v_lshlrev_b64 v[14:15], 2, v[4:5]
	v_add_u32_e32 v4, 0x600, v2
	v_add_co_u32_e32 v14, vcc, s19, v14
	v_addc_co_u32_e32 v15, vcc, v10, v15, vcc
	v_lshlrev_b64 v[16:17], 2, v[4:5]
	v_add_u32_e32 v4, 0x700, v2
	global_load_dword v26, v[12:13], off
	global_load_dword v27, v[18:19], off
	;; [unrolled: 1-line block ×4, first 2 shown]
	v_add_co_u32_e32 v12, vcc, s19, v16
	v_addc_co_u32_e32 v13, vcc, v10, v17, vcc
	v_lshlrev_b64 v[14:15], 2, v[4:5]
	v_add_co_u32_e32 v14, vcc, s19, v14
	v_addc_co_u32_e32 v15, vcc, v10, v15, vcc
	global_load_dword v16, v[12:13], off
	global_load_dword v17, v[22:23], off
	;; [unrolled: 1-line block ×4, first 2 shown]
	v_add_u32_e32 v8, -8, v8
	s_add_i32 s21, s21, 16
	v_cmp_eq_u32_e32 vcc, 0, v8
	v_add_u32_e32 v3, 0x800, v3
	v_mov_b32_e32 v4, s21
	s_or_b64 s[12:13], vcc, s[12:13]
	v_add_u32_e32 v2, 0x800, v2
	s_waitcnt vmcnt(14)
	ds_write2st64_b32 v9, v1, v11 offset1:2
	s_waitcnt vmcnt(12)
	ds_write2st64_b32 v9, v32, v33 offset0:4 offset1:6
	s_waitcnt vmcnt(10)
	ds_write2st64_b32 v9, v30, v31 offset0:8 offset1:10
	;; [unrolled: 2-line block ×7, first 2 shown]
	v_add_u32_e32 v9, 0x2000, v9
	s_andn2_b64 exec, exec, s[12:13]
	s_cbranch_execnz .LBB28_4
; %bb.5:
	s_or_b64 exec, exec, s[12:13]
.LBB28_6:
	s_or_b64 exec, exec, s[10:11]
	v_and_b32_e32 v1, 7, v7
	v_cmp_ne_u32_e32 vcc, 0, v1
	s_and_saveexec_b64 s[10:11], vcc
	s_cbranch_execz .LBB28_9
; %bb.7:
	v_lshlrev_b32_e32 v5, 2, v0
	v_lshl_or_b32 v4, v4, 9, v5
	v_add_u32_e32 v7, 0, v4
	s_mov_b64 s[12:13], 0
	v_mov_b32_e32 v8, s20
	v_mov_b32_e32 v5, 0
.LBB28_8:                               ; =>This Inner Loop Header: Depth=1
	v_mov_b32_e32 v4, v2
	v_lshlrev_b64 v[10:11], 2, v[4:5]
	v_mov_b32_e32 v4, v3
	v_add_co_u32_e32 v10, vcc, s19, v10
	v_addc_co_u32_e32 v11, vcc, v8, v11, vcc
	v_lshlrev_b64 v[12:13], 2, v[4:5]
	v_add_co_u32_e32 v12, vcc, s19, v12
	v_addc_co_u32_e32 v13, vcc, v8, v13, vcc
	global_load_dword v4, v[10:11], off
	global_load_dword v9, v[12:13], off
	v_add_u32_e32 v1, -1, v1
	v_cmp_eq_u32_e32 vcc, 0, v1
	v_add_u32_e32 v2, 0x100, v2
	v_add_u32_e32 v3, 0x100, v3
	s_or_b64 s[12:13], vcc, s[12:13]
	s_waitcnt vmcnt(0)
	ds_write2st64_b32 v7, v4, v9 offset1:2
	v_add_u32_e32 v7, 0x400, v7
	s_andn2_b64 exec, exec, s[12:13]
	s_cbranch_execnz .LBB28_8
.LBB28_9:
	s_or_b64 exec, exec, s[10:11]
	v_add_u32_e32 v1, 1, v6
	v_and_b32_e32 v3, 0x3fffffe, v1
	v_cmp_ne_u32_e32 vcc, v1, v3
	v_lshl_or_b32 v2, v3, 7, v0
	s_orn2_b64 s[10:11], vcc, exec
.LBB28_10:
	s_or_b64 exec, exec, s[8:9]
	s_and_b64 exec, exec, s[10:11]
	s_cbranch_execz .LBB28_13
; %bb.11:
	s_lshl_b64 s[8:9], s[4:5], 3
	v_mov_b32_e32 v3, 0
	s_add_u32 s2, s2, s8
	v_lshlrev_b64 v[4:5], 2, v[2:3]
	s_addc_u32 s3, s3, s9
	v_mov_b32_e32 v1, s3
	v_add_co_u32_e32 v4, vcc, s2, v4
	v_addc_co_u32_e32 v5, vcc, v1, v5, vcc
	v_lshl_add_u32 v1, v2, 2, 0
	s_mov_b64 s[2:3], 0
.LBB28_12:                              ; =>This Inner Loop Header: Depth=1
	global_load_dword v3, v[4:5], off
	v_add_co_u32_e32 v4, vcc, 0x200, v4
	v_add_u32_e32 v2, 0x80, v2
	v_addc_co_u32_e32 v5, vcc, 0, v5, vcc
	v_cmp_le_i32_e32 vcc, s18, v2
	s_or_b64 s[2:3], vcc, s[2:3]
	s_waitcnt vmcnt(0)
	ds_write_b32 v1, v3
	v_add_u32_e32 v1, 0x200, v1
	s_andn2_b64 exec, exec, s[2:3]
	s_cbranch_execnz .LBB28_12
.LBB28_13:
	s_or_b64 exec, exec, s[6:7]
	v_mov_b32_e32 v1, 0
	s_waitcnt lgkmcnt(0)
	s_barrier
	ds_read_b32 v1, v1
	s_cmp_lt_i32 s17, 2
	s_cbranch_scc1 .LBB28_21
; %bb.14:
	s_add_i32 s2, s17, -1
	s_add_i32 s3, s17, -2
	s_cmp_lt_u32 s3, 7
	s_cbranch_scc1 .LBB28_18
; %bb.15:
	s_mov_b32 s6, 0
	s_add_i32 s3, 0, 8
	s_and_b32 s5, s2, -8
.LBB28_16:                              ; =>This Inner Loop Header: Depth=1
	v_mov_b32_e32 v8, s3
	ds_read2_b32 v[2:3], v8 offset1:2
	ds_read2_b32 v[4:5], v8 offset0:4 offset1:6
	ds_read2_b32 v[6:7], v8 offset0:8 offset1:10
	;; [unrolled: 1-line block ×3, first 2 shown]
	s_mov_b32 s7, s6
	s_waitcnt lgkmcnt(3)
	v_max3_f32 v1, v1, v2, v3
	s_waitcnt lgkmcnt(2)
	v_max3_f32 v1, v1, v4, v5
	s_add_i32 s3, s3, 64
	s_add_i32 s6, s6, 8
	s_waitcnt lgkmcnt(1)
	v_max3_f32 v1, v1, v6, v7
	s_cmp_eq_u32 s5, s6
	s_waitcnt lgkmcnt(0)
	v_max3_f32 v1, v1, v8, v9
	s_cbranch_scc0 .LBB28_16
; %bb.17:
	s_add_i32 s3, s7, 9
	s_and_b32 s2, s2, 7
	s_cmp_eq_u32 s2, 0
	s_cbranch_scc0 .LBB28_19
	s_branch .LBB28_21
.LBB28_18:
	s_mov_b32 s3, 1
	s_and_b32 s2, s2, 7
	s_cmp_eq_u32 s2, 0
	s_cbranch_scc1 .LBB28_21
.LBB28_19:
	s_lshl_b32 s3, s3, 3
	s_add_i32 s3, s3, 0
.LBB28_20:                              ; =>This Inner Loop Header: Depth=1
	v_mov_b32_e32 v2, s3
	ds_read_b32 v2, v2
	s_waitcnt lgkmcnt(1)
	v_max_f32_e32 v1, v1, v1
	s_add_i32 s3, s3, 8
	s_add_i32 s2, s2, -1
	s_cmp_lg_u32 s2, 0
	s_waitcnt lgkmcnt(0)
	v_max_f32_e32 v2, v2, v2
	v_max_f32_e32 v1, v1, v2
	s_cbranch_scc1 .LBB28_20
.LBB28_21:
	s_cmp_lt_i32 s17, 1
	s_cbranch_scc1 .LBB28_26
; %bb.22:
	s_lshl_b32 s2, s4, 7
	s_ashr_i32 s3, s2, 31
	s_lshl_b64 s[2:3], s[2:3], 2
	s_add_u32 s18, s0, s2
	s_addc_u32 s19, s1, s3
	s_cmp_lt_u32 s17, 8
	v_mov_b32_e32 v6, 0
	s_cbranch_scc1 .LBB28_27
; %bb.23:
	s_and_b32 s20, s17, 0x7ffffff8
	v_or_b32_e32 v2, 0x380, v0
	s_mov_b32 s21, 0
	v_mov_b32_e32 v5, 0
	s_mov_b32 s22, 0x3fb8aa3b
	s_mov_b32 s23, 0xc2ce8ed0
	s_mov_b32 s24, 0x42b17218
	v_mov_b32_e32 v8, 0x7f800000
	v_mov_b32_e32 v9, s19
	s_mov_b32 s25, 0
	v_mov_b32_e32 v7, 0
	v_mov_b32_e32 v6, 0
.LBB28_24:                              ; =>This Inner Loop Header: Depth=1
	v_add_u32_e32 v4, 0xfffffc80, v2
	v_lshlrev_b64 v[26:27], 2, v[4:5]
	v_mov_b32_e32 v3, v5
	v_add_co_u32_e32 v26, vcc, s18, v26
	v_lshlrev_b64 v[28:29], 2, v[2:3]
	v_addc_co_u32_e32 v27, vcc, v9, v27, vcc
	v_add_u32_e32 v4, 0xfffffd00, v2
	v_add_co_u32_e32 v28, vcc, s18, v28
	v_mov_b32_e32 v22, s21
	v_lshlrev_b64 v[30:31], 2, v[4:5]
	v_addc_co_u32_e32 v29, vcc, v9, v29, vcc
	ds_read2_b64 v[10:13], v22 offset1:1
	ds_read2_b64 v[14:17], v22 offset0:2 offset1:3
	ds_read2_b64 v[18:21], v22 offset0:4 offset1:5
	;; [unrolled: 1-line block ×3, first 2 shown]
	v_add_u32_e32 v4, 0xfffffd80, v2
	global_load_dword v3, v[26:27], off
	v_add_co_u32_e32 v26, vcc, s18, v30
	v_addc_co_u32_e32 v27, vcc, v9, v31, vcc
	v_lshlrev_b64 v[30:31], 2, v[4:5]
	v_add_u32_e32 v4, 0xfffffe00, v2
	v_add_co_u32_e32 v30, vcc, s18, v30
	v_addc_co_u32_e32 v31, vcc, v9, v31, vcc
	v_lshlrev_b64 v[32:33], 2, v[4:5]
	v_add_u32_e32 v4, 0xfffffe80, v2
	global_load_dword v34, v[26:27], off
	global_load_dword v35, v[30:31], off
	v_add_co_u32_e32 v26, vcc, s18, v32
	v_addc_co_u32_e32 v27, vcc, v9, v33, vcc
	v_lshlrev_b64 v[30:31], 2, v[4:5]
	v_add_u32_e32 v4, 0xffffff00, v2
	v_add_co_u32_e32 v30, vcc, s18, v30
	v_addc_co_u32_e32 v31, vcc, v9, v31, vcc
	v_lshlrev_b64 v[32:33], 2, v[4:5]
	global_load_dword v36, v[26:27], off
	v_add_u32_e32 v4, 0xffffff80, v2
	global_load_dword v28, v[28:29], off
	v_add_co_u32_e32 v26, vcc, s18, v32
	v_addc_co_u32_e32 v27, vcc, v9, v33, vcc
	global_load_dword v42, v[30:31], off
	s_waitcnt lgkmcnt(3)
	v_sub_f32_e32 v12, v12, v1
	global_load_dword v26, v[26:27], off
	v_lshlrev_b64 v[30:31], 2, v[4:5]
	v_add_co_u32_e32 v30, vcc, s18, v30
	v_addc_co_u32_e32 v31, vcc, v9, v31, vcc
	global_load_dword v30, v[30:31], off
	s_waitcnt lgkmcnt(2)
	v_sub_f32_e32 v14, v14, v1
	v_sub_f32_e32 v10, v10, v1
	v_mul_f32_e32 v38, 0x3fb8aa3b, v12
	v_mul_f32_e32 v39, 0x3fb8aa3b, v14
	s_waitcnt lgkmcnt(1)
	v_sub_f32_e32 v18, v18, v1
	s_waitcnt lgkmcnt(0)
	v_sub_f32_e32 v22, v22, v1
	v_mul_f32_e32 v37, 0x3fb8aa3b, v10
	v_fma_f32 v45, v12, s22, -v38
	v_rndne_f32_e32 v46, v38
	v_fma_f32 v47, v14, s22, -v39
	v_rndne_f32_e32 v48, v39
	v_sub_f32_e32 v16, v16, v1
	v_sub_f32_e32 v20, v20, v1
	v_mul_f32_e32 v41, 0x3fb8aa3b, v18
	v_mul_f32_e32 v32, 0x3fb8aa3b, v22
	v_fma_f32 v33, v10, s22, -v37
	v_rndne_f32_e32 v44, v37
	v_fmac_f32_e32 v45, 0x32a5705f, v12
	v_sub_f32_e32 v38, v38, v46
	v_fmac_f32_e32 v47, 0x32a5705f, v14
	v_sub_f32_e32 v39, v39, v48
	v_mul_f32_e32 v40, 0x3fb8aa3b, v16
	v_mul_f32_e32 v43, 0x3fb8aa3b, v20
	v_fma_f32 v27, v18, s22, -v41
	v_rndne_f32_e32 v31, v41
	v_fmac_f32_e32 v33, 0x32a5705f, v10
	v_sub_f32_e32 v37, v37, v44
	v_add_f32_e32 v38, v38, v45
	v_fma_f32 v45, v22, s22, -v32
	v_add_f32_e32 v39, v39, v47
	v_rndne_f32_e32 v47, v32
	v_fma_f32 v49, v16, s22, -v40
	v_rndne_f32_e32 v50, v40
	v_fma_f32 v29, v20, s22, -v43
	v_add_f32_e32 v33, v37, v33
	v_rndne_f32_e32 v37, v43
	v_fmac_f32_e32 v27, 0x32a5705f, v18
	v_sub_f32_e32 v41, v41, v31
	v_fmac_f32_e32 v45, 0x32a5705f, v22
	v_sub_f32_e32 v32, v32, v47
	;; [unrolled: 2-line block ×3, first 2 shown]
	v_add_f32_e32 v27, v41, v27
	v_cvt_i32_f32_e32 v44, v44
	v_fmac_f32_e32 v29, 0x32a5705f, v20
	v_sub_f32_e32 v43, v43, v37
	v_add_f32_e32 v32, v32, v45
	v_exp_f32_e32 v33, v33
	v_add_f32_e32 v40, v40, v49
	v_cvt_i32_f32_e32 v46, v46
	v_cvt_i32_f32_e32 v31, v31
	;; [unrolled: 1-line block ×3, first 2 shown]
	v_add_f32_e32 v29, v43, v29
	v_exp_f32_e32 v38, v38
	v_exp_f32_e32 v27, v27
	;; [unrolled: 1-line block ×3, first 2 shown]
	v_sub_f32_e32 v24, v24, v1
	v_cvt_i32_f32_e32 v48, v48
	v_cvt_i32_f32_e32 v50, v50
	;; [unrolled: 1-line block ×3, first 2 shown]
	v_exp_f32_e32 v39, v39
	v_exp_f32_e32 v40, v40
	v_exp_f32_e32 v29, v29
	v_mul_f32_e32 v4, 0x3fb8aa3b, v24
	v_fma_f32 v49, v24, s22, -v4
	v_rndne_f32_e32 v41, v4
	v_ldexp_f32 v33, v33, v44
	v_cmp_ngt_f32_e64 s[12:13], s23, v10
	v_fmac_f32_e32 v49, 0x32a5705f, v24
	v_sub_f32_e32 v4, v4, v41
	v_ldexp_f32 v38, v38, v46
	v_cmp_ngt_f32_e32 vcc, s23, v12
	v_ldexp_f32 v27, v27, v31
	v_ldexp_f32 v31, v32, v47
	v_cndmask_b32_e64 v32, 0, v33, s[12:13]
	v_cmp_nlt_f32_e64 s[12:13], s24, v10
	v_add_f32_e32 v4, v4, v49
	v_ldexp_f32 v39, v39, v48
	v_cmp_ngt_f32_e64 s[0:1], s23, v14
	v_ldexp_f32 v40, v40, v50
	v_cmp_ngt_f32_e64 s[2:3], s23, v16
	v_cmp_ngt_f32_e64 s[4:5], s23, v18
	v_ldexp_f32 v29, v29, v37
	v_cmp_ngt_f32_e64 s[6:7], s23, v20
	v_cmp_ngt_f32_e64 s[8:9], s23, v22
	v_cndmask_b32_e32 v33, 0, v38, vcc
	v_cmp_nlt_f32_e32 vcc, s24, v12
	v_cndmask_b32_e64 v10, v8, v32, s[12:13]
	v_cvt_i32_f32_e32 v41, v41
	v_exp_f32_e32 v4, v4
	v_cndmask_b32_e64 v12, 0, v39, s[0:1]
	v_cmp_nlt_f32_e64 s[0:1], s24, v14
	v_cndmask_b32_e64 v14, 0, v40, s[2:3]
	v_cmp_nlt_f32_e64 s[2:3], s24, v16
	;; [unrolled: 2-line block ×5, first 2 shown]
	v_cndmask_b32_e32 v22, v8, v33, vcc
	v_fmac_f32_e32 v7, v10, v11
	s_waitcnt vmcnt(7)
	v_fmac_f32_e32 v6, v3, v10
	v_cndmask_b32_e64 v12, v8, v12, s[0:1]
	v_fmac_f32_e32 v7, v22, v13
	s_waitcnt vmcnt(6)
	v_fmac_f32_e32 v6, v34, v22
	v_cndmask_b32_e64 v14, v8, v14, s[2:3]
	;; [unrolled: 4-line block ×3, first 2 shown]
	v_fmac_f32_e32 v7, v14, v17
	s_waitcnt vmcnt(4)
	v_fmac_f32_e32 v6, v36, v14
	v_ldexp_f32 v4, v4, v41
	v_cmp_ngt_f32_e64 s[10:11], s23, v24
	v_cndmask_b32_e64 v18, v8, v18, s[6:7]
	v_fmac_f32_e32 v7, v16, v19
	s_waitcnt vmcnt(2)
	v_fmac_f32_e32 v6, v42, v16
	v_cndmask_b32_e64 v4, 0, v4, s[10:11]
	v_cmp_nlt_f32_e64 s[10:11], s24, v24
	v_cndmask_b32_e64 v20, v8, v20, s[8:9]
	v_fmac_f32_e32 v7, v18, v21
	s_waitcnt vmcnt(1)
	v_fmac_f32_e32 v6, v26, v18
	s_add_i32 s25, s25, 8
	s_add_i32 s21, s21, 64
	v_cndmask_b32_e64 v4, v8, v4, s[10:11]
	v_fmac_f32_e32 v7, v20, v23
	s_waitcnt vmcnt(0)
	v_fmac_f32_e32 v6, v30, v20
	s_cmp_eq_u32 s20, s25
	v_add_u32_e32 v2, 0x400, v2
	v_fmac_f32_e32 v7, v4, v25
	v_fmac_f32_e32 v6, v28, v4
	s_cbranch_scc0 .LBB28_24
; %bb.25:
	s_and_b32 s0, s17, 7
	s_cmp_eq_u32 s0, 0
	s_cbranch_scc0 .LBB28_28
	s_branch .LBB28_30
.LBB28_26:
	s_waitcnt lgkmcnt(0)
	v_mov_b32_e32 v1, 0x7fc00000
	s_branch .LBB28_31
.LBB28_27:
	s_mov_b32 s20, 0
	v_mov_b32_e32 v7, 0
	s_and_b32 s0, s17, 7
	s_cmp_eq_u32 s0, 0
	s_cbranch_scc1 .LBB28_30
.LBB28_28:
	s_lshl_b32 s1, s20, 3
	v_lshl_or_b32 v2, s20, 7, v0
	s_add_i32 s1, s1, 0
	s_mov_b32 s2, 0x3fb8aa3b
	s_mov_b32 s3, 0xc2ce8ed0
	;; [unrolled: 1-line block ×3, first 2 shown]
	v_mov_b32_e32 v4, 0x7f800000
	v_mov_b32_e32 v3, 0
	v_mov_b32_e32 v5, s19
.LBB28_29:                              ; =>This Inner Loop Header: Depth=1
	v_lshlrev_b64 v[8:9], 2, v[2:3]
	v_add_co_u32_e32 v8, vcc, s18, v8
	v_addc_co_u32_e32 v9, vcc, v5, v9, vcc
	global_load_dword v10, v[8:9], off
	v_mov_b32_e32 v8, s1
	ds_read_b64 v[8:9], v8
	s_add_i32 s1, s1, 8
	s_add_i32 s0, s0, -1
	v_add_u32_e32 v2, 0x80, v2
	s_cmp_lg_u32 s0, 0
	s_waitcnt lgkmcnt(0)
	v_sub_f32_e32 v8, v8, v1
	v_mul_f32_e32 v11, 0x3fb8aa3b, v8
	v_fma_f32 v12, v8, s2, -v11
	v_rndne_f32_e32 v13, v11
	v_fmac_f32_e32 v12, 0x32a5705f, v8
	v_sub_f32_e32 v11, v11, v13
	v_add_f32_e32 v11, v11, v12
	v_cvt_i32_f32_e32 v13, v13
	v_exp_f32_e32 v11, v11
	v_cmp_ngt_f32_e32 vcc, s3, v8
	v_ldexp_f32 v11, v11, v13
	v_cndmask_b32_e32 v11, 0, v11, vcc
	v_cmp_nlt_f32_e32 vcc, s4, v8
	v_cndmask_b32_e32 v8, v4, v11, vcc
	v_fmac_f32_e32 v7, v8, v9
	s_waitcnt vmcnt(0)
	v_fmac_f32_e32 v6, v10, v8
	s_cbranch_scc1 .LBB28_29
.LBB28_30:
	s_waitcnt lgkmcnt(0)
	v_div_scale_f32 v1, s[0:1], v7, v7, v6
	v_rcp_f32_e32 v2, v1
	v_div_scale_f32 v3, vcc, v6, v7, v6
	v_fma_f32 v4, -v1, v2, 1.0
	v_fmac_f32_e32 v2, v4, v2
	v_mul_f32_e32 v4, v3, v2
	v_fma_f32 v5, -v1, v4, v3
	v_fmac_f32_e32 v4, v5, v2
	v_fma_f32 v1, -v1, v4, v3
	v_div_fmas_f32 v1, v1, v2, v4
	v_div_fixup_f32 v1, v1, v7, v6
.LBB28_31:
	s_lshl_b32 s0, s16, 7
	s_ashr_i32 s1, s0, 31
	s_lshl_b64 s[0:1], s[0:1], 2
	s_add_u32 s0, s14, s0
	s_addc_u32 s1, s15, s1
	v_lshlrev_b32_e32 v0, 2, v0
	global_store_dword v0, v1, s[0:1]
	s_endpgm
	.section	.rodata,"a",@progbits
	.p2align	6, 0x0
	.amdhsa_kernel _ZL26flash_attn_combine_resultsILi128EEvPKfPK15HIP_vector_typeIfLj2EEPfi
		.amdhsa_group_segment_fixed_size 0
		.amdhsa_private_segment_fixed_size 0
		.amdhsa_kernarg_size 288
		.amdhsa_user_sgpr_count 6
		.amdhsa_user_sgpr_private_segment_buffer 1
		.amdhsa_user_sgpr_dispatch_ptr 0
		.amdhsa_user_sgpr_queue_ptr 0
		.amdhsa_user_sgpr_kernarg_segment_ptr 1
		.amdhsa_user_sgpr_dispatch_id 0
		.amdhsa_user_sgpr_flat_scratch_init 0
		.amdhsa_user_sgpr_kernarg_preload_length 0
		.amdhsa_user_sgpr_kernarg_preload_offset 0
		.amdhsa_user_sgpr_private_segment_size 0
		.amdhsa_uses_dynamic_stack 0
		.amdhsa_system_sgpr_private_segment_wavefront_offset 0
		.amdhsa_system_sgpr_workgroup_id_x 1
		.amdhsa_system_sgpr_workgroup_id_y 1
		.amdhsa_system_sgpr_workgroup_id_z 1
		.amdhsa_system_sgpr_workgroup_info 0
		.amdhsa_system_vgpr_workitem_id 0
		.amdhsa_next_free_vgpr 51
		.amdhsa_next_free_sgpr 26
		.amdhsa_accum_offset 52
		.amdhsa_reserve_vcc 1
		.amdhsa_reserve_flat_scratch 0
		.amdhsa_float_round_mode_32 0
		.amdhsa_float_round_mode_16_64 0
		.amdhsa_float_denorm_mode_32 3
		.amdhsa_float_denorm_mode_16_64 3
		.amdhsa_dx10_clamp 1
		.amdhsa_ieee_mode 1
		.amdhsa_fp16_overflow 0
		.amdhsa_tg_split 0
		.amdhsa_exception_fp_ieee_invalid_op 0
		.amdhsa_exception_fp_denorm_src 0
		.amdhsa_exception_fp_ieee_div_zero 0
		.amdhsa_exception_fp_ieee_overflow 0
		.amdhsa_exception_fp_ieee_underflow 0
		.amdhsa_exception_fp_ieee_inexact 0
		.amdhsa_exception_int_div_zero 0
	.end_amdhsa_kernel
	.section	.text._ZL26flash_attn_combine_resultsILi128EEvPKfPK15HIP_vector_typeIfLj2EEPfi,"axG",@progbits,_ZL26flash_attn_combine_resultsILi128EEvPKfPK15HIP_vector_typeIfLj2EEPfi,comdat
.Lfunc_end28:
	.size	_ZL26flash_attn_combine_resultsILi128EEvPKfPK15HIP_vector_typeIfLj2EEPfi, .Lfunc_end28-_ZL26flash_attn_combine_resultsILi128EEvPKfPK15HIP_vector_typeIfLj2EEPfi
                                        ; -- End function
	.section	.AMDGPU.csdata,"",@progbits
; Kernel info:
; codeLenInByte = 3048
; NumSgprs: 30
; NumVgprs: 51
; NumAgprs: 0
; TotalNumVgprs: 51
; ScratchSize: 0
; MemoryBound: 0
; FloatMode: 240
; IeeeMode: 1
; LDSByteSize: 0 bytes/workgroup (compile time only)
; SGPRBlocks: 3
; VGPRBlocks: 6
; NumSGPRsForWavesPerEU: 30
; NumVGPRsForWavesPerEU: 51
; AccumOffset: 52
; Occupancy: 8
; WaveLimiterHint : 0
; COMPUTE_PGM_RSRC2:SCRATCH_EN: 0
; COMPUTE_PGM_RSRC2:USER_SGPR: 6
; COMPUTE_PGM_RSRC2:TRAP_HANDLER: 0
; COMPUTE_PGM_RSRC2:TGID_X_EN: 1
; COMPUTE_PGM_RSRC2:TGID_Y_EN: 1
; COMPUTE_PGM_RSRC2:TGID_Z_EN: 1
; COMPUTE_PGM_RSRC2:TIDIG_COMP_CNT: 0
; COMPUTE_PGM_RSRC3_GFX90A:ACCUM_OFFSET: 12
; COMPUTE_PGM_RSRC3_GFX90A:TG_SPLIT: 0
	.section	.text._ZL18flash_attn_ext_f16ILi256ELi256ELi16ELi2ELb0ELb0EEvPKcS1_S1_S1_S1_PKiPfP15HIP_vector_typeIfLj2EEffffjfiS5_IjLj3EEiiiiiiiiiiiliiliiiiil,"axG",@progbits,_ZL18flash_attn_ext_f16ILi256ELi256ELi16ELi2ELb0ELb0EEvPKcS1_S1_S1_S1_PKiPfP15HIP_vector_typeIfLj2EEffffjfiS5_IjLj3EEiiiiiiiiiiiliiliiiiil,comdat
	.globl	_ZL18flash_attn_ext_f16ILi256ELi256ELi16ELi2ELb0ELb0EEvPKcS1_S1_S1_S1_PKiPfP15HIP_vector_typeIfLj2EEffffjfiS5_IjLj3EEiiiiiiiiiiiliiliiiiil ; -- Begin function _ZL18flash_attn_ext_f16ILi256ELi256ELi16ELi2ELb0ELb0EEvPKcS1_S1_S1_S1_PKiPfP15HIP_vector_typeIfLj2EEffffjfiS5_IjLj3EEiiiiiiiiiiiliiliiiiil
	.p2align	8
	.type	_ZL18flash_attn_ext_f16ILi256ELi256ELi16ELi2ELb0ELb0EEvPKcS1_S1_S1_S1_PKiPfP15HIP_vector_typeIfLj2EEffffjfiS5_IjLj3EEiiiiiiiiiiiliiliiiiil,@function
_ZL18flash_attn_ext_f16ILi256ELi256ELi16ELi2ELb0ELb0EEvPKcS1_S1_S1_S1_PKiPfP15HIP_vector_typeIfLj2EEffffjfiS5_IjLj3EEiiiiiiiiiiiliiliiiiil: ; @_ZL18flash_attn_ext_f16ILi256ELi256ELi16ELi2ELb0ELb0EEvPKcS1_S1_S1_S1_PKiPfP15HIP_vector_typeIfLj2EEffffjfiS5_IjLj3EEiiiiiiiiiiiliiliiiiil
; %bb.0:
	s_load_dwordx2 s[2:3], s[4:5], 0x80
	s_load_dwordx4 s[28:31], s[4:5], 0x64
	v_mov_b32_e32 v4, v0
	s_mov_b32 s49, s6
                                        ; implicit-def: $vgpr255 : SGPR spill to VGPR lane
	s_load_dword s35, s[4:5], 0xd0
	s_waitcnt lgkmcnt(0)
	s_abs_i32 s1, s3
	v_cvt_f32_u32_e32 v0, s1
	s_sub_i32 s8, 0, s1
	s_abs_i32 s7, s29
	s_xor_b32 s6, s29, s3
	v_rcp_iflag_f32_e32 v0, v0
	s_ashr_i32 s6, s6, 31
	s_mov_b32 s0, 0
	v_cvt_f32_ubyte0_e32 v2, 0
	v_mul_f32_e32 v0, 0x4f7ffffe, v0
	v_cvt_u32_f32_e32 v0, v0
	v_readfirstlane_b32 s9, v0
	s_mul_i32 s8, s8, s9
	s_mul_hi_u32 s8, s9, s8
	s_add_i32 s9, s9, s8
	s_mul_hi_u32 s8, s7, s9
	s_mul_i32 s9, s8, s1
	s_sub_i32 s7, s7, s9
	s_add_i32 s10, s8, 1
	s_sub_i32 s9, s7, s1
	s_cmp_ge_u32 s7, s1
	s_cselect_b32 s8, s10, s8
	s_cselect_b32 s7, s9, s7
	s_add_i32 s9, s8, 1
	s_cmp_ge_u32 s7, s1
	s_cselect_b32 s1, s9, s8
	s_add_i32 s2, s2, 63
	s_xor_b32 s1, s1, s6
	s_ashr_i32 s7, s2, 31
	s_sub_i32 s78, s1, s6
	s_lshr_b32 s1, s7, 26
	s_add_i32 s2, s2, s1
	s_add_i32 s1, s28, 15
	s_lshr_b32 s6, s1, 4
	s_add_i32 s1, s78, 1
	s_ashr_i32 s83, s2, 6
	s_lshr_b32 s2, s1, 31
	s_add_i32 s1, s1, s2
	s_ashr_i32 s1, s1, 1
	v_writelane_b32 v255, s6, 0
	s_mul_i32 s2, s6, s83
	v_writelane_b32 v255, s2, 1
	s_mul_i32 s1, s2, s1
	;; [unrolled: 2-line block ×3, first 2 shown]
	s_mul_i32 s6, s1, s30
	s_ashr_i32 s7, s6, 31
	v_cvt_f32_u32_e32 v0, s35
	v_writelane_b32 v255, s1, 3
	s_mul_i32 s1, s7, s49
	s_mul_hi_u32 s2, s6, s49
	s_add_i32 s1, s2, s1
	s_mul_i32 s8, s6, s49
	s_cmp_lg_u64 s[0:1], 0
	s_cbranch_scc0 .LBB29_2
; %bb.1:
	v_madmk_f32 v1, v2, 0x4f800000, v0
	v_rcp_f32_e32 v1, v1
	s_sub_u32 s0, 0, s35
	s_subb_u32 s9, 0, 0
	s_mov_b64 s[2:3], 0
	v_mul_f32_e32 v1, 0x5f7ffffc, v1
	v_mul_f32_e32 v3, 0x2f800000, v1
	v_trunc_f32_e32 v3, v3
	v_madmk_f32 v1, v3, 0xcf800000, v1
	v_cvt_u32_f32_e32 v3, v3
	v_cvt_u32_f32_e32 v1, v1
	v_readfirstlane_b32 s10, v3
	v_readfirstlane_b32 s11, v1
	s_mul_hi_u32 s13, s0, s11
	s_mul_i32 s14, s0, s10
	s_mul_i32 s12, s9, s11
	s_add_i32 s13, s13, s14
	s_add_i32 s13, s13, s12
	s_mul_i32 s15, s0, s11
	s_mul_hi_u32 s12, s11, s13
	s_mul_i32 s14, s11, s13
	s_mul_hi_u32 s11, s11, s15
	s_add_u32 s11, s11, s14
	s_addc_u32 s12, 0, s12
	s_mul_hi_u32 s16, s10, s15
	s_mul_i32 s15, s10, s15
	s_add_u32 s11, s11, s15
	s_mul_hi_u32 s14, s10, s13
	s_addc_u32 s11, s12, s16
	s_addc_u32 s12, s14, 0
	s_mul_i32 s13, s10, s13
	s_add_u32 s11, s11, s13
	s_addc_u32 s12, 0, s12
	v_add_co_u32_e32 v1, vcc, s11, v1
	s_cmp_lg_u64 vcc, 0
	s_addc_u32 s10, s10, s12
	v_readfirstlane_b32 s12, v1
	s_mul_i32 s11, s0, s10
	s_mul_hi_u32 s13, s0, s12
	s_add_i32 s11, s13, s11
	s_mul_i32 s9, s9, s12
	s_add_i32 s11, s11, s9
	s_mul_i32 s0, s0, s12
	s_mul_hi_u32 s13, s10, s0
	s_mul_i32 s14, s10, s0
	s_mul_i32 s16, s12, s11
	s_mul_hi_u32 s0, s12, s0
	s_mul_hi_u32 s15, s12, s11
	s_add_u32 s0, s0, s16
	s_addc_u32 s12, 0, s15
	s_add_u32 s0, s0, s14
	s_mul_hi_u32 s9, s10, s11
	s_addc_u32 s0, s12, s13
	s_addc_u32 s9, s9, 0
	s_mul_i32 s11, s10, s11
	s_add_u32 s0, s0, s11
	s_addc_u32 s9, 0, s9
	v_add_co_u32_e32 v1, vcc, s0, v1
	s_cmp_lg_u64 vcc, 0
	s_addc_u32 s9, s10, s9
	s_ashr_i32 s10, s1, 31
	s_add_u32 s0, s8, s10
	s_mov_b32 s11, s10
	s_addc_u32 s1, s1, s10
	s_xor_b64 s[0:1], s[0:1], s[10:11]
	v_readfirstlane_b32 s14, v1
	s_mul_i32 s13, s0, s9
	s_mul_hi_u32 s15, s0, s14
	s_mul_hi_u32 s12, s0, s9
	s_add_u32 s13, s15, s13
	s_addc_u32 s12, 0, s12
	s_mul_hi_u32 s16, s1, s14
	s_mul_i32 s14, s1, s14
	s_add_u32 s13, s13, s14
	s_mul_hi_u32 s15, s1, s9
	s_addc_u32 s12, s12, s16
	s_addc_u32 s13, s15, 0
	s_mul_i32 s9, s1, s9
	s_add_u32 s9, s12, s9
	s_addc_u32 s12, 0, s13
	s_add_u32 s13, s9, 1
	s_addc_u32 s14, s12, 0
	s_add_u32 s15, s9, 2
	s_mul_i32 s17, s35, s12
	s_mul_hi_u32 s18, s35, s9
	s_addc_u32 s16, s12, 0
	s_add_i32 s18, s18, s17
	s_mul_i32 s17, s35, s9
	v_mov_b32_e32 v1, s17
	v_sub_co_u32_e32 v1, vcc, s0, v1
	s_cmp_lg_u64 vcc, 0
	s_subb_u32 s0, s1, s18
	v_subrev_co_u32_e32 v3, vcc, s35, v1
	s_cmp_lg_u64 vcc, 0
	s_subb_u32 s1, s0, 0
	v_readfirstlane_b32 s17, v3
	s_cmp_ge_u32 s17, s35
	s_cselect_b32 s17, -1, 0
	s_cmp_eq_u32 s1, 0
	s_cselect_b32 s1, s17, -1
	s_cmp_lg_u32 s1, 0
	s_cselect_b32 s1, s16, s14
	v_readfirstlane_b32 s14, v1
	s_cselect_b32 s13, s15, s13
	s_cmp_ge_u32 s14, s35
	s_cselect_b32 s14, -1, 0
	s_cmp_eq_u32 s0, 0
	s_cselect_b32 s0, s14, -1
	s_cmp_lg_u32 s0, 0
	s_cselect_b32 s1, s1, s12
	s_cselect_b32 s0, s13, s9
	s_xor_b64 s[0:1], s[0:1], s[10:11]
	s_sub_u32 s52, s0, s10
	s_branch .LBB29_3
.LBB29_2:
	s_mov_b64 s[2:3], -1
                                        ; implicit-def: $sgpr52_sgpr53
.LBB29_3:
	s_load_dwordx2 s[0:1], s[4:5], 0x74
	v_cvt_f32_u32_e32 v1, s35
	s_andn2_b64 vcc, exec, s[2:3]
	s_waitcnt lgkmcnt(0)
	v_writelane_b32 v255, s0, 4
	v_writelane_b32 v255, s1, 5
	s_cbranch_vccnz .LBB29_5
; %bb.4:
	v_rcp_iflag_f32_e32 v3, v1
	s_sub_i32 s0, 0, s35
	v_mul_f32_e32 v3, 0x4f7ffffe, v3
	v_cvt_u32_f32_e32 v3, v3
	v_readfirstlane_b32 s1, v3
	s_mul_i32 s0, s0, s1
	s_mul_hi_u32 s0, s1, s0
	s_add_i32 s1, s1, s0
	s_mul_hi_u32 s0, s8, s1
	s_mul_i32 s2, s0, s35
	s_sub_i32 s2, s8, s2
	s_add_i32 s1, s0, 1
	s_sub_i32 s3, s2, s35
	s_cmp_ge_u32 s2, s35
	s_cselect_b32 s0, s1, s0
	s_cselect_b32 s2, s3, s2
	s_add_i32 s1, s0, 1
	s_cmp_ge_u32 s2, s35
	s_cselect_b32 s52, s1, s0
.LBB29_5:
	s_add_i32 s0, s49, 1
	s_mul_i32 s1, s7, s0
	s_mul_hi_u32 s2, s6, s0
	s_add_i32 s3, s2, s1
	s_mov_b32 s2, 0
	s_cmp_lg_u64 s[2:3], 0
	s_mul_i32 s2, s6, s0
	s_cbranch_scc0 .LBB29_312
; %bb.6:
	v_madmk_f32 v0, v2, 0x4f800000, v0
	v_rcp_f32_e32 v0, v0
	s_sub_u32 s6, 0, s35
	s_subb_u32 s7, 0, 0
	v_mul_f32_e32 v0, 0x5f7ffffc, v0
	v_mul_f32_e32 v2, 0x2f800000, v0
	v_trunc_f32_e32 v2, v2
	v_madmk_f32 v0, v2, 0xcf800000, v0
	v_cvt_u32_f32_e32 v2, v2
	v_cvt_u32_f32_e32 v0, v0
	v_readfirstlane_b32 s8, v2
	v_readfirstlane_b32 s9, v0
	s_mul_hi_u32 s11, s6, s9
	s_mul_i32 s12, s6, s8
	s_mul_i32 s10, s7, s9
	s_add_i32 s11, s11, s12
	s_add_i32 s11, s11, s10
	s_mul_i32 s13, s6, s9
	s_mul_hi_u32 s10, s9, s11
	s_mul_i32 s12, s9, s11
	s_mul_hi_u32 s9, s9, s13
	s_add_u32 s9, s9, s12
	s_addc_u32 s10, 0, s10
	s_mul_hi_u32 s14, s8, s13
	s_mul_i32 s13, s8, s13
	s_add_u32 s9, s9, s13
	s_mul_hi_u32 s12, s8, s11
	s_addc_u32 s9, s10, s14
	s_addc_u32 s10, s12, 0
	s_mul_i32 s11, s8, s11
	s_add_u32 s9, s9, s11
	s_addc_u32 s10, 0, s10
	v_add_co_u32_e32 v0, vcc, s9, v0
	s_cmp_lg_u64 vcc, 0
	s_addc_u32 s8, s8, s10
	v_readfirstlane_b32 s10, v0
	s_mul_i32 s9, s6, s8
	s_mul_hi_u32 s11, s6, s10
	s_add_i32 s9, s11, s9
	s_mul_i32 s7, s7, s10
	s_add_i32 s9, s9, s7
	s_mul_i32 s6, s6, s10
	s_mul_hi_u32 s11, s8, s6
	s_mul_i32 s12, s8, s6
	s_mul_i32 s14, s10, s9
	s_mul_hi_u32 s6, s10, s6
	s_mul_hi_u32 s13, s10, s9
	s_add_u32 s6, s6, s14
	s_addc_u32 s10, 0, s13
	s_add_u32 s6, s6, s12
	s_mul_hi_u32 s7, s8, s9
	s_addc_u32 s6, s10, s11
	s_addc_u32 s7, s7, 0
	s_mul_i32 s9, s8, s9
	s_add_u32 s6, s6, s9
	s_addc_u32 s7, 0, s7
	v_add_co_u32_e32 v0, vcc, s6, v0
	s_cmp_lg_u64 vcc, 0
	s_addc_u32 s10, s8, s7
	s_ashr_i32 s6, s3, 31
	s_add_u32 s8, s2, s6
	s_mov_b32 s7, s6
	s_addc_u32 s9, s3, s6
	s_xor_b64 s[8:9], s[8:9], s[6:7]
	v_readfirstlane_b32 s12, v0
	s_mul_i32 s11, s8, s10
	s_mul_hi_u32 s13, s8, s12
	s_mul_hi_u32 s3, s8, s10
	s_add_u32 s11, s13, s11
	s_addc_u32 s3, 0, s3
	s_mul_hi_u32 s14, s9, s12
	s_mul_i32 s12, s9, s12
	s_add_u32 s11, s11, s12
	s_mul_hi_u32 s13, s9, s10
	s_addc_u32 s3, s3, s14
	s_addc_u32 s11, s13, 0
	s_mul_i32 s10, s9, s10
	s_add_u32 s3, s3, s10
	s_addc_u32 s10, 0, s11
	s_add_u32 s11, s3, 1
	s_addc_u32 s12, s10, 0
	s_add_u32 s13, s3, 2
	s_mul_i32 s15, s35, s10
	s_mul_hi_u32 s16, s35, s3
	s_addc_u32 s14, s10, 0
	s_add_i32 s16, s16, s15
	s_mul_i32 s15, s35, s3
	v_mov_b32_e32 v0, s15
	v_sub_co_u32_e32 v0, vcc, s8, v0
	s_cmp_lg_u64 vcc, 0
	s_subb_u32 s8, s9, s16
	v_subrev_co_u32_e32 v2, vcc, s35, v0
	s_cmp_lg_u64 vcc, 0
	s_subb_u32 s9, s8, 0
	v_readfirstlane_b32 s15, v2
	s_cmp_ge_u32 s15, s35
	s_cselect_b32 s15, -1, 0
	s_cmp_eq_u32 s9, 0
	s_cselect_b32 s9, s15, -1
	s_cmp_lg_u32 s9, 0
	s_cselect_b32 s9, s14, s12
	v_readfirstlane_b32 s12, v0
	s_cselect_b32 s11, s13, s11
	s_cmp_ge_u32 s12, s35
	s_cselect_b32 s12, -1, 0
	s_cmp_eq_u32 s8, 0
	s_cselect_b32 s8, s12, -1
	s_cmp_lg_u32 s8, 0
	s_cselect_b32 s9, s9, s10
	s_cselect_b32 s8, s11, s3
	s_xor_b64 s[8:9], s[8:9], s[6:7]
	s_sub_u32 s56, s8, s6
	s_load_dwordx2 s[40:41], s[4:5], 0x5c
	s_cbranch_execnz .LBB29_8
.LBB29_7:
	v_rcp_iflag_f32_e32 v0, v1
	s_sub_i32 s0, 0, s35
	v_mul_f32_e32 v0, 0x4f7ffffe, v0
	v_cvt_u32_f32_e32 v0, v0
	v_readfirstlane_b32 s1, v0
	s_mul_i32 s0, s0, s1
	s_mul_hi_u32 s0, s1, s0
	s_add_i32 s1, s1, s0
	s_mul_hi_u32 s0, s2, s1
	s_mul_i32 s3, s0, s35
	s_sub_i32 s2, s2, s3
	s_add_i32 s1, s0, 1
	s_sub_i32 s3, s2, s35
	s_cmp_ge_u32 s2, s35
	s_cselect_b32 s0, s1, s0
	s_cselect_b32 s2, s3, s2
	s_add_i32 s1, s0, 1
	s_cmp_ge_u32 s2, s35
	s_cselect_b32 s56, s1, s0
.LBB29_8:
	s_abs_i32 s57, s83
	v_cvt_f32_u32_e32 v0, s57
	s_sub_i32 s2, 0, s57
	v_readlane_b32 s0, v255, 4
	v_readlane_b32 s1, v255, 5
	v_rcp_iflag_f32_e32 v0, v0
	s_load_dwordx16 s[12:27], s[4:5], 0x0
	s_load_dword s6, s[4:5], 0x40
	s_load_dwordx2 s[50:51], s[4:5], 0x8c
	s_load_dwordx4 s[36:39], s[4:5], 0x98
	s_load_dwordx2 s[44:45], s[4:5], 0xa8
	s_load_dwordx2 s[10:11], s[4:5], 0xb8
	;; [unrolled: 1-line block ×3, first 2 shown]
	s_abs_i32 s1, s52
	s_ashr_i32 s33, s31, 3
	v_mul_f32_e32 v0, 0x4f7ffffe, v0
	v_cvt_u32_f32_e32 v0, v0
	s_ashr_i32 s60, s0, 3
	s_waitcnt lgkmcnt(0)
	s_ashr_i32 s34, s50, 2
	s_ashr_i32 s42, s11, 1
	v_readfirstlane_b32 s48, v0
	s_mul_i32 s2, s2, s48
	s_mul_hi_u32 s2, s48, s2
	s_add_i32 s48, s48, s2
	s_mul_hi_u32 s2, s1, s48
	s_mul_i32 s2, s2, s57
	s_sub_i32 s1, s1, s2
	s_ashr_i32 s30, s38, 2
	s_ashr_i32 s0, s52, 31
	;; [unrolled: 1-line block ×3, first 2 shown]
	s_sub_i32 s2, s1, s57
	s_cmp_ge_u32 s1, s57
	s_cselect_b32 s1, s2, s1
	s_sub_i32 s2, s1, s57
	s_cmp_ge_u32 s1, s57
	s_cselect_b32 s1, s2, s1
	s_xor_b32 s1, s1, s0
	s_sub_i32 s74, s1, s0
	s_sub_i32 s0, s56, s52
	s_add_i32 s2, s0, s74
	s_min_i32 s80, s83, s2
	s_cmp_gt_i32 s56, s52
	s_cselect_b64 s[8:9], -1, 0
	s_cmp_le_i32 s56, s52
	v_cvt_f16_f32_e32 v0, s6
	s_cselect_b64 s[0:1], -1, 0
	s_cmp_gt_i32 s83, s2
	s_cselect_b64 s[2:3], -1, 0
	v_bfe_u32 v111, v4, 10, 10
	s_or_b64 s[0:1], s[2:3], s[0:1]
	v_and_b32_e32 v149, 1, v111
	v_lshrrev_b32_e32 v148, 1, v111
	s_mov_b32 s59, 0
	s_and_b64 vcc, exec, s[0:1]
	v_pack_b32_f16 v231, v0, v0
	v_lshlrev_b32_e32 v112, 3, v111
	v_add_u32_e32 v75, 4, v111
	v_add_u32_e32 v74, 8, v111
	;; [unrolled: 1-line block ×7, first 2 shown]
	v_accvgpr_write_b32 a6, v148
	v_accvgpr_write_b32 a9, v149
	s_cbranch_vccz .LBB29_11
; %bb.9:
	s_andn2_b64 vcc, exec, s[8:9]
	s_cbranch_vccz .LBB29_276
.LBB29_10:
	s_endpgm
.LBB29_11:
	v_and_b32_e32 v232, 0x3ff, v4
	s_cmp_eq_u64 s[20:21], 0
	v_lshrrev_b32_e32 v2, 3, v232
	v_writelane_b32 v255, s35, 6
	s_cselect_b64 s[0:1], -1, 0
	v_accvgpr_write_b32 a12, v4
	v_and_b32_e32 v3, 15, v232
	v_and_b32_e32 v4, 30, v2
	v_writelane_b32 v255, s0, 7
	s_cmp_lg_u64 s[22:23], 0
	v_mul_u32_u24_e32 v0, 0x210, v3
	v_lshlrev_b32_e32 v2, 2, v4
	v_writelane_b32 v255, s1, 8
	s_cselect_b64 s[0:1], -1, 0
	v_add3_u32 v5, 0, v0, v2
	v_lshrrev_b32_e32 v0, 5, v232
	v_lshrrev_b32_e32 v8, 2, v232
	v_writelane_b32 v255, s0, 9
	v_lshl_add_u32 v238, v111, 1, v0
	v_lshlrev_b32_e32 v0, 2, v232
	v_and_b32_e32 v9, 60, v8
	v_writelane_b32 v255, s1, 10
	v_and_b32_e32 v1, 0x7f0, v112
	s_movk_i32 s0, 0x210
	v_and_b32_e32 v2, 0x7c, v0
	v_lshlrev_b32_e32 v0, 4, v111
	v_mul_u32_u24_e32 v13, 0x108, v9
	v_mad_u32_u24 v234, v1, s0, v5
	v_mul_u32_u24_e32 v6, 0x210, v238
	v_and_b32_e32 v7, 16, v0
	v_and_or_b32 v1, v232, 14, v1
	v_and_b32_e32 v12, 8, v112
	v_or_b32_e32 v13, v13, v3
	v_or_b32_e32 v8, 3, v8
	s_movk_i32 s2, 0x420
	v_lshlrev_b32_e32 v16, 2, v2
	s_movk_i32 s1, 0x90
	v_add_u32_e32 v10, v9, v7
	v_lshrrev_b32_e32 v1, 1, v1
	v_add_u16_e32 v11, v9, v7
	v_mul_u32_u24_e32 v14, 0x210, v9
	v_mul_u32_u24_e32 v8, 0x210, v8
	;; [unrolled: 1-line block ×3, first 2 shown]
	v_add3_u32 v131, 0, v6, v16
	v_mad_u32_u24 v132, v7, s0, v5
	v_mad_u32_u24 v5, v12, s2, 0
	v_lshlrev_b32_e32 v6, 1, v13
	v_lshlrev_b32_e32 v7, 1, v3
	v_lshrrev_b16_e32 v11, 1, v11
	v_mad_u32_u24 v1, v1, s1, 0
	v_add_u32_e32 v134, v5, v6
	v_add3_u32 v135, v5, v14, v7
	v_add3_u32 v136, v5, v8, v7
	;; [unrolled: 1-line block ×3, first 2 shown]
	v_lshl_add_u32 v241, v11, 2, v1
	v_lshl_add_u32 v1, v10, 1, v1
	v_add_u32_e32 v137, v5, v6
	v_mad_u32_u24 v10, v9, s0, v5
	v_add3_u32 v252, v5, v8, v7
	v_add3_u32 v5, 0, 64, v15
	s_add_i32 s1, 0, 0x60
	v_add_u32_e32 v236, v5, v6
	v_mad_u32_u24 v11, v9, s0, v5
	v_add3_u32 v133, v5, v8, v7
	v_mov_b32_e32 v5, s1
	v_mad_u32_u24 v5, v12, s2, v5
	s_add_i32 s1, 0, 0x80
	v_add_u32_e32 v129, v5, v6
	v_mad_u32_u24 v13, v9, s0, v5
	v_add3_u32 v115, v5, v8, v7
	v_mov_b32_e32 v5, s1
	v_mad_u32_u24 v5, v12, s2, v5
	;; [unrolled: 6-line block ×4, first 2 shown]
	s_add_i32 s1, 0, 0xe0
	v_add_u32_e32 v152, v5, v6
	v_mad_u32_u24 v16, v9, s0, v5
	v_add3_u32 v154, v5, v8, v7
	v_mov_b32_e32 v5, s1
	s_add_i32 s1, 0, 0x100
	s_movk_i32 s6, 0x84
	v_mov_b32_e32 v17, s1
	s_add_i32 s1, 0, 0x120
	v_add_u32_e32 v233, 64, v1
	v_add_u32_e32 v204, 0x44, v1
	v_mad_u32_u24 v1, v111, s6, v232
	v_mov_b32_e32 v18, s1
	s_add_i32 s1, 0, 0x140
	v_lshl_add_u32 v206, v1, 2, 0
	v_or_b32_e32 v1, v0, v232
	v_mov_b32_e32 v19, s1
	s_add_i32 s1, 0, 0x160
	v_mul_u32_u24_e32 v1, 0x210, v1
	v_mov_b32_e32 v20, s1
	s_add_i32 s1, 0, 0x180
	v_or_b32_e32 v3, v0, v3
	v_accvgpr_write_b32 a27, v1
	v_and_b32_e32 v1, 31, v232
	v_mov_b32_e32 v21, s1
	s_add_i32 s1, 0, 0x1a0
	v_mad_u32_u24 v3, v3, s6, v4
	v_or_b32_e32 v0, v0, v1
	v_mov_b32_e32 v22, s1
	s_add_i32 s1, 0, 0x1c0
	v_mul_u32_u24_e32 v0, 0x210, v0
	v_lshl_add_u32 v237, v3, 2, 0
	v_add_u32_e32 v3, 16, v148
	v_mov_b32_e32 v23, s1
	s_add_i32 s1, 0, 0x1e0
	s_movk_i32 s7, 0x1e0
	s_movk_i32 s11, 0xe0
	v_accvgpr_write_b32 a28, v0
	v_bfe_u32 v0, v111, 1, 4
	v_lshlrev_b32_e32 v65, 1, v3
	v_mov_b32_e32 v24, s1
	v_and_or_b32 v65, v65, s7, v0
	v_and_or_b32 v0, v111, s11, v0
	v_mad_u32_u24 v5, v12, s2, v5
	v_mad_u32_u24 v17, v12, s2, v17
	v_mad_u32_u24 v18, v12, s2, v18
	v_mad_u32_u24 v19, v12, s2, v19
	v_mad_u32_u24 v20, v12, s2, v20
	v_mad_u32_u24 v21, v12, s2, v21
	v_mad_u32_u24 v22, v12, s2, v22
	v_mad_u32_u24 v23, v12, s2, v23
	v_mad_u32_u24 v12, v12, s2, v24
	v_mad_u32_u24 v66, v0, s6, v232
	v_add_u32_e32 v156, v5, v6
	v_mad_u32_u24 v24, v9, s0, v5
	v_add3_u32 v158, v5, v8, v7
	v_add_u32_e32 v151, v17, v6
	v_mad_u32_u24 v5, v9, s0, v17
	v_add3_u32 v160, v17, v8, v7
	;; [unrolled: 3-line block ×7, first 2 shown]
	v_add_u32_e32 v163, v23, v6
	v_mad_u32_u24 v22, v9, s0, v23
	v_add_u32_e32 v165, v12, v6
	v_mad_u32_u24 v6, v9, s0, v12
	s_movk_i32 s0, 0x4200
	s_lshl_b32 s58, s49, 5
	v_lshl_add_u32 v66, v66, 2, 0
	v_add3_u32 v171, v10, v7, s0
	v_add3_u32 v172, v11, v7, s0
	;; [unrolled: 1-line block ×15, first 2 shown]
	s_ashr_i32 s43, s42, 31
	s_ashr_i32 s35, s34, 31
	s_lshl_b32 s1, s34, 3
	s_ashr_i32 s31, s30, 31
	s_lshl_b32 s0, s30, 3
	s_lshl_b64 s[2:3], s[58:59], 3
	v_or_b32_e32 v5, v112, v232
	v_accvgpr_write_b32 a30, v66
	v_add_u32_e32 v66, 64, v232
	s_add_u32 s2, s26, s2
	v_lshlrev_b32_e32 v5, 3, v5
	v_add_u32_e32 v36, 2, v148
	v_mul_u32_u24_e32 v67, 0x210, v0
	v_mad_u32_u24 v0, v0, s6, v66
	v_add3_u32 v169, v23, v8, v7
	v_add3_u32 v170, v12, v8, v7
	v_add_co_u32_e32 v8, vcc, s2, v5
	v_lshlrev_b32_e32 v4, 1, v36
	v_and_b32_e32 v5, 15, v36
	v_lshl_add_u32 v0, v0, 2, 0
	v_and_or_b32 v37, v4, s7, v5
	v_accvgpr_write_b32 a32, v0
	v_lshrrev_b32_e32 v0, 1, v36
	v_accvgpr_write_b32 a33, v0
	v_mad_u32_u24 v0, v37, s6, v232
	v_lshl_add_u32 v0, v0, 2, 0
	v_accvgpr_write_b32 a34, v0
	v_mul_u32_u24_e32 v0, 0x210, v37
	v_add_u32_e32 v38, 4, v148
	v_accvgpr_write_b32 a35, v0
	v_mad_u32_u24 v0, v37, s6, v66
	v_lshlrev_b32_e32 v4, 1, v38
	v_and_b32_e32 v5, 15, v38
	v_lshl_add_u32 v0, v0, 2, 0
	v_and_or_b32 v39, v4, s7, v5
	v_accvgpr_write_b32 a36, v0
	v_lshrrev_b32_e32 v0, 1, v38
	v_accvgpr_write_b32 a37, v0
	v_mad_u32_u24 v0, v39, s6, v232
	v_lshl_add_u32 v0, v0, 2, 0
	v_accvgpr_write_b32 a38, v0
	v_mul_u32_u24_e32 v0, 0x210, v39
	v_add_u32_e32 v40, 6, v148
	v_accvgpr_write_b32 a39, v0
	v_mad_u32_u24 v0, v39, s6, v66
	;; [unrolled: 14-line block ×6, first 2 shown]
	v_lshlrev_b32_e32 v4, 1, v48
	v_and_b32_e32 v5, 15, v48
	v_lshl_add_u32 v0, v0, 2, 0
	v_and_or_b32 v49, v4, s7, v5
	v_accvgpr_write_b32 a56, v0
	v_lshrrev_b32_e32 v0, 1, v48
	v_accvgpr_write_b32 a57, v0
	v_mad_u32_u24 v0, v49, s6, v232
	v_lshl_add_u32 v0, v0, 2, 0
	v_accvgpr_write_b32 a58, v0
	v_mul_u32_u24_e32 v0, 0x210, v49
	v_accvgpr_write_b32 a59, v0
	v_mad_u32_u24 v0, v49, s6, v66
	v_lshl_add_u32 v0, v0, 2, 0
	v_accvgpr_write_b32 a60, v0
	v_lshrrev_b32_e32 v0, 1, v3
	v_accvgpr_write_b32 a61, v0
	v_mad_u32_u24 v0, v65, s6, v232
	v_lshl_add_u32 v0, v0, 2, 0
	v_accvgpr_write_b32 a62, v0
	v_mul_u32_u24_e32 v0, 0x210, v65
	v_add_u32_e32 v50, 18, v148
	v_accvgpr_write_b32 a63, v0
	v_mad_u32_u24 v0, v65, s6, v66
	v_lshlrev_b32_e32 v4, 1, v50
	v_and_b32_e32 v5, 15, v50
	v_lshl_add_u32 v0, v0, 2, 0
	v_and_or_b32 v51, v4, s7, v5
	v_accvgpr_write_b32 a64, v0
	v_lshrrev_b32_e32 v0, 1, v50
	v_accvgpr_write_b32 a65, v0
	v_mad_u32_u24 v0, v51, s6, v232
	v_lshl_add_u32 v0, v0, 2, 0
	v_accvgpr_write_b32 a66, v0
	v_mul_u32_u24_e32 v0, 0x210, v51
	v_add_u32_e32 v52, 20, v148
	v_accvgpr_write_b32 a67, v0
	v_mad_u32_u24 v0, v51, s6, v66
	v_lshlrev_b32_e32 v4, 1, v52
	v_and_b32_e32 v5, 15, v52
	v_lshl_add_u32 v0, v0, 2, 0
	v_and_or_b32 v53, v4, s7, v5
	;; [unrolled: 14-line block ×5, first 2 shown]
	v_accvgpr_write_b32 a80, v0
	v_lshrrev_b32_e32 v0, 1, v58
	v_accvgpr_write_b32 a81, v0
	v_mad_u32_u24 v0, v59, s6, v232
	v_lshl_add_u32 v0, v0, 2, 0
	v_writelane_b32 v255, s49, 11
	v_accvgpr_write_b32 a82, v0
	v_mul_u32_u24_e32 v0, 0x210, v59
	v_add_u32_e32 v60, 28, v148
	v_readlane_b32 s53, v255, 3
	v_accvgpr_write_b32 a83, v0
	v_mad_u32_u24 v0, v59, s6, v66
	s_addc_u32 s3, s27, s3
	v_lshlrev_b32_e32 v4, 1, v60
	v_and_b32_e32 v5, 15, v60
	s_abs_i32 s55, s53
	v_lshl_add_u32 v0, v0, 2, 0
	v_and_or_b32 v61, v4, s7, v5
	v_cvt_f32_u32_e32 v4, s55
	v_accvgpr_write_b32 a84, v0
	v_lshrrev_b32_e32 v0, 1, v60
	v_accvgpr_write_b32 a85, v0
	v_mad_u32_u24 v0, v61, s6, v232
	v_lshl_add_u32 v0, v0, 2, 0
	v_readlane_b32 s50, v255, 2
	v_accvgpr_write_b32 a86, v0
	v_mul_u32_u24_e32 v0, 0x210, v61
	v_mov_b32_e32 v6, s3
	v_add_u32_e32 v62, 30, v148
	v_rcp_iflag_f32_e32 v4, v4
	s_abs_i32 s84, s50
	v_accvgpr_write_b32 a87, v0
	v_mad_u32_u24 v0, v61, s6, v66
	v_addc_co_u32_e32 v9, vcc, 0, v6, vcc
	v_lshlrev_b32_e32 v5, 1, v62
	v_and_b32_e32 v6, 15, v62
	v_cvt_f32_u32_e32 v7, s84
	v_lshl_add_u32 v0, v0, 2, 0
	v_and_or_b32 v63, v5, s7, v6
	v_accvgpr_write_b32 a88, v0
	v_lshrrev_b32_e32 v0, 1, v62
	v_readlane_b32 s49, v255, 1
	v_accvgpr_write_b32 a89, v0
	v_mad_u32_u24 v0, v63, s6, v66
	v_mul_f32_e32 v4, 0x4f7ffffe, v4
	s_abs_i32 s85, s49
	s_abs_i32 s86, s10
	v_mul_lo_u32 v20, s30, v238
	v_lshl_add_u32 v0, v0, 2, 0
	v_cvt_u32_f32_e32 v4, v4
	v_rcp_iflag_f32_e32 v5, v7
	v_cvt_f32_u32_e32 v6, s85
	v_cvt_f32_u32_e32 v7, s86
	v_mov_b32_e32 v64, s19
	v_ashrrev_i32_e32 v21, 31, v20
	v_accvgpr_write_b32 a92, v0
	v_add_co_u32_e32 v0, vcc, s18, v2
	v_add_u32_e32 v22, s0, v20
	v_accvgpr_write_b32 a93, v0
	v_addc_co_u32_e32 v0, vcc, 0, v64, vcc
	v_lshlrev_b64 v[36:37], 2, v[20:21]
	v_lshlrev_b32_e32 v183, 2, v2
	v_ashrrev_i32_e32 v23, 31, v22
	v_accvgpr_write_b32 a94, v0
	v_mov_b32_e32 v0, s17
	v_add_co_u32_e32 v2, vcc, s16, v36
	v_add_u32_e32 v24, s0, v22
	v_addc_co_u32_e32 v0, vcc, v0, v37, vcc
	v_lshlrev_b64 v[38:39], 2, v[22:23]
	v_readfirstlane_b32 s8, v4
	v_rcp_iflag_f32_e32 v4, v6
	v_rcp_iflag_f32_e32 v6, v7
	v_ashrrev_i32_e32 v25, 31, v24
	v_accvgpr_write_b32 a95, v2
	v_accvgpr_write_b32 a96, v0
	v_mov_b32_e32 v0, s17
	v_add_co_u32_e32 v2, vcc, s16, v38
	v_add_u32_e32 v26, s0, v24
	v_addc_co_u32_e32 v0, vcc, v0, v39, vcc
	v_lshlrev_b64 v[40:41], 2, v[24:25]
	v_ashrrev_i32_e32 v27, 31, v26
	v_accvgpr_write_b32 a97, v2
	v_accvgpr_write_b32 a98, v0
	v_mov_b32_e32 v0, s17
	v_add_co_u32_e32 v2, vcc, s16, v40
	v_add_u32_e32 v28, s0, v26
	v_addc_co_u32_e32 v0, vcc, v0, v41, vcc
	v_lshlrev_b64 v[42:43], 2, v[26:27]
	v_mul_f32_e32 v4, 0x4f7ffffe, v4
	v_mul_f32_e32 v6, 0x4f7ffffe, v6
	v_ashrrev_i32_e32 v29, 31, v28
	v_accvgpr_write_b32 a99, v2
	v_accvgpr_write_b32 a100, v0
	v_mov_b32_e32 v0, s17
	v_add_co_u32_e32 v2, vcc, s16, v42
	v_cvt_u32_f32_e32 v4, v4
	v_cvt_u32_f32_e32 v6, v6
	v_add_u32_e32 v30, s0, v28
	v_addc_co_u32_e32 v0, vcc, v0, v43, vcc
	v_lshlrev_b64 v[44:45], 2, v[28:29]
	s_mov_b32 s2, s10
	v_ashrrev_i32_e32 v31, 31, v30
	v_accvgpr_write_b32 a101, v2
	v_accvgpr_write_b32 a102, v0
	v_mov_b32_e32 v0, s17
	v_add_co_u32_e32 v2, vcc, s16, v44
	v_writelane_b32 v255, s2, 12
	v_mul_f32_e32 v5, 0x4f7ffffe, v5
	v_add_u32_e32 v32, s0, v30
	v_addc_co_u32_e32 v0, vcc, v0, v45, vcc
	v_lshlrev_b64 v[46:47], 2, v[30:31]
	v_writelane_b32 v255, s3, 13
	v_cvt_u32_f32_e32 v5, v5
	s_sub_i32 s2, 0, s86
	v_ashrrev_i32_e32 v33, 31, v32
	v_accvgpr_write_b32 a103, v2
	v_accvgpr_write_b32 a104, v0
	v_mov_b32_e32 v0, s17
	v_add_co_u32_e32 v2, vcc, s16, v46
	v_readfirstlane_b32 s9, v4
	v_mul_lo_u32 v4, s2, v6
	v_add_u32_e32 v34, s0, v32
	v_addc_co_u32_e32 v0, vcc, v0, v47, vcc
	v_lshlrev_b64 v[48:49], 2, v[32:33]
	v_mul_hi_u32 v4, v6, v4
	v_ashrrev_i32_e32 v35, 31, v34
	v_accvgpr_write_b32 a105, v2
	v_accvgpr_write_b32 a106, v0
	v_mov_b32_e32 v0, s17
	v_add_co_u32_e32 v2, vcc, s16, v48
	v_add_u32_e32 v210, v6, v4
	v_mul_lo_u32 v4, s34, v238
	v_addc_co_u32_e32 v0, vcc, v0, v49, vcc
	v_lshlrev_b64 v[50:51], 2, v[34:35]
	v_readfirstlane_b32 s10, v5
	v_ashrrev_i32_e32 v5, 31, v4
	v_accvgpr_write_b32 a107, v2
	v_accvgpr_write_b32 a108, v0
	v_mov_b32_e32 v0, s17
	v_add_co_u32_e32 v2, vcc, s16, v50
	v_add_u32_e32 v6, s1, v4
	v_addc_co_u32_e32 v0, vcc, v0, v51, vcc
	v_lshlrev_b64 v[52:53], 2, v[4:5]
	v_accvgpr_write_b32 a23, v9
	v_ashrrev_i32_e32 v7, 31, v6
	v_accvgpr_write_b32 a109, v2
	v_accvgpr_write_b32 a110, v0
	v_mov_b32_e32 v0, s15
	v_add_co_u32_e32 v2, vcc, s14, v52
	v_accvgpr_write_b32 a22, v8
	v_add_u32_e32 v8, s1, v6
	v_addc_co_u32_e32 v0, vcc, v0, v53, vcc
	v_lshlrev_b64 v[54:55], 2, v[6:7]
	v_ashrrev_i32_e32 v9, 31, v8
	v_cmp_gt_u32_e64 s[62:63], 32, v232
	v_accvgpr_write_b32 a111, v2
	v_accvgpr_write_b32 a112, v0
	v_mov_b32_e32 v0, s15
	v_add_co_u32_e32 v2, vcc, s14, v54
	v_add_u32_e32 v10, s1, v8
	v_writelane_b32 v255, s62, 14
	v_mul_u32_u24_e32 v3, 0x210, v63
	v_addc_co_u32_e32 v0, vcc, v0, v55, vcc
	v_lshlrev_b64 v[56:57], 2, v[8:9]
	v_ashrrev_i32_e32 v11, 31, v10
	v_writelane_b32 v255, s63, 15
	v_accvgpr_write_b32 a90, v3
	v_mad_u32_u24 v3, v63, s6, v232
	s_ashr_i32 s6, s53, 31
	v_accvgpr_write_b32 a113, v2
	v_accvgpr_write_b32 a114, v0
	v_mov_b32_e32 v0, s15
	v_add_co_u32_e32 v2, vcc, s14, v56
	v_add_u32_e32 v12, s1, v10
	v_writelane_b32 v255, s6, 16
	s_sub_i32 s6, 0, s55
	v_addc_co_u32_e32 v0, vcc, v0, v57, vcc
	v_lshlrev_b64 v[58:59], 2, v[10:11]
	v_ashrrev_i32_e32 v13, 31, v12
	s_mul_i32 s6, s6, s8
	v_accvgpr_write_b32 a115, v2
	v_accvgpr_write_b32 a116, v0
	v_mov_b32_e32 v0, s15
	v_add_co_u32_e32 v2, vcc, s14, v58
	v_add_u32_e32 v14, s1, v12
	s_mul_hi_u32 s6, s8, s6
	v_addc_co_u32_e32 v0, vcc, v0, v59, vcc
	v_lshlrev_b64 v[60:61], 2, v[12:13]
	v_ashrrev_i32_e32 v15, 31, v14
	s_add_i32 s6, s8, s6
	v_accvgpr_write_b32 a117, v2
	v_accvgpr_write_b32 a118, v0
	v_mov_b32_e32 v0, s15
	v_add_co_u32_e32 v2, vcc, s14, v60
	v_add_u32_e32 v16, s1, v14
	v_writelane_b32 v255, s6, 17
	s_ashr_i32 s6, s50, 31
	v_addc_co_u32_e32 v0, vcc, v0, v61, vcc
	v_lshlrev_b64 v[62:63], 2, v[14:15]
	v_ashrrev_i32_e32 v17, 31, v16
	v_writelane_b32 v255, s6, 18
	s_sub_i32 s6, 0, s84
	v_accvgpr_write_b32 a119, v2
	v_accvgpr_write_b32 a120, v0
	v_mov_b32_e32 v0, s15
	v_add_co_u32_e32 v2, vcc, s14, v62
	v_add_u32_e32 v18, s1, v16
	s_mul_i32 s6, s6, s10
	v_addc_co_u32_e32 v0, vcc, v0, v63, vcc
	v_lshlrev_b64 v[64:65], 2, v[16:17]
	v_ashrrev_i32_e32 v19, 31, v18
	s_mul_hi_u32 s6, s10, s6
	v_accvgpr_write_b32 a121, v2
	v_accvgpr_write_b32 a122, v0
	v_mov_b32_e32 v0, s15
	v_add_co_u32_e32 v2, vcc, s14, v64
	v_accvgpr_write_b32 a31, v67
	s_add_i32 s6, s10, s6
	v_addc_co_u32_e32 v0, vcc, v0, v65, vcc
	v_lshlrev_b64 v[66:67], 2, v[18:19]
	v_writelane_b32 v255, s6, 19
	s_sub_i32 s6, 0, s85
	v_accvgpr_write_b32 a123, v2
	v_accvgpr_write_b32 a124, v0
	v_mov_b32_e32 v0, s15
	v_add_co_u32_e32 v2, vcc, s14, v66
	s_mul_i32 s6, s6, s9
	v_addc_co_u32_e32 v0, vcc, v0, v67, vcc
	v_lshl_add_u32 v3, v3, 2, 0
	s_mul_hi_u32 s6, s9, s6
	v_accvgpr_write_b32 a126, v0
	v_lshlrev_b32_e32 v0, 1, v232
	v_accvgpr_write_b32 a91, v3
	s_add_i32 s94, s9, s6
	s_lshl_b64 s[6:7], s[42:43], 1
	v_accvgpr_write_b32 a125, v2
	v_and_b32_e32 v128, 62, v0
	v_add_u32_e32 v0, 0x4200, v153
	v_add_u32_e32 v3, 0x4200, v157
	v_mov_b32_e32 v2, v111
	v_writelane_b32 v255, s6, 20
	v_mul_u32_u24_e32 v240, 0x90, v238
	v_lshl_add_u32 v243, v128, 1, 0
	v_add_u32_e32 v244, 0x4200, v159
	v_mov_b32_e32 v111, v0
	v_mov_b32_e32 v0, v3
	v_add_u32_e32 v245, 0x4200, v161
	v_add_u32_e32 v246, 0x4200, v163
	v_add_u32_e32 v247, 0x4200, v165
	v_mul_lo_u32 v249, v149, s60
	v_lshrrev_b32_e32 v251, 1, v75
	v_add_u32_e32 v253, 0x840, v206
	v_lshrrev_b32_e32 v254, 1, v74
	v_lshrrev_b32_e32 v130, 1, v73
	;; [unrolled: 1-line block ×3, first 2 shown]
	v_accvgpr_write_b32 a14, v70
	v_lshrrev_b32_e32 v139, 1, v70
	v_lshrrev_b32_e32 v140, 1, v69
	;; [unrolled: 1-line block ×4, first 2 shown]
	v_lshlrev_b32_e32 v70, 4, v1
	v_mbcnt_lo_u32_b32 v1, -1, 0
	v_and_b32_e32 v4, 1, v232
	v_bfe_u32 v144, v2, 1, 1
	v_accvgpr_write_b32 a8, v112
	s_movk_i32 s88, 0x80
	v_cmp_eq_u32_e64 s[0:1], 0, v149
	v_cmp_eq_u32_e64 s[2:3], 1, v149
	v_cmp_gt_u32_e64 s[4:5], 16, v232
	s_ashr_i32 s93, s49, 31
	v_writelane_b32 v255, s7, 21
	s_lshl_b64 s[66:67], s[30:31], 8
	s_lshl_b64 s[68:69], s[34:35], 8
	s_mov_b32 s43, 0x3fb8aa3b
	s_mov_b32 s65, 0xc2ce8ed0
	;; [unrolled: 1-line block ×5, first 2 shown]
	v_mov_b32_e32 v239, 0
	v_add_u32_e32 v200, 8, v238
	v_add_u32_e32 v217, 0x1080, v131
	;; [unrolled: 1-line block ×33, first 2 shown]
	s_mov_b32 s50, s60
	v_accvgpr_write_b32 a18, v75
	v_accvgpr_write_b32 a17, v74
	;; [unrolled: 1-line block ×8, first 2 shown]
	v_mbcnt_hi_u32_b32 v142, -1, v1
	v_mov_b32_e32 v242, 0x7f800000
	v_accvgpr_write_b32 a154, v4
	v_accvgpr_write_b32 a7, v2
	v_accvgpr_write_b32 a25, v233
	v_accvgpr_write_b32 a29, v237
	v_accvgpr_write_b32 a128, v128
	v_accvgpr_write_b32 a127, v240
	v_accvgpr_write_b32 a130, v243
	v_accvgpr_write_b32 a131, v244
	v_accvgpr_write_b32 a134, v245
	v_accvgpr_write_b32 a135, v246
	v_accvgpr_write_b32 a138, v247
	v_accvgpr_write_b32 a139, v249
	v_accvgpr_write_b32 a142, v251
	v_accvgpr_write_b32 a143, v253
	v_accvgpr_write_b32 a144, v254
	v_accvgpr_write_b32 a145, v130
	v_accvgpr_write_b32 a146, v138
	v_accvgpr_write_b32 a147, v139
	v_accvgpr_write_b32 a148, v140
	v_accvgpr_write_b32 a149, v141
	v_accvgpr_write_b32 a156, v144
	s_branch .LBB29_14
.LBB29_12:                              ;   in Loop: Header=BB29_14 Depth=1
	s_or_b64 exec, exec, s[70:71]
	s_barrier
.LBB29_13:                              ;   in Loop: Header=BB29_14 Depth=1
	s_add_i32 s6, s52, s83
	s_abs_i32 s8, s6
	s_mul_hi_u32 s9, s8, s48
	s_mul_i32 s9, s9, s57
	s_sub_i32 s8, s8, s9
	s_ashr_i32 s7, s6, 31
	s_sub_i32 s9, s8, s57
	s_cmp_ge_u32 s8, s57
	s_cselect_b32 s8, s9, s8
	s_sub_i32 s9, s8, s57
	s_cmp_ge_u32 s8, s57
	s_cselect_b32 s8, s9, s8
	s_xor_b32 s8, s8, s7
	s_sub_i32 s7, s7, s8
	s_add_i32 s52, s6, s7
	s_sub_i32 s6, s56, s52
	s_min_i32 s80, s83, s6
	s_cmp_gt_i32 s56, s52
	s_cselect_b64 s[8:9], -1, 0
	s_cmp_le_i32 s83, s6
	s_cselect_b64 s[6:7], -1, 0
	s_and_b64 s[6:7], s[6:7], s[8:9]
	s_mov_b32 s74, 0
	s_and_b64 vcc, exec, s[6:7]
	s_cbranch_vccz .LBB29_275
.LBB29_14:                              ; =>This Loop Header: Depth=1
                                        ;     Child Loop BB29_185 Depth 2
                                        ;     Child Loop BB29_55 Depth 2
	s_ashr_i32 s6, s52, 31
	v_readlane_b32 s7, v255, 16
	s_xor_b32 s6, s6, s7
	s_abs_i32 s7, s52
	v_readlane_b32 s8, v255, 17
	s_mul_hi_u32 s8, s7, s8
	s_mul_i32 s9, s8, s55
	s_sub_i32 s7, s7, s9
	s_add_i32 s9, s8, 1
	s_sub_i32 s10, s7, s55
	s_cmp_ge_u32 s7, s55
	s_cselect_b32 s8, s9, s8
	s_cselect_b32 s7, s10, s7
	s_add_i32 s9, s8, 1
	s_cmp_ge_u32 s7, s55
	s_cselect_b32 s7, s9, s8
	s_xor_b32 s7, s7, s6
	s_sub_i32 s7, s7, s6
	v_readlane_b32 s6, v255, 3
	s_mul_i32 s6, s7, s6
	s_sub_i32 s6, s52, s6
	s_ashr_i32 s8, s6, 31
	v_readlane_b32 s9, v255, 18
	s_xor_b32 s8, s8, s9
	s_abs_i32 s9, s6
	v_readlane_b32 s10, v255, 19
	s_mul_hi_u32 s10, s9, s10
	s_mul_i32 s11, s10, s84
	s_sub_i32 s9, s9, s11
	s_add_i32 s11, s10, 1
	s_sub_i32 s49, s9, s84
	s_cmp_ge_u32 s9, s84
	s_cselect_b32 s10, s11, s10
	s_cselect_b32 s9, s49, s9
	s_add_i32 s11, s10, 1
	s_cmp_ge_u32 s9, s84
	s_cselect_b32 s9, s11, s10
	s_xor_b32 s9, s9, s8
	s_sub_i32 s8, s9, s8
	v_readlane_b32 s9, v255, 2
	s_mul_i32 s9, s8, s9
	s_sub_i32 s9, s6, s9
	s_abs_i32 s10, s9
	s_mul_hi_u32 s11, s10, s94
	s_mul_i32 s49, s11, s85
	s_ashr_i32 s6, s9, 31
	s_sub_i32 s10, s10, s49
	s_xor_b32 s6, s6, s93
	s_add_i32 s49, s11, 1
	s_sub_i32 s58, s10, s85
	s_cmp_ge_u32 s10, s85
	s_cselect_b32 s11, s49, s11
	s_cselect_b32 s10, s58, s10
	s_add_i32 s49, s11, 1
	s_cmp_ge_u32 s10, s85
	s_cselect_b32 s10, s49, s11
	s_xor_b32 s10, s10, s6
	s_sub_i32 s6, s10, s6
	v_readlane_b32 s10, v255, 1
	s_mul_i32 s10, s6, s10
	s_sub_i32 s9, s9, s10
	s_ashr_i32 s10, s9, 31
	s_abs_i32 s9, s9
	s_mul_hi_u32 s11, s9, s48
	s_mul_i32 s49, s11, s57
	s_sub_i32 s9, s9, s49
	s_xor_b32 s10, s10, s38
	s_add_i32 s49, s11, 1
	s_sub_i32 s58, s9, s57
	s_cmp_ge_u32 s9, s57
	s_cselect_b32 s11, s49, s11
	s_cselect_b32 s9, s58, s9
	s_add_i32 s49, s11, 1
	s_cmp_ge_u32 s9, s57
	s_cselect_b32 s9, s49, s11
	v_readlane_b32 s60, v255, 9
	s_xor_b32 s9, s9, s10
	v_readlane_b32 s61, v255, 10
	s_andn2_b64 vcc, exec, s[60:61]
	s_sub_i32 s91, s9, s10
	s_cbranch_vccnz .LBB29_16
; %bb.15:                               ;   in Loop: Header=BB29_14 Depth=1
	v_readlane_b32 s9, v255, 0
	s_mul_i32 s9, s7, s9
	s_add_i32 s10, s91, s9
	s_ashr_i32 s11, s10, 31
	s_lshl_b64 s[10:11], s[10:11], 2
	s_add_u32 s10, s22, s10
	s_addc_u32 s11, s23, s11
	global_load_dword v1, v239, s[10:11]
	s_waitcnt vmcnt(0)
	v_readfirstlane_b32 s9, v1
	s_ashr_i32 s10, s9, 31
	s_lshr_b32 s10, s10, 26
	s_add_i32 s9, s9, s10
	s_ashr_i32 s9, s9, 6
	s_min_i32 s80, s80, s9
.LBB29_16:                              ;   in Loop: Header=BB29_14 Depth=1
	v_readlane_b32 s10, v255, 4
	v_readlane_b32 s11, v255, 5
	s_mul_i32 s9, s8, s78
	s_lshl_b32 s64, s6, 1
	s_mul_i32 s6, s7, s11
	s_add_i32 s70, s64, s9
	s_ashr_i32 s9, s6, 31
	s_add_u32 s6, s12, s6
	s_mul_i32 s10, s70, s10
	s_addc_u32 s9, s13, s9
	s_ashr_i32 s11, s10, 31
	s_add_u32 s90, s6, s10
	s_addc_u32 s89, s9, s11
	s_ashr_i32 s9, s7, 31
	s_mul_i32 s6, s7, s37
	s_mul_hi_u32 s10, s7, s36
	s_add_i32 s6, s10, s6
	s_mul_i32 s10, s9, s36
	s_add_i32 s81, s6, s10
	s_mul_i32 s82, s7, s36
	s_add_u32 s6, s14, s82
	s_mul_i32 s79, s8, s51
	s_addc_u32 s11, s15, s81
	s_ashr_i32 s60, s79, 31
	s_add_u32 s10, s6, s79
	s_addc_u32 s11, s11, s60
	s_abs_i32 s6, s7
	v_mul_hi_u32 v1, s6, v210
	v_mul_lo_u32 v1, v1, s86
	v_sub_u32_e32 v1, s6, v1
	s_mul_i32 s6, s28, s29
	v_subrev_u32_e32 v2, s86, v1
	v_cmp_le_u32_e32 vcc, s86, v1
	s_mul_i32 s6, s6, s7
	v_cndmask_b32_e32 v1, v1, v2, vcc
	s_add_i32 s6, s70, s6
	v_subrev_u32_e32 v2, s86, v1
	v_cmp_le_u32_e32 vcc, s86, v1
	s_lshl_b32 s58, s6, 7
	v_cndmask_b32_e32 v1, v1, v2, vcc
	s_lshl_b64 s[62:63], s[58:59], 3
	v_xor_b32_e32 v1, s9, v1
	s_add_u32 s6, s24, s62
	s_mul_i32 s49, s7, s45
	s_mul_hi_u32 s58, s7, s44
	v_subrev_u32_e32 v1, s9, v1
	s_addc_u32 s87, s25, s63
	s_add_i32 s49, s58, s49
	s_mul_i32 s9, s9, s44
	s_add_i32 s58, s49, s9
	s_mul_i32 s61, s7, s44
	s_add_u32 s7, s16, s61
	s_mul_i32 s62, s8, s39
	s_addc_u32 s9, s17, s58
	s_ashr_i32 s63, s62, 31
	s_add_u32 s49, s7, s62
	s_addc_u32 s7, s9, s63
	s_ashr_i32 s71, s70, 31
	s_lshl_b64 s[8:9], s[70:71], 2
	v_ashrrev_i32_e32 v2, 31, v1
	v_mul_lo_u32 v3, v1, s47
	v_mul_hi_u32 v4, v1, s46
	s_add_u32 s70, s20, s8
	v_add_u32_e32 v3, v4, v3
	v_mul_lo_u32 v2, v2, s46
	v_mul_lo_u32 v76, v1, s46
	s_addc_u32 s71, s21, s9
	v_readlane_b32 s8, v255, 7
	v_add_u32_e32 v77, v3, v2
	v_mov_b32_e32 v1, s19
	v_add_co_u32_e32 v145, vcc, s18, v76
	v_readlane_b32 s9, v255, 8
	v_addc_co_u32_e32 v143, vcc, v1, v77, vcc
	s_and_b64 s[8:9], s[8:9], exec
	v_or_b32_e32 v71, s64, v149
	s_cselect_b32 s71, 0, s71
	s_cselect_b32 s70, 0, s70
	s_cmp_lg_u32 s74, 0
	v_cmp_gt_i32_e32 vcc, s78, v71
	s_cbranch_scc0 .LBB29_51
; %bb.17:                               ;   in Loop: Header=BB29_14 Depth=1
	s_lshl_b32 s92, s91, 4
	v_add_u32_e32 v1, s92, v148
	v_cmp_le_i32_e64 s[8:9], s28, v1
	s_xor_b64 s[72:73], vcc, -1
	s_or_b64 s[8:9], s[8:9], s[72:73]
	s_and_saveexec_b64 s[76:77], s[8:9]
	s_xor_b64 s[8:9], exec, s[76:77]
	s_cbranch_execz .LBB29_19
; %bb.18:                               ;   in Loop: Header=BB29_14 Depth=1
	ds_write2st64_b32 v206, v239, v239 offset1:1
                                        ; implicit-def: $vgpr1
.LBB29_19:                              ;   in Loop: Header=BB29_14 Depth=1
	s_andn2_saveexec_b64 s[8:9], s[8:9]
	s_cbranch_execz .LBB29_21
; %bb.20:                               ;   in Loop: Header=BB29_14 Depth=1
	v_mul_lo_u32 v1, v1, s33
	v_add3_u32 v2, v1, v249, v232
	v_ashrrev_i32_e32 v3, 31, v2
	v_lshlrev_b64 v[2:3], 3, v[2:3]
	v_add_co_u32_e32 v2, vcc, s90, v2
	v_mov_b32_e32 v1, s89
	v_addc_co_u32_e32 v3, vcc, v1, v3, vcc
	global_load_dwordx2 v[4:5], v[2:3], off
	s_waitcnt vmcnt(0)
	v_cvt_f16_f32_e32 v1, v4
	global_load_dwordx2 v[2:3], v[2:3], off offset:512
	v_cvt_f16_f32_e32 v4, v5
	v_pack_b32_f16 v1, v1, v4
	v_pk_mul_f16 v1, v231, v1
	s_waitcnt vmcnt(0)
	v_cvt_f16_f32_e32 v2, v2
	v_cvt_f16_f32_e32 v3, v3
	v_pack_b32_f16 v2, v2, v3
	v_pk_mul_f16 v2, v231, v2
	ds_write2st64_b32 v206, v1, v2 offset1:1
.LBB29_21:                              ;   in Loop: Header=BB29_14 Depth=1
	s_or_b64 exec, exec, s[8:9]
	v_add_u32_e32 v1, s92, v251
	v_cmp_le_i32_e32 vcc, s28, v1
	s_or_b64 s[8:9], vcc, s[72:73]
	s_and_saveexec_b64 s[76:77], s[8:9]
	s_xor_b64 s[8:9], exec, s[76:77]
	s_cbranch_execz .LBB29_23
; %bb.22:                               ;   in Loop: Header=BB29_14 Depth=1
	ds_write2st64_b32 v253, v239, v239 offset1:1
                                        ; implicit-def: $vgpr1
.LBB29_23:                              ;   in Loop: Header=BB29_14 Depth=1
	s_andn2_saveexec_b64 s[8:9], s[8:9]
	s_cbranch_execz .LBB29_25
; %bb.24:                               ;   in Loop: Header=BB29_14 Depth=1
	v_mul_lo_u32 v1, v1, s33
	v_add3_u32 v2, v1, v249, v232
	v_ashrrev_i32_e32 v3, 31, v2
	v_lshlrev_b64 v[2:3], 3, v[2:3]
	v_add_co_u32_e32 v2, vcc, s90, v2
	v_mov_b32_e32 v1, s89
	v_addc_co_u32_e32 v3, vcc, v1, v3, vcc
	global_load_dwordx2 v[4:5], v[2:3], off
	s_waitcnt vmcnt(0)
	v_cvt_f16_f32_e32 v1, v4
	global_load_dwordx2 v[2:3], v[2:3], off offset:512
	v_cvt_f16_f32_e32 v4, v5
	v_pack_b32_f16 v1, v1, v4
	v_pk_mul_f16 v1, v231, v1
	s_waitcnt vmcnt(0)
	v_cvt_f16_f32_e32 v2, v2
	v_cvt_f16_f32_e32 v3, v3
	v_pack_b32_f16 v2, v2, v3
	v_pk_mul_f16 v2, v231, v2
	ds_write2st64_b32 v253, v1, v2 offset1:1
.LBB29_25:                              ;   in Loop: Header=BB29_14 Depth=1
	s_or_b64 exec, exec, s[8:9]
	v_add_u32_e32 v1, s92, v254
	v_cmp_le_i32_e32 vcc, s28, v1
	s_or_b64 s[8:9], vcc, s[72:73]
	s_and_saveexec_b64 s[76:77], s[8:9]
	s_xor_b64 s[8:9], exec, s[76:77]
	s_cbranch_execz .LBB29_27
; %bb.26:                               ;   in Loop: Header=BB29_14 Depth=1
	v_add_u32_e32 v1, 64, v253
	ds_write2st64_b32 v1, v239, v239 offset0:8 offset1:9
                                        ; implicit-def: $vgpr1
.LBB29_27:                              ;   in Loop: Header=BB29_14 Depth=1
	s_andn2_saveexec_b64 s[8:9], s[8:9]
	s_cbranch_execz .LBB29_29
; %bb.28:                               ;   in Loop: Header=BB29_14 Depth=1
	v_mul_lo_u32 v1, v1, s33
	v_add3_u32 v2, v1, v249, v232
	v_ashrrev_i32_e32 v3, 31, v2
	v_lshlrev_b64 v[2:3], 3, v[2:3]
	v_add_co_u32_e32 v2, vcc, s90, v2
	v_mov_b32_e32 v1, s89
	v_addc_co_u32_e32 v3, vcc, v1, v3, vcc
	global_load_dwordx2 v[4:5], v[2:3], off
	s_waitcnt vmcnt(0)
	v_cvt_f16_f32_e32 v1, v4
	global_load_dwordx2 v[2:3], v[2:3], off offset:512
	v_cvt_f16_f32_e32 v4, v5
	v_pack_b32_f16 v1, v1, v4
	v_pk_mul_f16 v1, v231, v1
	s_waitcnt vmcnt(0)
	v_cvt_f16_f32_e32 v2, v2
	v_cvt_f16_f32_e32 v3, v3
	v_pack_b32_f16 v2, v2, v3
	v_pk_mul_f16 v2, v231, v2
	v_add_u32_e32 v3, 64, v253
	ds_write2st64_b32 v3, v1, v2 offset0:8 offset1:9
.LBB29_29:                              ;   in Loop: Header=BB29_14 Depth=1
	s_or_b64 exec, exec, s[8:9]
	v_add_u32_e32 v1, s92, v130
	v_cmp_le_i32_e32 vcc, s28, v1
	s_or_b64 s[8:9], vcc, s[72:73]
	s_and_saveexec_b64 s[76:77], s[8:9]
	s_xor_b64 s[8:9], exec, s[76:77]
	s_cbranch_execz .LBB29_31
; %bb.30:                               ;   in Loop: Header=BB29_14 Depth=1
	v_add_u32_e32 v1, 0x80, v253
	ds_write2st64_b32 v1, v239, v239 offset0:16 offset1:17
                                        ; implicit-def: $vgpr1
.LBB29_31:                              ;   in Loop: Header=BB29_14 Depth=1
	s_andn2_saveexec_b64 s[8:9], s[8:9]
	s_cbranch_execz .LBB29_33
; %bb.32:                               ;   in Loop: Header=BB29_14 Depth=1
	v_mul_lo_u32 v1, v1, s33
	v_add3_u32 v2, v1, v249, v232
	v_ashrrev_i32_e32 v3, 31, v2
	v_lshlrev_b64 v[2:3], 3, v[2:3]
	v_add_co_u32_e32 v2, vcc, s90, v2
	v_mov_b32_e32 v1, s89
	v_addc_co_u32_e32 v3, vcc, v1, v3, vcc
	global_load_dwordx2 v[4:5], v[2:3], off
	s_waitcnt vmcnt(0)
	v_cvt_f16_f32_e32 v1, v4
	global_load_dwordx2 v[2:3], v[2:3], off offset:512
	v_cvt_f16_f32_e32 v4, v5
	v_pack_b32_f16 v1, v1, v4
	v_pk_mul_f16 v1, v231, v1
	s_waitcnt vmcnt(0)
	v_cvt_f16_f32_e32 v2, v2
	v_cvt_f16_f32_e32 v3, v3
	v_pack_b32_f16 v2, v2, v3
	v_pk_mul_f16 v2, v231, v2
	v_add_u32_e32 v3, 0x80, v253
	ds_write2st64_b32 v3, v1, v2 offset0:16 offset1:17
.LBB29_33:                              ;   in Loop: Header=BB29_14 Depth=1
	;; [unrolled: 37-line block ×3, first 2 shown]
	s_or_b64 exec, exec, s[8:9]
	v_add_u32_e32 v1, s92, v139
	v_cmp_le_i32_e32 vcc, s28, v1
	s_or_b64 s[8:9], vcc, s[72:73]
	s_and_saveexec_b64 s[76:77], s[8:9]
	s_xor_b64 s[8:9], exec, s[76:77]
	s_cbranch_execz .LBB29_39
; %bb.38:                               ;   in Loop: Header=BB29_14 Depth=1
	ds_write2st64_b32 v253, v239, v239 offset0:33 offset1:34
                                        ; implicit-def: $vgpr1
.LBB29_39:                              ;   in Loop: Header=BB29_14 Depth=1
	s_andn2_saveexec_b64 s[8:9], s[8:9]
	s_cbranch_execz .LBB29_41
; %bb.40:                               ;   in Loop: Header=BB29_14 Depth=1
	v_mul_lo_u32 v1, v1, s33
	v_add3_u32 v2, v1, v249, v232
	v_ashrrev_i32_e32 v3, 31, v2
	v_lshlrev_b64 v[2:3], 3, v[2:3]
	v_add_co_u32_e32 v2, vcc, s90, v2
	v_mov_b32_e32 v1, s89
	v_addc_co_u32_e32 v3, vcc, v1, v3, vcc
	global_load_dwordx2 v[4:5], v[2:3], off
	s_waitcnt vmcnt(0)
	v_cvt_f16_f32_e32 v1, v4
	global_load_dwordx2 v[2:3], v[2:3], off offset:512
	v_cvt_f16_f32_e32 v4, v5
	v_pack_b32_f16 v1, v1, v4
	v_pk_mul_f16 v1, v231, v1
	s_waitcnt vmcnt(0)
	v_cvt_f16_f32_e32 v2, v2
	v_cvt_f16_f32_e32 v3, v3
	v_pack_b32_f16 v2, v2, v3
	v_pk_mul_f16 v2, v231, v2
	ds_write2st64_b32 v253, v1, v2 offset0:33 offset1:34
.LBB29_41:                              ;   in Loop: Header=BB29_14 Depth=1
	s_or_b64 exec, exec, s[8:9]
	v_add_u32_e32 v1, s92, v140
	v_cmp_le_i32_e32 vcc, s28, v1
	s_or_b64 s[8:9], vcc, s[72:73]
	s_and_saveexec_b64 s[76:77], s[8:9]
	s_xor_b64 s[8:9], exec, s[76:77]
	s_cbranch_execz .LBB29_43
; %bb.42:                               ;   in Loop: Header=BB29_14 Depth=1
	v_add_u32_e32 v1, 64, v253
	ds_write2st64_b32 v1, v239, v239 offset0:41 offset1:42
                                        ; implicit-def: $vgpr1
.LBB29_43:                              ;   in Loop: Header=BB29_14 Depth=1
	s_andn2_saveexec_b64 s[8:9], s[8:9]
	s_cbranch_execz .LBB29_45
; %bb.44:                               ;   in Loop: Header=BB29_14 Depth=1
	v_mul_lo_u32 v1, v1, s33
	v_add3_u32 v2, v1, v249, v232
	v_ashrrev_i32_e32 v3, 31, v2
	v_lshlrev_b64 v[2:3], 3, v[2:3]
	v_add_co_u32_e32 v2, vcc, s90, v2
	v_mov_b32_e32 v1, s89
	v_addc_co_u32_e32 v3, vcc, v1, v3, vcc
	global_load_dwordx2 v[4:5], v[2:3], off
	s_waitcnt vmcnt(0)
	v_cvt_f16_f32_e32 v1, v4
	global_load_dwordx2 v[2:3], v[2:3], off offset:512
	v_cvt_f16_f32_e32 v4, v5
	v_pack_b32_f16 v1, v1, v4
	v_pk_mul_f16 v1, v231, v1
	s_waitcnt vmcnt(0)
	v_cvt_f16_f32_e32 v2, v2
	v_cvt_f16_f32_e32 v3, v3
	v_pack_b32_f16 v2, v2, v3
	v_pk_mul_f16 v2, v231, v2
	v_add_u32_e32 v3, 64, v253
	ds_write2st64_b32 v3, v1, v2 offset0:41 offset1:42
.LBB29_45:                              ;   in Loop: Header=BB29_14 Depth=1
	s_or_b64 exec, exec, s[8:9]
	v_add_u32_e32 v1, s92, v141
	v_cmp_le_i32_e32 vcc, s28, v1
	s_or_b64 s[8:9], vcc, s[72:73]
	s_and_saveexec_b64 s[72:73], s[8:9]
	s_xor_b64 s[8:9], exec, s[72:73]
	s_cbranch_execz .LBB29_47
; %bb.46:                               ;   in Loop: Header=BB29_14 Depth=1
	v_add_u32_e32 v1, 0x80, v253
	ds_write2st64_b32 v1, v239, v239 offset0:49 offset1:50
                                        ; implicit-def: $vgpr1
.LBB29_47:                              ;   in Loop: Header=BB29_14 Depth=1
	s_andn2_saveexec_b64 s[8:9], s[8:9]
	s_cbranch_execz .LBB29_49
; %bb.48:                               ;   in Loop: Header=BB29_14 Depth=1
	v_mul_lo_u32 v1, v1, s33
	v_add3_u32 v2, v1, v249, v232
	v_ashrrev_i32_e32 v3, 31, v2
	v_lshlrev_b64 v[2:3], 3, v[2:3]
	v_add_co_u32_e32 v2, vcc, s90, v2
	v_mov_b32_e32 v1, s89
	v_addc_co_u32_e32 v3, vcc, v1, v3, vcc
	global_load_dwordx2 v[4:5], v[2:3], off
	s_waitcnt vmcnt(0)
	v_cvt_f16_f32_e32 v1, v4
	global_load_dwordx2 v[2:3], v[2:3], off offset:512
	v_cvt_f16_f32_e32 v4, v5
	v_pack_b32_f16 v1, v1, v4
	v_pk_mul_f16 v1, v231, v1
	s_waitcnt vmcnt(0)
	v_cvt_f16_f32_e32 v2, v2
	v_cvt_f16_f32_e32 v3, v3
	v_pack_b32_f16 v2, v2, v3
	v_pk_mul_f16 v2, v231, v2
	v_add_u32_e32 v3, 0x80, v253
	ds_write2st64_b32 v3, v1, v2 offset0:49 offset1:50
.LBB29_49:                              ;   in Loop: Header=BB29_14 Depth=1
	s_or_b64 exec, exec, s[8:9]
	s_waitcnt lgkmcnt(0)
	s_barrier
	ds_read2_b64 v[30:33], v234 offset1:4
	ds_read2_b64 v[26:29], v234 offset0:8 offset1:12
	ds_read2_b64 v[22:25], v234 offset0:16 offset1:20
	;; [unrolled: 1-line block ×7, first 2 shown]
	s_add_i32 s75, s80, -1
	v_add_u32_e32 v87, s92, v238
	v_add_u32_e32 v68, s92, v200
	s_cmp_gt_i32 s75, s74
	v_mul_hi_u32 v104, s40, v87
	v_mul_hi_u32 v86, s40, v68
	s_waitcnt lgkmcnt(0)
	s_barrier
	s_cbranch_scc1 .LBB29_52
; %bb.50:                               ;   in Loop: Header=BB29_14 Depth=1
	v_add_u32_e32 v1, v87, v104
	v_lshrrev_b32_e32 v1, s41, v1
	v_mul_lo_u32 v1, v1, s28
	v_sub_u32_e32 v1, v87, v1
	v_mad_i64_i32 v[80:81], s[8:9], v1, s42, 0
	v_add_u32_e32 v1, v68, v86
	v_lshrrev_b32_e32 v1, s41, v1
	v_mul_lo_u32 v1, v1, s28
	v_sub_u32_e32 v1, v68, v1
	v_mad_i64_i32 v[82:83], s[8:9], v1, s42, 0
	v_and_b32_e32 v1, 64, v142
	s_mov_b32 s72, 0
	v_add_u32_e32 v1, 64, v1
	v_xor_b32_e32 v69, 32, v142
	v_xor_b32_e32 v73, 16, v142
	s_mov_b64 s[8:9], 0
	s_mov_b32 s73, 0xfeffffff
	s_branch .LBB29_53
.LBB29_51:                              ;   in Loop: Header=BB29_14 Depth=1
	s_cbranch_execz .LBB29_13
	s_branch .LBB29_148
.LBB29_52:                              ;   in Loop: Header=BB29_14 Depth=1
	s_mov_b64 s[8:9], -1
                                        ; implicit-def: $sgpr72
                                        ; implicit-def: $sgpr73
                                        ; implicit-def: $vgpr80_vgpr81
                                        ; implicit-def: $vgpr82_vgpr83
                                        ; implicit-def: $vgpr1
                                        ; implicit-def: $vgpr69
                                        ; implicit-def: $vgpr73
.LBB29_53:                              ;   in Loop: Header=BB29_14 Depth=1
	s_andn2_b64 vcc, exec, s[8:9]
	v_mov_b32_e32 v88, s72
	v_mov_b32_e32 v79, s72
	;; [unrolled: 1-line block ×35, first 2 shown]
	s_cbranch_vccnz .LBB29_57
; %bb.54:                               ;   in Loop: Header=BB29_14 Depth=1
	v_lshlrev_b32_e32 v1, 1, v128
	v_add_co_u32_e32 v102, vcc, v145, v1
	v_add_u32_e32 v1, v87, v104
	v_lshrrev_b32_e32 v1, s41, v1
	v_mul_lo_u32 v1, v1, s28
	v_sub_u32_e32 v1, v87, v1
	v_mad_i64_i32 v[80:81], s[8:9], v1, s42, 0
	v_add_u32_e32 v1, v68, v86
	v_lshrrev_b32_e32 v1, s41, v1
	v_mul_lo_u32 v1, v1, s28
	v_sub_u32_e32 v1, v68, v1
	v_mad_i64_i32 v[82:83], s[8:9], v1, s42, 0
	v_accvgpr_read_b32 v1, a151
	v_mbcnt_hi_u32_b32 v75, -1, v1
	v_and_b32_e32 v1, 64, v75
	v_addc_co_u32_e32 v103, vcc, 0, v143, vcc
	v_add_u32_e32 v1, 64, v1
	v_xor_b32_e32 v69, 32, v75
	v_cmp_lt_i32_e32 vcc, v69, v1
	v_xor_b32_e32 v73, 16, v75
	v_cndmask_b32_e32 v68, v75, v69, vcc
	v_cmp_lt_i32_e32 vcc, v73, v1
	v_lshlrev_b32_e32 v104, 2, v68
	v_cndmask_b32_e32 v68, v75, v73, vcc
	v_accvgpr_write_b32 a10, v142
	v_accvgpr_write_b32 a20, v145
	;; [unrolled: 1-line block ×3, first 2 shown]
	v_mov_b32_e32 v84, 0
	v_lshlrev_b32_e32 v105, 2, v68
	s_lshl_b32 s8, s74, 6
	v_mov_b32_e32 v79, 0
	v_mov_b32_e32 v78, 0xfeffffff
	;; [unrolled: 1-line block ×33, first 2 shown]
.LBB29_55:                              ;   Parent Loop BB29_14 Depth=1
                                        ; =>  This Inner Loop Header: Depth=2
	s_ashr_i32 s9, s8, 31
	s_lshl_b64 s[72:73], s[8:9], 1
	v_mov_b32_e32 v86, v78
	v_add_co_u32_e32 v87, vcc, s72, v102
	v_mov_b32_e32 v78, s73
	v_mov_b32_e32 v68, v79
	v_addc_co_u32_e32 v107, vcc, v103, v78, vcc
	v_lshlrev_b64 v[78:79], 1, v[80:81]
	v_add_co_u32_e32 v78, vcc, v87, v78
	v_addc_co_u32_e32 v79, vcc, v107, v79, vcc
	global_load_dword v78, v[78:79], off
	v_add_u32_e32 v128, v243, v240
	s_mul_hi_i32 s73, s8, s34
	s_mul_i32 s72, s8, s34
	s_lshl_b64 s[72:73], s[72:73], 2
	s_add_u32 s9, s10, s72
	s_addc_u32 s72, s11, s73
	s_mul_hi_i32 s73, s8, s30
	s_waitcnt vmcnt(0)
	ds_write_b32 v128, v78 offset:33792
	v_lshlrev_b64 v[78:79], 1, v[82:83]
	v_add_co_u32_e32 v78, vcc, v87, v78
	v_addc_co_u32_e32 v79, vcc, v107, v79, vcc
	global_load_dword v78, v[78:79], off
	v_mov_b32_e32 v79, s72
	v_add_u32_e32 v87, 0x4000, v132
	s_waitcnt vmcnt(0)
	ds_write_b32 v128, v78 offset:34944
	v_add_co_u32_e32 v78, vcc, s9, v52
	v_addc_co_u32_e32 v79, vcc, v79, v53, vcc
	v_add_co_u32_e32 v78, vcc, v78, v183
	v_addc_co_u32_e32 v79, vcc, 0, v79, vcc
	global_load_dwordx4 v[138:141], v[78:79], off
	v_add_co_u32_e32 v78, vcc, s9, v54
	v_mov_b32_e32 v79, s72
	v_addc_co_u32_e32 v79, vcc, v79, v55, vcc
	v_add_co_u32_e32 v78, vcc, v78, v183
	v_addc_co_u32_e32 v79, vcc, 0, v79, vcc
	s_waitcnt vmcnt(0)
	ds_write_b128 v131, v[138:141]
	global_load_dwordx4 v[138:141], v[78:79], off
	v_add_co_u32_e32 v78, vcc, s9, v56
	v_mov_b32_e32 v79, s72
	v_addc_co_u32_e32 v79, vcc, v79, v57, vcc
	v_add_co_u32_e32 v78, vcc, v78, v183
	v_addc_co_u32_e32 v79, vcc, 0, v79, vcc
	s_waitcnt vmcnt(0)
	ds_write_b128 v217, v[138:141]
	;; [unrolled: 8-line block ×6, first 2 shown]
	global_load_dwordx4 v[138:141], v[78:79], off
	v_add_co_u32_e32 v78, vcc, s9, v66
	v_mov_b32_e32 v79, s72
	v_addc_co_u32_e32 v79, vcc, v79, v67, vcc
	v_add_co_u32_e32 v78, vcc, v78, v183
	v_addc_co_u32_e32 v79, vcc, 0, v79, vcc
	s_mul_i32 s72, s8, s30
	s_lshl_b64 s[72:73], s[72:73], 2
	s_add_u32 s72, s49, s72
	s_addc_u32 s9, s7, s73
	s_add_i32 s74, s74, 1
	s_add_i32 s8, s8, 64
	s_cmp_lt_i32 s74, s75
	s_waitcnt vmcnt(0)
	ds_write_b128 v214, v[138:141]
	global_load_dwordx4 v[138:141], v[78:79], off
	s_waitcnt vmcnt(0)
	ds_write_b128 v207, v[138:141]
	s_waitcnt lgkmcnt(0)
	s_barrier
	ds_read2_b64 v[138:141], v132 offset1:4
	s_waitcnt lgkmcnt(0)
	v_mfma_f32_16x16x16f16 a[0:3], v[138:139], v[30:31], 0
	v_mfma_f32_16x16x16f16 a[0:3], v[140:141], v[32:33], a[0:3]
	ds_read2_b64 v[138:141], v132 offset0:8 offset1:12
	s_waitcnt lgkmcnt(0)
	v_mfma_f32_16x16x16f16 a[0:3], v[138:139], v[26:27], a[0:3]
	v_mfma_f32_16x16x16f16 a[0:3], v[140:141], v[28:29], a[0:3]
	ds_read2_b64 v[138:141], v132 offset0:16 offset1:20
	;; [unrolled: 4-line block ×8, first 2 shown]
	s_nop 7
	s_nop 1
	v_accvgpr_read_b32 v79, a3
	v_accvgpr_read_b32 v78, a2
	s_waitcnt lgkmcnt(0)
	v_mfma_f32_16x16x16f16 a[2:5], v[138:139], v[30:31], 0
	v_accvgpr_read_b32 v145, a1
	v_accvgpr_read_b32 v144, a0
	v_mfma_f32_16x16x16f16 a[2:5], v[140:141], v[32:33], a[2:5]
	ds_read2_b64 v[138:141], v87 offset0:72 offset1:76
	s_waitcnt lgkmcnt(0)
	v_mfma_f32_16x16x16f16 a[2:5], v[138:139], v[26:27], a[2:5]
	v_mfma_f32_16x16x16f16 a[2:5], v[140:141], v[28:29], a[2:5]
	ds_read2_b64 v[138:141], v87 offset0:80 offset1:84
	s_waitcnt lgkmcnt(0)
	v_mfma_f32_16x16x16f16 a[2:5], v[138:139], v[22:23], a[2:5]
	;; [unrolled: 4-line block ×6, first 2 shown]
	v_mfma_f32_16x16x16f16 a[2:5], v[140:141], v[8:9], a[2:5]
	ds_read2_b64 v[138:141], v87 offset0:120 offset1:124
	v_add_u32_e32 v87, 0x8400, v241
	s_waitcnt lgkmcnt(0)
	s_barrier
	v_mfma_f32_16x16x16f16 a[2:5], v[138:139], v[2:3], a[2:5]
	v_mfma_f32_16x16x16f16 a[2:5], v[140:141], v[4:5], a[2:5]
	ds_read2_b32 v[140:141], v87 offset1:1
	ds_read_b32 v87, v233 offset:33792
	ds_read_b32 v107, v204 offset:33792
	s_waitcnt lgkmcnt(2)
	v_cvt_f32_f16_e32 v142, v140
	v_cvt_f32_f16_sdwa v143, v140 dst_sel:DWORD dst_unused:UNUSED_PAD src0_sel:WORD_1
	v_cvt_f32_f16_e32 v140, v141
	v_cvt_f32_f16_sdwa v141, v141 dst_sel:DWORD dst_unused:UNUSED_PAD src0_sel:WORD_1
	v_pk_add_f32 v[142:143], v[144:145], v[142:143]
	s_waitcnt lgkmcnt(0)
	v_cvt_f32_f16_sdwa v145, v107 dst_sel:DWORD dst_unused:UNUSED_PAD src0_sel:WORD_1
	v_cvt_f32_f16_e32 v144, v107
	v_accvgpr_read_b32 v139, a5
	v_accvgpr_read_b32 v138, a4
	;; [unrolled: 1-line block ×3, first 2 shown]
	v_pk_add_f32 v[138:139], v[138:139], v[144:145]
	v_cvt_f32_f16_sdwa v145, v87 dst_sel:DWORD dst_unused:UNUSED_PAD src0_sel:WORD_1
	v_cvt_f32_f16_e32 v144, v87
	v_add_f32_e32 v128, 0x40051340, v142
	v_add_f32_e32 v130, 0x40051340, v143
	v_accvgpr_read_b32 v146, a2
	v_pk_add_f32 v[140:141], v[78:79], v[140:141]
	v_max3_f32 v128, v86, v128, v130
	v_pk_add_f32 v[144:145], v[146:147], v[144:145]
	v_add_f32_e32 v78, 0x40051340, v140
	v_add_f32_e32 v79, 0x40051340, v141
	;; [unrolled: 1-line block ×4, first 2 shown]
	v_max3_f32 v78, v128, v78, v79
	v_add_f32_e32 v107, 0x40051340, v138
	v_add_f32_e32 v130, 0x40051340, v139
	v_max3_f32 v78, v78, v87, v146
	v_max3_f32 v78, v78, v107, v130
	ds_bpermute_b32 v79, v104, v78
	s_waitcnt lgkmcnt(0)
	v_max_f32_e32 v79, v79, v79
	v_max_f32_e32 v78, v78, v79
	ds_bpermute_b32 v79, v105, v78
	s_waitcnt lgkmcnt(0)
	v_max_f32_e32 v79, v79, v79
	v_max_f32_e32 v78, v78, v79
	v_pk_add_f32 v[142:143], v[142:143], v[78:79] op_sel_hi:[1,0] neg_lo:[0,1] neg_hi:[0,1]
	v_mul_f32_e32 v79, 0x3fb8aa3b, v143
	v_fma_f32 v87, v143, s43, -v79
	v_rndne_f32_e32 v107, v79
	v_fmac_f32_e32 v87, 0x32a5705f, v143
	v_sub_f32_e32 v79, v79, v107
	v_add_f32_e32 v79, v79, v87
	v_exp_f32_e32 v79, v79
	v_cvt_i32_f32_e32 v87, v107
	v_cmp_ngt_f32_e32 vcc, s65, v143
	v_sub_f32_e32 v86, v86, v78
	v_ldexp_f32 v79, v79, v87
	v_cndmask_b32_e32 v79, 0, v79, vcc
	v_cmp_nlt_f32_e32 vcc, s95, v143
	v_cndmask_b32_e32 v87, v242, v79, vcc
	v_mul_f32_e32 v79, 0x3fb8aa3b, v142
	v_fma_f32 v107, v142, s43, -v79
	v_rndne_f32_e32 v128, v79
	v_fmac_f32_e32 v107, 0x32a5705f, v142
	v_sub_f32_e32 v79, v79, v128
	v_add_f32_e32 v79, v79, v107
	v_exp_f32_e32 v79, v79
	v_cvt_i32_f32_e32 v107, v128
	v_cmp_ngt_f32_e32 vcc, s65, v142
	v_ldexp_f32 v79, v79, v107
	v_cndmask_b32_e32 v79, 0, v79, vcc
	v_cmp_nlt_f32_e32 vcc, s95, v142
	v_pk_add_f32 v[140:141], v[140:141], v[78:79] op_sel_hi:[1,0] neg_lo:[0,1] neg_hi:[0,1]
	v_cndmask_b32_e32 v128, v242, v79, vcc
	v_mul_f32_e32 v79, 0x3fb8aa3b, v141
	v_fma_f32 v107, v141, s43, -v79
	v_rndne_f32_e32 v130, v79
	v_fmac_f32_e32 v107, 0x32a5705f, v141
	v_sub_f32_e32 v79, v79, v130
	v_add_f32_e32 v79, v79, v107
	v_exp_f32_e32 v79, v79
	v_cvt_i32_f32_e32 v107, v130
	v_cmp_ngt_f32_e32 vcc, s65, v141
	v_ldexp_f32 v79, v79, v107
	v_cndmask_b32_e32 v79, 0, v79, vcc
	v_cmp_nlt_f32_e32 vcc, s95, v141
	v_cndmask_b32_e32 v142, v242, v79, vcc
	v_mul_f32_e32 v79, 0x3fb8aa3b, v140
	v_fma_f32 v107, v140, s43, -v79
	v_rndne_f32_e32 v130, v79
	v_fmac_f32_e32 v107, 0x32a5705f, v140
	v_sub_f32_e32 v79, v79, v130
	v_add_f32_e32 v79, v79, v107
	v_exp_f32_e32 v79, v79
	v_cvt_i32_f32_e32 v107, v130
	v_cmp_ngt_f32_e32 vcc, s65, v140
	v_ldexp_f32 v79, v79, v107
	v_cndmask_b32_e32 v79, 0, v79, vcc
	v_cmp_nlt_f32_e32 vcc, s95, v140
	v_pk_add_f32 v[140:141], v[144:145], v[78:79] op_sel_hi:[1,0] neg_lo:[0,1] neg_hi:[0,1]
	v_cndmask_b32_e32 v143, v242, v79, vcc
	v_mul_f32_e32 v79, 0x3fb8aa3b, v141
	v_fma_f32 v107, v141, s43, -v79
	v_rndne_f32_e32 v130, v79
	v_fmac_f32_e32 v107, 0x32a5705f, v141
	v_sub_f32_e32 v79, v79, v130
	v_add_f32_e32 v79, v79, v107
	v_exp_f32_e32 v79, v79
	v_cvt_i32_f32_e32 v107, v130
	v_cmp_ngt_f32_e32 vcc, s65, v141
	;; [unrolled: 27-line block ×3, first 2 shown]
	v_ldexp_f32 v79, v79, v107
	v_cndmask_b32_e32 v79, 0, v79, vcc
	v_cmp_nlt_f32_e32 vcc, s95, v139
	v_cndmask_b32_e32 v139, v242, v79, vcc
	v_mul_f32_e32 v79, 0x3fb8aa3b, v138
	v_fma_f32 v107, v138, s43, -v79
	v_rndne_f32_e32 v130, v79
	v_fmac_f32_e32 v107, 0x32a5705f, v138
	v_sub_f32_e32 v79, v79, v130
	v_add_f32_e32 v79, v79, v107
	v_exp_f32_e32 v79, v79
	v_cvt_i32_f32_e32 v107, v130
	v_cmp_ngt_f32_e32 vcc, s65, v138
	v_ldexp_f32 v79, v79, v107
	v_mul_f32_e32 v107, 0x3fb8aa3b, v86
	v_fma_f32 v130, v86, s43, -v107
	v_rndne_f32_e32 v144, v107
	v_fmac_f32_e32 v130, 0x32a5705f, v86
	v_sub_f32_e32 v107, v107, v144
	v_add_f32_e32 v107, v107, v130
	v_cndmask_b32_e32 v79, 0, v79, vcc
	v_cmp_nlt_f32_e32 vcc, s95, v138
	v_exp_f32_e32 v107, v107
	v_cvt_i32_f32_e32 v130, v144
	v_cndmask_b32_e32 v138, v242, v79, vcc
	v_add_f32_e32 v79, v128, v87
	v_add_f32_e32 v79, v143, v79
	;; [unrolled: 1-line block ×4, first 2 shown]
	v_ldexp_f32 v107, v107, v130
	v_cmp_ngt_f32_e32 vcc, s65, v86
	v_add_f32_e32 v79, v141, v79
	v_cndmask_b32_e32 v107, 0, v107, vcc
	v_cmp_nlt_f32_e32 vcc, s95, v86
	v_add_f32_e32 v79, v138, v79
	v_cndmask_b32_e32 v107, v242, v107, vcc
	v_cmp_le_f32_e32 vcc, s54, v86
	v_add_f32_e32 v79, v139, v79
	v_cndmask_b32_e32 v86, 0, v107, vcc
	v_fmac_f32_e32 v79, v68, v86
	v_cvt_f16_f32_e32 v86, v86
	v_pk_mul_f16 v188, v86, v84 op_sel_hi:[0,1]
	v_pk_mul_f16 v187, v86, v85 op_sel_hi:[0,1]
	v_cvt_f16_f32_e32 v84, v128
	v_cvt_f16_f32_e32 v85, v87
	v_pk_mul_f16 v230, v86, v89 op_sel_hi:[0,1]
	v_pk_mul_f16 v229, v86, v88 op_sel_hi:[0,1]
	;; [unrolled: 1-line block ×30, first 2 shown]
	v_pack_b32_f16 v86, v84, v85
	v_cvt_f16_f32_e32 v84, v142
	v_cvt_f16_f32_e32 v85, v143
	;; [unrolled: 1-line block ×3, first 2 shown]
	v_mov_b32_e32 v89, s9
	v_mov_b32_e32 v91, s9
	v_pack_b32_f16 v87, v85, v84
	v_cvt_f16_f32_e32 v84, v141
	v_cvt_f16_f32_e32 v85, v140
	v_mov_b32_e32 v93, s9
	v_mov_b32_e32 v95, s9
	;; [unrolled: 1-line block ×3, first 2 shown]
	v_pack_b32_f16 v84, v85, v84
	v_cvt_f16_f32_e32 v85, v139
	v_mov_b32_e32 v99, s9
	v_mov_b32_e32 v101, s9
	;; [unrolled: 1-line block ×3, first 2 shown]
	v_pack_b32_f16 v85, v88, v85
	v_add_co_u32_e32 v88, vcc, s72, v36
	v_addc_co_u32_e32 v89, vcc, v89, v37, vcc
	v_add_co_u32_e32 v88, vcc, v88, v183
	v_addc_co_u32_e32 v89, vcc, 0, v89, vcc
	;; [unrolled: 2-line block ×16, first 2 shown]
	global_load_dwordx4 v[138:141], v[88:89], off
	s_waitcnt vmcnt(0)
	ds_write_b128 v131, v[138:141]
	global_load_dwordx4 v[88:91], v[90:91], off
	v_cvt_f32_f16_sdwa v141, v190 dst_sel:DWORD dst_unused:UNUSED_PAD src0_sel:WORD_1
	s_waitcnt vmcnt(0)
	ds_write_b128 v217, v[88:91]
	global_load_dwordx4 v[88:91], v[92:93], off
	s_waitcnt vmcnt(0)
	ds_write_b128 v218, v[88:91]
	global_load_dwordx4 v[88:91], v[94:95], off
	;; [unrolled: 3-line block ×6, first 2 shown]
	s_waitcnt vmcnt(0)
	ds_write_b128 v207, v[88:91]
	s_waitcnt lgkmcnt(0)
	s_barrier
	ds_read_u16 v92, v135 offset:528
	ds_read_u16 v93, v135 offset:1056
	ds_read_u16 v94, v136
	ds_read_u16 v95, v136 offset:32
	v_cvt_f32_f16_e32 v88, v230
	v_cvt_f32_f16_sdwa v89, v230 dst_sel:DWORD dst_unused:UNUSED_PAD src0_sel:WORD_1
	v_cvt_f32_f16_e32 v90, v229
	s_waitcnt lgkmcnt(1)
	v_perm_b32 v93, v94, v93, s53
	ds_read_u16 v94, v134
	ds_read_u16 v96, v134 offset:32
	v_cvt_f32_f16_sdwa v91, v229 dst_sel:DWORD dst_unused:UNUSED_PAD src0_sel:WORD_1
	v_accvgpr_write_b32 a0, v88
	v_accvgpr_write_b32 a1, v89
	s_waitcnt lgkmcnt(1)
	v_perm_b32 v92, v92, v94, s53
	v_accvgpr_write_b32 a2, v90
	v_accvgpr_write_b32 a3, v91
	s_nop 1
	v_mfma_f32_16x16x16f16 a[0:3], v[92:93], v[86:87], a[0:3]
	ds_read_u16 v92, v134 offset:16896
	ds_read_u16 v94, v208 offset:528
	;; [unrolled: 1-line block ×4, first 2 shown]
	s_waitcnt lgkmcnt(2)
	v_perm_b32 v92, v94, v92, s53
	s_waitcnt lgkmcnt(0)
	v_perm_b32 v93, v97, v93, s53
	ds_read_u16 v94, v209 offset:528
	ds_read_u16 v97, v209 offset:1056
	s_nop 0
	v_accvgpr_read_b32 v88, a0
	v_cvt_f16_f32_e32 v88, v88
	v_accvgpr_read_b32 v89, a1
	v_accvgpr_read_b32 v90, a2
	v_accvgpr_read_b32 v91, a3
	v_cvt_f16_f32_e32 v89, v89
	v_cvt_f16_f32_e32 v90, v90
	v_cvt_f16_f32_e32 v91, v91
	v_cvt_f32_f16_e32 v88, v88
	v_cvt_f32_f16_e32 v89, v89
	v_cvt_f32_f16_e32 v90, v90
	v_cvt_f32_f16_e32 v91, v91
	v_accvgpr_write_b32 a0, v88
	v_accvgpr_write_b32 a1, v89
	v_accvgpr_write_b32 a2, v90
	v_accvgpr_write_b32 a3, v91
	s_waitcnt lgkmcnt(0)
	v_perm_b32 v95, v95, v97, s53
	v_perm_b32 v94, v94, v96, s53
	v_mfma_f32_16x16x16f16 a[0:3], v[92:93], v[84:85], a[0:3]
	v_cvt_f32_f16_e32 v92, v221
	v_cvt_f32_f16_sdwa v93, v221 dst_sel:DWORD dst_unused:UNUSED_PAD src0_sel:WORD_1
	s_nop 7
	s_nop 0
	v_accvgpr_read_b32 v88, a0
	v_accvgpr_read_b32 v89, a1
	v_accvgpr_read_b32 v90, a2
	v_accvgpr_read_b32 v91, a3
	v_cvt_f16_f32_e32 v88, v88
	v_cvt_f16_f32_e32 v89, v89
	v_cvt_f16_f32_e32 v90, v90
	v_cvt_f16_f32_e32 v91, v91
	v_pack_b32_f16 v89, v88, v89
	v_pack_b32_f16 v88, v90, v91
	v_cvt_f32_f16_e32 v90, v228
	v_cvt_f32_f16_sdwa v91, v228 dst_sel:DWORD dst_unused:UNUSED_PAD src0_sel:WORD_1
	v_accvgpr_write_b32 a0, v90
	v_accvgpr_write_b32 a1, v91
	v_accvgpr_write_b32 a2, v92
	v_accvgpr_write_b32 a3, v93
	s_nop 1
	v_mfma_f32_16x16x16f16 a[0:3], v[94:95], v[86:87], a[0:3]
	ds_read_u16 v94, v137 offset:16896
	ds_read_u16 v96, v171 offset:528
	ds_read_u16 v95, v202 offset:1056
	ds_read_u16 v97, v252 offset:16896
	s_waitcnt lgkmcnt(2)
	v_perm_b32 v94, v96, v94, s53
	s_waitcnt lgkmcnt(0)
	v_perm_b32 v95, v97, v95, s53
	ds_read_u16 v96, v134 offset:64
	ds_read_u16 v98, v203 offset:528
	ds_read_u16 v97, v203 offset:1056
	ds_read_u16 v99, v136 offset:64
	v_accvgpr_read_b32 v90, a0
	v_cvt_f16_f32_e32 v90, v90
	v_accvgpr_read_b32 v91, a1
	v_accvgpr_read_b32 v92, a2
	v_accvgpr_read_b32 v93, a3
	v_cvt_f16_f32_e32 v91, v91
	v_cvt_f16_f32_e32 v92, v92
	v_cvt_f16_f32_e32 v93, v93
	v_cvt_f32_f16_e32 v90, v90
	v_cvt_f32_f16_e32 v91, v91
	v_cvt_f32_f16_e32 v92, v92
	v_cvt_f32_f16_e32 v93, v93
	v_accvgpr_write_b32 a0, v90
	v_accvgpr_write_b32 a1, v91
	v_accvgpr_write_b32 a2, v92
	v_accvgpr_write_b32 a3, v93
	s_waitcnt lgkmcnt(0)
	v_perm_b32 v97, v99, v97, s53
	v_perm_b32 v96, v98, v96, s53
	v_mfma_f32_16x16x16f16 a[0:3], v[94:95], v[84:85], a[0:3]
	v_cvt_f32_f16_e32 v94, v226
	v_cvt_f32_f16_sdwa v95, v226 dst_sel:DWORD dst_unused:UNUSED_PAD src0_sel:WORD_1
	s_nop 7
	s_nop 0
	v_accvgpr_read_b32 v90, a0
	v_accvgpr_read_b32 v91, a1
	v_accvgpr_read_b32 v92, a2
	v_accvgpr_read_b32 v93, a3
	v_cvt_f16_f32_e32 v90, v90
	v_cvt_f16_f32_e32 v91, v91
	v_cvt_f16_f32_e32 v92, v92
	v_cvt_f16_f32_e32 v93, v93
	v_pack_b32_f16 v91, v90, v91
	v_pack_b32_f16 v90, v92, v93
	v_cvt_f32_f16_e32 v92, v227
	v_cvt_f32_f16_sdwa v93, v227 dst_sel:DWORD dst_unused:UNUSED_PAD src0_sel:WORD_1
	v_accvgpr_write_b32 a0, v92
	v_accvgpr_write_b32 a1, v93
	v_accvgpr_write_b32 a2, v94
	v_accvgpr_write_b32 a3, v95
	s_nop 1
	v_mfma_f32_16x16x16f16 a[0:3], v[96:97], v[86:87], a[0:3]
	ds_read_u16 v96, v236 offset:16896
	ds_read_u16 v98, v172 offset:528
	ds_read_u16 v97, v196 offset:1056
	ds_read_u16 v99, v133 offset:16896
	s_waitcnt lgkmcnt(2)
	v_perm_b32 v96, v98, v96, s53
	s_waitcnt lgkmcnt(0)
	v_perm_b32 v97, v99, v97, s53
	ds_read_u16 v98, v134 offset:96
	ds_read_u16 v100, v205 offset:528
	ds_read_u16 v99, v205 offset:1056
	ds_read_u16 v101, v136 offset:96
	;; [unrolled: 54-line block ×4, first 2 shown]
	v_accvgpr_read_b32 v96, a0
	v_cvt_f16_f32_e32 v96, v96
	v_accvgpr_read_b32 v97, a1
	v_accvgpr_read_b32 v98, a2
	;; [unrolled: 1-line block ×3, first 2 shown]
	v_cvt_f16_f32_e32 v97, v97
	v_cvt_f16_f32_e32 v98, v98
	v_cvt_f16_f32_e32 v99, v99
	v_cvt_f32_f16_e32 v96, v96
	v_cvt_f32_f16_e32 v97, v97
	;; [unrolled: 1-line block ×4, first 2 shown]
	v_accvgpr_write_b32 a0, v96
	v_accvgpr_write_b32 a1, v97
	;; [unrolled: 1-line block ×4, first 2 shown]
	s_waitcnt lgkmcnt(0)
	v_perm_b32 v139, v140, v139, s53
	v_perm_b32 v138, v138, v128, s53
	v_mfma_f32_16x16x16f16 a[0:3], v[100:101], v[84:85], a[0:3]
	v_cvt_f32_f16_e32 v100, v68
	v_cvt_f32_f16_sdwa v101, v68 dst_sel:DWORD dst_unused:UNUSED_PAD src0_sel:WORD_1
	s_nop 7
	s_nop 0
	v_accvgpr_read_b32 v96, a0
	v_accvgpr_read_b32 v97, a1
	;; [unrolled: 1-line block ×4, first 2 shown]
	v_cvt_f16_f32_e32 v96, v96
	v_cvt_f16_f32_e32 v97, v97
	;; [unrolled: 1-line block ×4, first 2 shown]
	v_pack_b32_f16 v97, v96, v97
	v_pack_b32_f16 v96, v98, v99
	v_cvt_f32_f16_e32 v98, v219
	v_cvt_f32_f16_sdwa v99, v219 dst_sel:DWORD dst_unused:UNUSED_PAD src0_sel:WORD_1
	v_accvgpr_write_b32 a0, v98
	v_accvgpr_write_b32 a1, v99
	;; [unrolled: 1-line block ×4, first 2 shown]
	s_nop 1
	v_mfma_f32_16x16x16f16 a[0:3], v[138:139], v[86:87], a[0:3]
	ds_read_u16 v128, v248 offset:16896
	ds_read_u16 v138, v175 offset:528
	;; [unrolled: 1-line block ×4, first 2 shown]
	s_waitcnt lgkmcnt(2)
	v_perm_b32 v138, v138, v128, s53
	s_waitcnt lgkmcnt(0)
	v_perm_b32 v139, v140, v139, s53
	v_cvt_f32_f16_e32 v140, v190
	s_nop 1
	v_accvgpr_read_b32 v98, a1
	v_accvgpr_read_b32 v68, a0
	v_cvt_f16_f32_e32 v99, v98
	v_accvgpr_read_b32 v98, a2
	v_cvt_f16_f32_e32 v68, v68
	v_cvt_f16_f32_e32 v100, v98
	v_accvgpr_read_b32 v98, a3
	v_cvt_f16_f32_e32 v101, v98
	v_cvt_f32_f16_e32 v98, v68
	v_cvt_f32_f16_e32 v99, v99
	;; [unrolled: 1-line block ×4, first 2 shown]
	v_accvgpr_write_b32 a0, v98
	v_accvgpr_write_b32 a1, v99
	;; [unrolled: 1-line block ×4, first 2 shown]
	s_nop 1
	v_mfma_f32_16x16x16f16 a[0:3], v[138:139], v[84:85], a[0:3]
	v_cvt_f32_f16_e32 v138, v215
	v_cvt_f32_f16_sdwa v139, v215 dst_sel:DWORD dst_unused:UNUSED_PAD src0_sel:WORD_1
	s_nop 7
	s_nop 0
	v_accvgpr_read_b32 v99, a2
	v_accvgpr_read_b32 v68, a0
	;; [unrolled: 1-line block ×3, first 2 shown]
	v_cvt_f16_f32_e32 v100, v99
	v_accvgpr_read_b32 v99, a3
	v_cvt_f16_f32_e32 v68, v68
	v_cvt_f16_f32_e32 v98, v98
	;; [unrolled: 1-line block ×3, first 2 shown]
	v_accvgpr_write_b32 a0, v138
	v_accvgpr_write_b32 a1, v139
	v_pack_b32_f16 v99, v68, v98
	v_pack_b32_f16 v98, v100, v101
	ds_read_u16 v68, v134 offset:192
	ds_read_u16 v100, v195 offset:528
	;; [unrolled: 1-line block ×4, first 2 shown]
	v_accvgpr_write_b32 a2, v140
	v_accvgpr_write_b32 a3, v141
	s_waitcnt lgkmcnt(2)
	v_perm_b32 v100, v100, v68, s53
	ds_read_u16 v142, v152 offset:16896
	ds_read_u16 v143, v176 offset:528
	ds_read_u16 v144, v126 offset:1056
	ds_read_u16 v145, v154 offset:16896
	s_waitcnt lgkmcnt(4)
	v_perm_b32 v101, v128, v101, s53
	s_nop 1
	v_mfma_f32_16x16x16f16 a[0:3], v[100:101], v[86:87], a[0:3]
	s_nop 7
	s_nop 2
	v_accvgpr_read_b32 v68, a0
	v_cvt_f16_f32_e32 v68, v68
	v_accvgpr_read_b32 v100, a1
	v_accvgpr_read_b32 v101, a2
	;; [unrolled: 1-line block ×3, first 2 shown]
	v_cvt_f16_f32_e32 v100, v100
	v_cvt_f16_f32_e32 v101, v101
	;; [unrolled: 1-line block ×3, first 2 shown]
	v_cvt_f32_f16_e32 v138, v68
	v_cvt_f32_f16_e32 v139, v100
	;; [unrolled: 1-line block ×4, first 2 shown]
	s_waitcnt lgkmcnt(0)
	v_perm_b32 v101, v145, v144, s53
	v_perm_b32 v100, v143, v142, s53
	v_accvgpr_write_b32 a0, v138
	v_accvgpr_write_b32 a1, v139
	;; [unrolled: 1-line block ×4, first 2 shown]
	v_cvt_f32_f16_sdwa v139, v106 dst_sel:DWORD dst_unused:UNUSED_PAD src0_sel:WORD_1
	v_cvt_f32_f16_e32 v140, v72
	v_mfma_f32_16x16x16f16 a[0:3], v[100:101], v[84:85], a[0:3]
	v_cvt_f32_f16_sdwa v141, v72 dst_sel:DWORD dst_unused:UNUSED_PAD src0_sel:WORD_1
	s_nop 7
	s_nop 1
	v_accvgpr_read_b32 v101, a2
	v_accvgpr_read_b32 v68, a0
	;; [unrolled: 1-line block ×3, first 2 shown]
	v_cvt_f16_f32_e32 v128, v101
	v_accvgpr_read_b32 v101, a3
	v_cvt_f16_f32_e32 v68, v68
	v_cvt_f16_f32_e32 v100, v100
	v_cvt_f16_f32_e32 v138, v101
	v_pack_b32_f16 v101, v68, v100
	v_pack_b32_f16 v100, v128, v138
	ds_read_u16 v68, v134 offset:224
	ds_read_u16 v128, v197 offset:528
	;; [unrolled: 1-line block ×4, first 2 shown]
	v_cvt_f32_f16_e32 v138, v106
	s_waitcnt lgkmcnt(0)
	v_perm_b32 v143, v143, v142, s53
	v_perm_b32 v142, v128, v68, s53
	v_accvgpr_write_b32 a0, v138
	v_accvgpr_write_b32 a1, v139
	;; [unrolled: 1-line block ×4, first 2 shown]
	s_nop 1
	v_mfma_f32_16x16x16f16 a[0:3], v[142:143], v[86:87], a[0:3]
	ds_read_u16 v142, v156 offset:16896
	ds_read_u16 v144, v177 offset:528
	;; [unrolled: 1-line block ×4, first 2 shown]
	s_waitcnt lgkmcnt(2)
	v_perm_b32 v142, v144, v142, s53
	s_waitcnt lgkmcnt(0)
	v_perm_b32 v143, v145, v143, s53
	s_nop 2
	v_accvgpr_read_b32 v68, a0
	v_cvt_f16_f32_e32 v68, v68
	v_accvgpr_read_b32 v72, a1
	v_accvgpr_read_b32 v106, a2
	;; [unrolled: 1-line block ×3, first 2 shown]
	v_cvt_f16_f32_e32 v72, v72
	v_cvt_f16_f32_e32 v106, v106
	;; [unrolled: 1-line block ×3, first 2 shown]
	v_cvt_f32_f16_e32 v138, v68
	v_cvt_f32_f16_e32 v139, v72
	;; [unrolled: 1-line block ×4, first 2 shown]
	v_accvgpr_write_b32 a0, v138
	v_accvgpr_write_b32 a1, v139
	;; [unrolled: 1-line block ×4, first 2 shown]
	v_cvt_f32_f16_sdwa v139, v109 dst_sel:DWORD dst_unused:UNUSED_PAD src0_sel:WORD_1
	v_cvt_f32_f16_e32 v140, v108
	v_mfma_f32_16x16x16f16 a[0:3], v[142:143], v[84:85], a[0:3]
	v_cvt_f32_f16_sdwa v141, v108 dst_sel:DWORD dst_unused:UNUSED_PAD src0_sel:WORD_1
	s_nop 7
	s_nop 1
	v_accvgpr_read_b32 v106, a2
	v_accvgpr_read_b32 v68, a0
	;; [unrolled: 1-line block ×3, first 2 shown]
	v_cvt_f16_f32_e32 v128, v106
	v_accvgpr_read_b32 v106, a3
	v_cvt_f16_f32_e32 v68, v68
	v_cvt_f16_f32_e32 v72, v72
	;; [unrolled: 1-line block ×3, first 2 shown]
	v_pack_b32_f16 v106, v68, v72
	v_pack_b32_f16 v72, v128, v138
	ds_read_u16 v68, v134 offset:256
	ds_read_u16 v128, v117 offset:528
	;; [unrolled: 1-line block ×4, first 2 shown]
	v_cvt_f32_f16_e32 v138, v109
	s_waitcnt lgkmcnt(2)
	v_perm_b32 v108, v128, v68, s53
	s_waitcnt lgkmcnt(0)
	v_perm_b32 v109, v143, v142, s53
	v_accvgpr_write_b32 a0, v138
	v_accvgpr_write_b32 a1, v139
	;; [unrolled: 1-line block ×4, first 2 shown]
	ds_read_u16 v142, v151 offset:16896
	ds_read_u16 v143, v178 offset:528
	;; [unrolled: 1-line block ×4, first 2 shown]
	v_mfma_f32_16x16x16f16 a[0:3], v[108:109], v[86:87], a[0:3]
	s_nop 7
	s_nop 2
	v_accvgpr_read_b32 v68, a0
	v_cvt_f16_f32_e32 v68, v68
	v_accvgpr_read_b32 v108, a1
	v_accvgpr_read_b32 v109, a2
	;; [unrolled: 1-line block ×3, first 2 shown]
	v_cvt_f16_f32_e32 v108, v108
	v_cvt_f16_f32_e32 v109, v109
	;; [unrolled: 1-line block ×3, first 2 shown]
	v_cvt_f32_f16_e32 v138, v68
	v_cvt_f32_f16_e32 v139, v108
	;; [unrolled: 1-line block ×4, first 2 shown]
	s_waitcnt lgkmcnt(0)
	v_perm_b32 v109, v145, v144, s53
	v_perm_b32 v108, v143, v142, s53
	v_accvgpr_write_b32 a0, v138
	v_accvgpr_write_b32 a1, v139
	;; [unrolled: 1-line block ×4, first 2 shown]
	v_cvt_f32_f16_sdwa v139, v110 dst_sel:DWORD dst_unused:UNUSED_PAD src0_sel:WORD_1
	v_cvt_f32_f16_e32 v140, v74
	v_mfma_f32_16x16x16f16 a[0:3], v[108:109], v[84:85], a[0:3]
	v_cvt_f32_f16_sdwa v141, v74 dst_sel:DWORD dst_unused:UNUSED_PAD src0_sel:WORD_1
	s_nop 7
	s_nop 1
	v_accvgpr_read_b32 v109, a2
	v_accvgpr_read_b32 v68, a0
	;; [unrolled: 1-line block ×3, first 2 shown]
	v_cvt_f16_f32_e32 v128, v109
	v_accvgpr_read_b32 v109, a3
	v_cvt_f16_f32_e32 v68, v68
	v_cvt_f16_f32_e32 v108, v108
	;; [unrolled: 1-line block ×3, first 2 shown]
	v_pack_b32_f16 v109, v68, v108
	v_pack_b32_f16 v108, v128, v138
	ds_read_u16 v68, v134 offset:288
	ds_read_u16 v128, v123 offset:528
	;; [unrolled: 1-line block ×4, first 2 shown]
	v_cvt_f32_f16_e32 v138, v110
	s_waitcnt lgkmcnt(0)
	v_perm_b32 v143, v143, v142, s53
	v_perm_b32 v142, v128, v68, s53
	v_accvgpr_write_b32 a0, v138
	v_accvgpr_write_b32 a1, v139
	;; [unrolled: 1-line block ×4, first 2 shown]
	s_nop 1
	v_mfma_f32_16x16x16f16 a[0:3], v[142:143], v[86:87], a[0:3]
	ds_read_u16 v142, v153 offset:16896
	ds_read_u16 v144, v179 offset:528
	;; [unrolled: 1-line block ×4, first 2 shown]
	s_waitcnt lgkmcnt(2)
	v_perm_b32 v142, v144, v142, s53
	s_waitcnt lgkmcnt(0)
	v_perm_b32 v143, v145, v143, s53
	s_nop 2
	v_accvgpr_read_b32 v68, a0
	v_cvt_f16_f32_e32 v68, v68
	v_accvgpr_read_b32 v74, a1
	v_accvgpr_read_b32 v110, a2
	;; [unrolled: 1-line block ×3, first 2 shown]
	v_cvt_f16_f32_e32 v74, v74
	v_cvt_f16_f32_e32 v110, v110
	;; [unrolled: 1-line block ×3, first 2 shown]
	v_cvt_f32_f16_e32 v138, v68
	v_cvt_f32_f16_e32 v139, v74
	;; [unrolled: 1-line block ×4, first 2 shown]
	v_accvgpr_write_b32 a0, v138
	v_accvgpr_write_b32 a1, v139
	v_accvgpr_write_b32 a2, v140
	v_accvgpr_write_b32 a3, v141
	v_cvt_f32_f16_sdwa v139, v113 dst_sel:DWORD dst_unused:UNUSED_PAD src0_sel:WORD_1
	v_cvt_f32_f16_e32 v140, v112
	v_mfma_f32_16x16x16f16 a[0:3], v[142:143], v[84:85], a[0:3]
	v_cvt_f32_f16_sdwa v141, v112 dst_sel:DWORD dst_unused:UNUSED_PAD src0_sel:WORD_1
	s_nop 7
	s_nop 1
	v_accvgpr_read_b32 v110, a2
	v_accvgpr_read_b32 v68, a0
	;; [unrolled: 1-line block ×3, first 2 shown]
	v_cvt_f16_f32_e32 v128, v110
	v_accvgpr_read_b32 v110, a3
	v_cvt_f16_f32_e32 v68, v68
	v_cvt_f16_f32_e32 v74, v74
	;; [unrolled: 1-line block ×3, first 2 shown]
	v_pack_b32_f16 v110, v68, v74
	v_pack_b32_f16 v74, v128, v138
	ds_read_u16 v68, v134 offset:320
	ds_read_u16 v128, v125 offset:528
	;; [unrolled: 1-line block ×4, first 2 shown]
	v_cvt_f32_f16_e32 v138, v113
	s_waitcnt lgkmcnt(2)
	v_perm_b32 v112, v128, v68, s53
	s_waitcnt lgkmcnt(0)
	v_perm_b32 v113, v143, v142, s53
	v_accvgpr_write_b32 a0, v138
	v_accvgpr_write_b32 a1, v139
	v_accvgpr_write_b32 a2, v140
	v_accvgpr_write_b32 a3, v141
	ds_read_u16 v142, v155 offset:16896
	ds_read_u16 v143, v180 offset:528
	;; [unrolled: 1-line block ×4, first 2 shown]
	v_mfma_f32_16x16x16f16 a[0:3], v[112:113], v[86:87], a[0:3]
	s_nop 7
	s_nop 2
	v_accvgpr_read_b32 v68, a0
	v_cvt_f16_f32_e32 v68, v68
	v_accvgpr_read_b32 v112, a1
	v_accvgpr_read_b32 v113, a2
	;; [unrolled: 1-line block ×3, first 2 shown]
	v_cvt_f16_f32_e32 v112, v112
	v_cvt_f16_f32_e32 v113, v113
	;; [unrolled: 1-line block ×3, first 2 shown]
	v_cvt_f32_f16_e32 v138, v68
	v_cvt_f32_f16_e32 v139, v112
	;; [unrolled: 1-line block ×4, first 2 shown]
	s_waitcnt lgkmcnt(0)
	v_perm_b32 v113, v145, v144, s53
	v_perm_b32 v112, v143, v142, s53
	v_accvgpr_write_b32 a0, v138
	v_accvgpr_write_b32 a1, v139
	;; [unrolled: 1-line block ×4, first 2 shown]
	v_cvt_f32_f16_sdwa v139, v116 dst_sel:DWORD dst_unused:UNUSED_PAD src0_sel:WORD_1
	v_cvt_f32_f16_e32 v140, v114
	v_mfma_f32_16x16x16f16 a[0:3], v[112:113], v[84:85], a[0:3]
	v_cvt_f32_f16_sdwa v141, v114 dst_sel:DWORD dst_unused:UNUSED_PAD src0_sel:WORD_1
	s_nop 7
	s_nop 1
	v_accvgpr_read_b32 v113, a2
	v_accvgpr_read_b32 v68, a0
	;; [unrolled: 1-line block ×3, first 2 shown]
	v_cvt_f16_f32_e32 v128, v113
	v_accvgpr_read_b32 v113, a3
	v_cvt_f16_f32_e32 v68, v68
	v_cvt_f16_f32_e32 v112, v112
	;; [unrolled: 1-line block ×3, first 2 shown]
	v_pack_b32_f16 v113, v68, v112
	v_pack_b32_f16 v112, v128, v138
	ds_read_u16 v68, v134 offset:352
	ds_read_u16 v128, v127 offset:528
	ds_read_u16 v142, v127 offset:1056
	ds_read_u16 v143, v136 offset:352
	v_cvt_f32_f16_e32 v138, v116
	s_waitcnt lgkmcnt(0)
	v_perm_b32 v143, v143, v142, s53
	v_perm_b32 v142, v128, v68, s53
	v_accvgpr_write_b32 a0, v138
	v_accvgpr_write_b32 a1, v139
	;; [unrolled: 1-line block ×4, first 2 shown]
	s_nop 1
	v_mfma_f32_16x16x16f16 a[0:3], v[142:143], v[86:87], a[0:3]
	ds_read_u16 v142, v157 offset:16896
	ds_read_u16 v144, v181 offset:528
	;; [unrolled: 1-line block ×4, first 2 shown]
	s_waitcnt lgkmcnt(2)
	v_perm_b32 v142, v144, v142, s53
	s_waitcnt lgkmcnt(0)
	v_perm_b32 v143, v145, v143, s53
	s_nop 2
	v_accvgpr_read_b32 v68, a0
	v_cvt_f16_f32_e32 v68, v68
	v_accvgpr_read_b32 v114, a1
	v_accvgpr_read_b32 v116, a2
	v_accvgpr_read_b32 v128, a3
	v_cvt_f16_f32_e32 v114, v114
	v_cvt_f16_f32_e32 v116, v116
	;; [unrolled: 1-line block ×3, first 2 shown]
	v_cvt_f32_f16_e32 v138, v68
	v_cvt_f32_f16_e32 v139, v114
	;; [unrolled: 1-line block ×4, first 2 shown]
	v_accvgpr_write_b32 a0, v138
	v_accvgpr_write_b32 a1, v139
	;; [unrolled: 1-line block ×4, first 2 shown]
	v_cvt_f32_f16_sdwa v139, v119 dst_sel:DWORD dst_unused:UNUSED_PAD src0_sel:WORD_1
	v_cvt_f32_f16_e32 v140, v118
	v_mfma_f32_16x16x16f16 a[0:3], v[142:143], v[84:85], a[0:3]
	v_cvt_f32_f16_sdwa v141, v118 dst_sel:DWORD dst_unused:UNUSED_PAD src0_sel:WORD_1
	s_nop 7
	s_nop 1
	v_accvgpr_read_b32 v116, a2
	v_accvgpr_read_b32 v68, a0
	;; [unrolled: 1-line block ×3, first 2 shown]
	v_cvt_f16_f32_e32 v128, v116
	v_accvgpr_read_b32 v116, a3
	v_cvt_f16_f32_e32 v68, v68
	v_cvt_f16_f32_e32 v114, v114
	;; [unrolled: 1-line block ×3, first 2 shown]
	v_pack_b32_f16 v116, v68, v114
	v_pack_b32_f16 v114, v128, v138
	ds_read_u16 v68, v134 offset:384
	ds_read_u16 v128, v192 offset:528
	;; [unrolled: 1-line block ×4, first 2 shown]
	v_cvt_f32_f16_e32 v138, v119
	s_waitcnt lgkmcnt(2)
	v_perm_b32 v118, v128, v68, s53
	s_waitcnt lgkmcnt(0)
	v_perm_b32 v119, v143, v142, s53
	v_accvgpr_write_b32 a0, v138
	v_accvgpr_write_b32 a1, v139
	;; [unrolled: 1-line block ×4, first 2 shown]
	ds_read_u16 v142, v159 offset:16896
	ds_read_u16 v143, v184 offset:528
	;; [unrolled: 1-line block ×4, first 2 shown]
	v_mfma_f32_16x16x16f16 a[0:3], v[118:119], v[86:87], a[0:3]
	s_nop 7
	s_nop 2
	v_accvgpr_read_b32 v68, a0
	v_cvt_f16_f32_e32 v68, v68
	v_accvgpr_read_b32 v118, a1
	v_accvgpr_read_b32 v119, a2
	;; [unrolled: 1-line block ×3, first 2 shown]
	v_cvt_f16_f32_e32 v118, v118
	v_cvt_f16_f32_e32 v119, v119
	;; [unrolled: 1-line block ×3, first 2 shown]
	v_cvt_f32_f16_e32 v138, v68
	v_cvt_f32_f16_e32 v139, v118
	;; [unrolled: 1-line block ×4, first 2 shown]
	s_waitcnt lgkmcnt(0)
	v_perm_b32 v119, v145, v144, s53
	v_perm_b32 v118, v143, v142, s53
	v_accvgpr_write_b32 a0, v138
	v_accvgpr_write_b32 a1, v139
	;; [unrolled: 1-line block ×4, first 2 shown]
	v_cvt_f32_f16_sdwa v139, v121 dst_sel:DWORD dst_unused:UNUSED_PAD src0_sel:WORD_1
	v_cvt_f32_f16_e32 v140, v120
	v_mfma_f32_16x16x16f16 a[0:3], v[118:119], v[84:85], a[0:3]
	v_cvt_f32_f16_sdwa v141, v120 dst_sel:DWORD dst_unused:UNUSED_PAD src0_sel:WORD_1
	s_nop 7
	s_nop 1
	v_accvgpr_read_b32 v119, a2
	v_accvgpr_read_b32 v68, a0
	;; [unrolled: 1-line block ×3, first 2 shown]
	v_cvt_f16_f32_e32 v128, v119
	v_accvgpr_read_b32 v119, a3
	v_cvt_f16_f32_e32 v68, v68
	v_cvt_f16_f32_e32 v118, v118
	;; [unrolled: 1-line block ×3, first 2 shown]
	v_pack_b32_f16 v119, v68, v118
	v_pack_b32_f16 v118, v128, v138
	ds_read_u16 v68, v134 offset:416
	ds_read_u16 v128, v194 offset:528
	;; [unrolled: 1-line block ×4, first 2 shown]
	v_cvt_f32_f16_e32 v138, v121
	s_waitcnt lgkmcnt(2)
	v_perm_b32 v120, v128, v68, s53
	s_waitcnt lgkmcnt(0)
	v_perm_b32 v121, v142, v182, s53
	v_accvgpr_write_b32 a0, v138
	v_accvgpr_write_b32 a1, v139
	;; [unrolled: 1-line block ×4, first 2 shown]
	ds_read_u16 v142, v161 offset:16896
	ds_read_u16 v143, v185 offset:528
	;; [unrolled: 1-line block ×4, first 2 shown]
	v_mfma_f32_16x16x16f16 a[0:3], v[120:121], v[86:87], a[0:3]
	s_nop 7
	s_nop 2
	v_accvgpr_read_b32 v68, a0
	v_cvt_f16_f32_e32 v68, v68
	v_accvgpr_read_b32 v120, a1
	v_accvgpr_read_b32 v121, a2
	;; [unrolled: 1-line block ×3, first 2 shown]
	v_cvt_f16_f32_e32 v120, v120
	v_cvt_f16_f32_e32 v121, v121
	;; [unrolled: 1-line block ×3, first 2 shown]
	v_cvt_f32_f16_e32 v138, v68
	v_cvt_f32_f16_e32 v139, v120
	;; [unrolled: 1-line block ×4, first 2 shown]
	s_waitcnt lgkmcnt(0)
	v_perm_b32 v121, v145, v144, s53
	v_perm_b32 v120, v143, v142, s53
	v_accvgpr_write_b32 a0, v138
	v_accvgpr_write_b32 a1, v139
	;; [unrolled: 1-line block ×4, first 2 shown]
	v_cvt_f32_f16_sdwa v139, v130 dst_sel:DWORD dst_unused:UNUSED_PAD src0_sel:WORD_1
	v_cvt_f32_f16_e32 v140, v107
	v_mfma_f32_16x16x16f16 a[0:3], v[120:121], v[84:85], a[0:3]
	v_cvt_f32_f16_sdwa v141, v107 dst_sel:DWORD dst_unused:UNUSED_PAD src0_sel:WORD_1
	s_nop 7
	s_nop 1
	v_accvgpr_read_b32 v121, a2
	v_accvgpr_read_b32 v68, a0
	;; [unrolled: 1-line block ×3, first 2 shown]
	v_cvt_f16_f32_e32 v128, v121
	v_accvgpr_read_b32 v121, a3
	v_cvt_f16_f32_e32 v68, v68
	v_cvt_f16_f32_e32 v120, v120
	v_cvt_f16_f32_e32 v138, v121
	v_pack_b32_f16 v121, v68, v120
	v_pack_b32_f16 v120, v128, v138
	ds_read_u16 v68, v134 offset:448
	ds_read_u16 v128, v34 offset:528
	;; [unrolled: 1-line block ×4, first 2 shown]
	v_cvt_f32_f16_e32 v138, v130
	s_waitcnt lgkmcnt(0)
	v_perm_b32 v143, v143, v142, s53
	v_perm_b32 v142, v128, v68, s53
	v_accvgpr_write_b32 a0, v138
	v_accvgpr_write_b32 a1, v139
	;; [unrolled: 1-line block ×4, first 2 shown]
	s_nop 1
	v_mfma_f32_16x16x16f16 a[0:3], v[142:143], v[86:87], a[0:3]
	ds_read_u16 v142, v163 offset:16896
	ds_read_u16 v144, v222 offset:528
	;; [unrolled: 1-line block ×4, first 2 shown]
	s_waitcnt lgkmcnt(2)
	v_perm_b32 v142, v144, v142, s53
	s_waitcnt lgkmcnt(0)
	v_perm_b32 v143, v145, v143, s53
	s_nop 2
	v_accvgpr_read_b32 v68, a0
	v_cvt_f16_f32_e32 v68, v68
	v_accvgpr_read_b32 v107, a1
	v_accvgpr_read_b32 v128, a2
	;; [unrolled: 1-line block ×3, first 2 shown]
	v_cvt_f16_f32_e32 v107, v107
	v_cvt_f16_f32_e32 v128, v128
	;; [unrolled: 1-line block ×3, first 2 shown]
	v_cvt_f32_f16_e32 v138, v68
	v_cvt_f32_f16_e32 v139, v107
	;; [unrolled: 1-line block ×4, first 2 shown]
	v_accvgpr_write_b32 a0, v138
	v_accvgpr_write_b32 a1, v139
	;; [unrolled: 1-line block ×4, first 2 shown]
	v_cvt_f32_f16_e32 v138, v188
	v_cvt_f32_f16_sdwa v139, v188 dst_sel:DWORD dst_unused:UNUSED_PAD src0_sel:WORD_1
	v_mfma_f32_16x16x16f16 a[0:3], v[142:143], v[84:85], a[0:3]
	v_cvt_f32_f16_e32 v140, v187
	v_cvt_f32_f16_sdwa v141, v187 dst_sel:DWORD dst_unused:UNUSED_PAD src0_sel:WORD_1
	s_nop 7
	s_nop 0
	v_accvgpr_read_b32 v68, a0
	v_accvgpr_read_b32 v107, a1
	;; [unrolled: 1-line block ×4, first 2 shown]
	v_cvt_f16_f32_e32 v68, v68
	v_cvt_f16_f32_e32 v107, v107
	;; [unrolled: 1-line block ×4, first 2 shown]
	v_accvgpr_write_b32 a0, v138
	v_pack_b32_f16 v186, v68, v107
	v_accvgpr_write_b32 a1, v139
	v_pack_b32_f16 v182, v128, v130
	ds_read_u16 v68, v134 offset:480
	ds_read_u16 v107, v250 offset:528
	;; [unrolled: 1-line block ×4, first 2 shown]
	v_accvgpr_write_b32 a2, v140
	v_accvgpr_write_b32 a3, v141
	s_waitcnt lgkmcnt(2)
	v_perm_b32 v142, v107, v68, s53
	s_waitcnt lgkmcnt(0)
	v_perm_b32 v143, v130, v128, s53
	s_nop 1
	v_mfma_f32_16x16x16f16 a[0:3], v[142:143], v[86:87], a[0:3]
	ds_read_u16 v128, v165 offset:16896
	ds_read_u16 v130, v216 offset:528
	;; [unrolled: 1-line block ×4, first 2 shown]
	s_waitcnt lgkmcnt(0)
	s_barrier
	s_nop 4
	v_accvgpr_read_b32 v68, a0
	v_cvt_f16_f32_e32 v68, v68
	v_accvgpr_read_b32 v86, a1
	v_accvgpr_read_b32 v87, a2
	;; [unrolled: 1-line block ×3, first 2 shown]
	v_cvt_f16_f32_e32 v86, v86
	v_cvt_f16_f32_e32 v87, v87
	;; [unrolled: 1-line block ×3, first 2 shown]
	v_cvt_f32_f16_e32 v138, v68
	v_cvt_f32_f16_e32 v139, v86
	;; [unrolled: 1-line block ×4, first 2 shown]
	v_perm_b32 v87, v143, v142, s53
	v_perm_b32 v86, v130, v128, s53
	v_accvgpr_write_b32 a0, v138
	v_accvgpr_write_b32 a1, v139
	;; [unrolled: 1-line block ×4, first 2 shown]
	s_nop 1
	v_mfma_f32_16x16x16f16 a[0:3], v[86:87], v[84:85], a[0:3]
	s_nop 7
	s_nop 2
	v_accvgpr_read_b32 v68, a0
	v_accvgpr_read_b32 v84, a1
	;; [unrolled: 1-line block ×4, first 2 shown]
	v_cvt_f16_f32_e32 v68, v68
	v_cvt_f16_f32_e32 v84, v84
	v_cvt_f16_f32_e32 v85, v85
	v_cvt_f16_f32_e32 v86, v86
	v_pack_b32_f16 v84, v68, v84
	v_pack_b32_f16 v85, v85, v86
	s_cbranch_scc1 .LBB29_55
; %bb.56:                               ;   in Loop: Header=BB29_14 Depth=1
	v_accvgpr_read_b32 v128, a128
	v_accvgpr_read_b32 v130, a145
	;; [unrolled: 1-line block ×10, first 2 shown]
.LBB29_57:                              ;   in Loop: Header=BB29_14 Depth=1
	s_lshl_b32 s8, s74, 6
	s_ashr_i32 s9, s8, 31
	s_lshl_b64 s[72:73], s[8:9], 1
	v_add_co_u32_e32 v68, vcc, s72, v145
	v_mov_b32_e32 v86, s73
	v_addc_co_u32_e32 v86, vcc, v143, v86, vcc
	v_lshlrev_b32_e32 v87, 1, v128
	v_add_co_u32_e32 v68, vcc, v68, v87
	v_addc_co_u32_e32 v86, vcc, 0, v86, vcc
	v_lshlrev_b64 v[80:81], 1, v[80:81]
	v_add_co_u32_e32 v80, vcc, v68, v80
	v_addc_co_u32_e32 v81, vcc, v86, v81, vcc
	global_load_dword v80, v[80:81], off
	v_add_u32_e32 v87, v243, v240
	s_mul_hi_i32 s73, s34, s8
	s_mul_i32 s72, s34, s8
	s_lshl_b64 s[72:73], s[72:73], 2
	s_add_u32 s9, s10, s72
	s_addc_u32 s72, s11, s73
	s_waitcnt vmcnt(0)
	ds_write_b32 v87, v80 offset:33792
	v_lshlrev_b64 v[80:81], 1, v[82:83]
	v_add_co_u32_e32 v80, vcc, v68, v80
	v_addc_co_u32_e32 v81, vcc, v86, v81, vcc
	global_load_dword v68, v[80:81], off
	v_mov_b32_e32 v80, s72
	s_waitcnt vmcnt(0)
	ds_write_b32 v87, v68 offset:34944
	v_add_co_u32_e32 v68, vcc, s9, v52
	v_addc_co_u32_e32 v81, vcc, v80, v53, vcc
	v_add_co_u32_e32 v80, vcc, v68, v183
	v_addc_co_u32_e32 v81, vcc, 0, v81, vcc
	global_load_dwordx4 v[80:83], v[80:81], off
	v_add_co_u32_e32 v68, vcc, s9, v54
	s_waitcnt vmcnt(0)
	ds_write_b128 v131, v[80:83]
	v_mov_b32_e32 v80, s72
	v_addc_co_u32_e32 v81, vcc, v80, v55, vcc
	v_add_co_u32_e32 v80, vcc, v68, v183
	v_addc_co_u32_e32 v81, vcc, 0, v81, vcc
	global_load_dwordx4 v[80:83], v[80:81], off
	v_add_co_u32_e32 v68, vcc, s9, v56
	s_waitcnt vmcnt(0)
	ds_write_b128 v217, v[80:83]
	v_mov_b32_e32 v80, s72
	v_addc_co_u32_e32 v81, vcc, v80, v57, vcc
	v_add_co_u32_e32 v80, vcc, v68, v183
	v_addc_co_u32_e32 v81, vcc, 0, v81, vcc
	global_load_dwordx4 v[80:83], v[80:81], off
	v_add_co_u32_e32 v68, vcc, s9, v58
	s_waitcnt vmcnt(0)
	ds_write_b128 v218, v[80:83]
	v_mov_b32_e32 v80, s72
	v_addc_co_u32_e32 v81, vcc, v80, v59, vcc
	v_add_co_u32_e32 v80, vcc, v68, v183
	v_addc_co_u32_e32 v81, vcc, 0, v81, vcc
	global_load_dwordx4 v[80:83], v[80:81], off
	v_add_co_u32_e32 v68, vcc, s9, v60
	s_waitcnt vmcnt(0)
	ds_write_b128 v211, v[80:83]
	v_mov_b32_e32 v80, s72
	v_addc_co_u32_e32 v81, vcc, v80, v61, vcc
	v_add_co_u32_e32 v80, vcc, v68, v183
	v_addc_co_u32_e32 v81, vcc, 0, v81, vcc
	global_load_dwordx4 v[80:83], v[80:81], off
	v_add_co_u32_e32 v68, vcc, s9, v62
	s_waitcnt vmcnt(0)
	ds_write_b128 v212, v[80:83]
	v_mov_b32_e32 v80, s72
	v_addc_co_u32_e32 v81, vcc, v80, v63, vcc
	v_add_co_u32_e32 v80, vcc, v68, v183
	v_addc_co_u32_e32 v81, vcc, 0, v81, vcc
	global_load_dwordx4 v[80:83], v[80:81], off
	v_add_co_u32_e32 v68, vcc, s9, v64
	s_waitcnt vmcnt(0)
	ds_write_b128 v213, v[80:83]
	v_mov_b32_e32 v80, s72
	v_addc_co_u32_e32 v81, vcc, v80, v65, vcc
	v_add_co_u32_e32 v80, vcc, v68, v183
	v_addc_co_u32_e32 v81, vcc, 0, v81, vcc
	global_load_dwordx4 v[80:83], v[80:81], off
	v_add_co_u32_e32 v68, vcc, s9, v66
	s_mul_hi_i32 s9, s30, s8
	s_mul_i32 s8, s30, s8
	s_lshl_b64 s[8:9], s[8:9], 2
	s_add_u32 s8, s49, s8
	s_addc_u32 s9, s7, s9
	s_cmp_eq_u64 s[70:71], 0
	s_waitcnt vmcnt(0)
	ds_write_b128 v214, v[80:83]
	v_mov_b32_e32 v80, s72
	v_addc_co_u32_e32 v81, vcc, v80, v67, vcc
	v_add_co_u32_e32 v80, vcc, v68, v183
	v_addc_co_u32_e32 v81, vcc, 0, v81, vcc
	global_load_dwordx4 v[80:83], v[80:81], off
	v_add_u32_e32 v68, 0x4000, v132
	v_cmp_lt_i32_e32 vcc, v69, v1
	s_waitcnt vmcnt(0)
	ds_write_b128 v207, v[80:83]
	s_waitcnt lgkmcnt(0)
	s_barrier
	ds_read2_b64 v[80:83], v132 offset1:4
	s_waitcnt lgkmcnt(0)
	v_mfma_f32_16x16x16f16 a[0:3], v[80:81], v[30:31], 0
	ds_read2_b64 v[102:105], v68 offset0:64 offset1:68
	v_mfma_f32_16x16x16f16 a[0:3], v[82:83], v[32:33], a[0:3]
	ds_read2_b64 v[80:83], v132 offset0:8 offset1:12
	s_waitcnt lgkmcnt(0)
	v_mfma_f32_16x16x16f16 a[0:3], v[80:81], v[26:27], a[0:3]
	v_mfma_f32_16x16x16f16 a[0:3], v[82:83], v[28:29], a[0:3]
	ds_read2_b64 v[80:83], v132 offset0:16 offset1:20
	s_waitcnt lgkmcnt(0)
	v_mfma_f32_16x16x16f16 a[0:3], v[80:81], v[22:23], a[0:3]
	;; [unrolled: 4-line block ×7, first 2 shown]
	v_mfma_f32_16x16x16f16 a[0:3], v[82:83], v[4:5], a[0:3]
	s_nop 7
	s_nop 2
	v_accvgpr_read_b32 v81, a3
	v_accvgpr_read_b32 v80, a2
	v_mfma_f32_16x16x16f16 a[2:5], v[102:103], v[30:31], 0
	v_mfma_f32_16x16x16f16 a[2:5], v[104:105], v[32:33], a[2:5]
	ds_read2_b64 v[30:33], v68 offset0:72 offset1:76
	s_waitcnt lgkmcnt(0)
	v_mfma_f32_16x16x16f16 a[2:5], v[30:31], v[26:27], a[2:5]
	v_mfma_f32_16x16x16f16 a[2:5], v[32:33], v[28:29], a[2:5]
	ds_read2_b64 v[26:29], v68 offset0:80 offset1:84
	s_waitcnt lgkmcnt(0)
	;; [unrolled: 4-line block ×6, first 2 shown]
	v_mfma_f32_16x16x16f16 a[2:5], v[10:11], v[6:7], a[2:5]
	v_accvgpr_read_b32 v11, a1
	v_accvgpr_read_b32 v10, a0
	v_mfma_f32_16x16x16f16 a[2:5], v[12:13], v[8:9], a[2:5]
	ds_read2_b64 v[6:9], v68 offset0:120 offset1:124
	s_waitcnt lgkmcnt(0)
	s_barrier
	v_mfma_f32_16x16x16f16 a[2:5], v[6:7], v[2:3], a[2:5]
	v_add_u32_e32 v2, 0x8400, v241
	ds_read2_b32 v[6:7], v2 offset1:1
	ds_read_b32 v2, v233 offset:33792
	ds_read_b32 v12, v204 offset:33792
	v_cndmask_b32_e32 v3, v75, v69, vcc
	v_cmp_lt_i32_e32 vcc, v73, v1
	v_cndmask_b32_e32 v1, v75, v73, vcc
	v_lshlrev_b32_e32 v73, 2, v1
	v_lshlrev_b32_e32 v3, 2, v3
	v_mfma_f32_16x16x16f16 a[2:5], v[8:9], v[4:5], a[2:5]
	s_waitcnt lgkmcnt(2)
	v_cvt_f32_f16_e32 v8, v6
	v_cvt_f32_f16_sdwa v9, v6 dst_sel:DWORD dst_unused:UNUSED_PAD src0_sel:WORD_1
	v_pk_add_f32 v[8:9], v[10:11], v[8:9]
	s_waitcnt lgkmcnt(0)
	v_cvt_f32_f16_sdwa v11, v12 dst_sel:DWORD dst_unused:UNUSED_PAD src0_sel:WORD_1
	v_cvt_f32_f16_e32 v10, v12
	v_add_f32_e32 v1, 0x40051340, v8
	v_add_f32_e32 v6, 0x40051340, v9
	v_max3_f32 v1, v78, v1, v6
	s_nop 0
	v_accvgpr_read_b32 v5, a5
	v_accvgpr_read_b32 v4, a4
	v_cvt_f32_f16_e32 v6, v7
	v_cvt_f32_f16_sdwa v7, v7 dst_sel:DWORD dst_unused:UNUSED_PAD src0_sel:WORD_1
	v_pk_add_f32 v[4:5], v[4:5], v[10:11]
	v_cvt_f32_f16_sdwa v11, v2 dst_sel:DWORD dst_unused:UNUSED_PAD src0_sel:WORD_1
	v_cvt_f32_f16_e32 v10, v2
	v_accvgpr_read_b32 v13, a3
	v_accvgpr_read_b32 v12, a2
	v_pk_add_f32 v[6:7], v[80:81], v[6:7]
	v_pk_add_f32 v[10:11], v[12:13], v[10:11]
	v_add_f32_e32 v13, 0x40051340, v6
	v_add_f32_e32 v16, 0x40051340, v7
	;; [unrolled: 1-line block ×4, first 2 shown]
	v_max3_f32 v1, v1, v13, v16
	v_add_f32_e32 v14, 0x40051340, v4
	v_add_f32_e32 v15, 0x40051340, v5
	v_max3_f32 v1, v1, v2, v12
	v_max3_f32 v1, v1, v14, v15
	ds_bpermute_b32 v2, v3, v1
	s_waitcnt lgkmcnt(0)
	v_max_f32_e32 v2, v2, v2
	v_max_f32_e32 v1, v1, v2
	ds_bpermute_b32 v2, v73, v1
	s_waitcnt lgkmcnt(0)
	v_max_f32_e32 v2, v2, v2
	v_max_f32_e32 v2, v1, v2
	v_pk_add_f32 v[8:9], v[8:9], v[2:3] op_sel_hi:[1,0] neg_lo:[0,1] neg_hi:[0,1]
	v_mul_f32_e32 v1, 0x3fb8aa3b, v9
	v_fma_f32 v12, v9, s43, -v1
	v_rndne_f32_e32 v13, v1
	v_fmac_f32_e32 v12, 0x32a5705f, v9
	v_sub_f32_e32 v1, v1, v13
	v_add_f32_e32 v1, v1, v12
	v_exp_f32_e32 v1, v1
	v_cvt_i32_f32_e32 v12, v13
	v_cmp_ngt_f32_e32 vcc, s65, v9
	v_pk_add_f32 v[6:7], v[6:7], v[2:3] op_sel_hi:[1,0] neg_lo:[0,1] neg_hi:[0,1]
	v_pk_add_f32 v[4:5], v[4:5], v[2:3] op_sel_hi:[1,0] neg_lo:[0,1] neg_hi:[0,1]
	v_ldexp_f32 v1, v1, v12
	v_cndmask_b32_e32 v1, 0, v1, vcc
	v_cmp_nlt_f32_e32 vcc, s95, v9
	v_cndmask_b32_e32 v9, v242, v1, vcc
	v_mul_f32_e32 v1, 0x3fb8aa3b, v8
	v_fma_f32 v12, v8, s43, -v1
	v_rndne_f32_e32 v13, v1
	v_fmac_f32_e32 v12, 0x32a5705f, v8
	v_sub_f32_e32 v1, v1, v13
	v_add_f32_e32 v1, v1, v12
	v_exp_f32_e32 v1, v1
	v_cvt_i32_f32_e32 v12, v13
	v_cmp_ngt_f32_e32 vcc, s65, v8
	v_ldexp_f32 v1, v1, v12
	v_cndmask_b32_e32 v1, 0, v1, vcc
	v_cmp_nlt_f32_e32 vcc, s95, v8
	v_cndmask_b32_e32 v8, v242, v1, vcc
	v_mul_f32_e32 v1, 0x3fb8aa3b, v7
	v_fma_f32 v12, v7, s43, -v1
	v_rndne_f32_e32 v13, v1
	v_fmac_f32_e32 v12, 0x32a5705f, v7
	v_sub_f32_e32 v1, v1, v13
	v_add_f32_e32 v1, v1, v12
	v_exp_f32_e32 v1, v1
	v_cvt_i32_f32_e32 v12, v13
	v_cmp_ngt_f32_e32 vcc, s65, v7
	;; [unrolled: 13-line block ×3, first 2 shown]
	v_ldexp_f32 v1, v1, v7
	v_cndmask_b32_e32 v1, 0, v1, vcc
	v_cmp_nlt_f32_e32 vcc, s95, v6
	v_pk_add_f32 v[6:7], v[10:11], v[2:3] op_sel_hi:[1,0] neg_lo:[0,1] neg_hi:[0,1]
	v_cndmask_b32_e32 v68, v242, v1, vcc
	v_mul_f32_e32 v1, 0x3fb8aa3b, v7
	v_fma_f32 v10, v7, s43, -v1
	v_rndne_f32_e32 v11, v1
	v_fmac_f32_e32 v10, 0x32a5705f, v7
	v_sub_f32_e32 v1, v1, v11
	v_add_f32_e32 v1, v1, v10
	v_exp_f32_e32 v1, v1
	v_cvt_i32_f32_e32 v10, v11
	v_cmp_ngt_f32_e32 vcc, s65, v7
	v_ldexp_f32 v1, v1, v10
	v_cndmask_b32_e32 v1, 0, v1, vcc
	v_cmp_nlt_f32_e32 vcc, s95, v7
	v_cndmask_b32_e32 v80, v242, v1, vcc
	v_mul_f32_e32 v1, 0x3fb8aa3b, v6
	v_fma_f32 v7, v6, s43, -v1
	v_rndne_f32_e32 v10, v1
	v_fmac_f32_e32 v7, 0x32a5705f, v6
	v_sub_f32_e32 v1, v1, v10
	v_add_f32_e32 v1, v1, v7
	v_exp_f32_e32 v1, v1
	v_cvt_i32_f32_e32 v7, v10
	v_cmp_ngt_f32_e32 vcc, s65, v6
	v_ldexp_f32 v1, v1, v7
	v_cndmask_b32_e32 v1, 0, v1, vcc
	v_cmp_nlt_f32_e32 vcc, s95, v6
	;; [unrolled: 13-line block ×4, first 2 shown]
	v_cndmask_b32_e32 v83, v242, v1, vcc
	v_add_f32_e32 v1, v8, v9
	v_add_f32_e32 v1, v68, v1
	;; [unrolled: 1-line block ×7, first 2 shown]
	v_sub_f32_e32 v1, v78, v2
	v_mul_f32_e32 v4, 0x3fb8aa3b, v1
	v_fma_f32 v5, v1, s43, -v4
	v_rndne_f32_e32 v6, v4
	v_fmac_f32_e32 v5, 0x32a5705f, v1
	v_sub_f32_e32 v4, v4, v6
	v_add_f32_e32 v4, v4, v5
	v_exp_f32_e32 v4, v4
	v_cvt_i32_f32_e32 v5, v6
	v_cmp_ngt_f32_e32 vcc, s65, v1
	v_cvt_f16_f32_e32 v8, v8
	v_cvt_f16_f32_e32 v9, v9
	v_ldexp_f32 v4, v4, v5
	v_cndmask_b32_e32 v4, 0, v4, vcc
	v_cmp_nlt_f32_e32 vcc, s95, v1
	v_cndmask_b32_e32 v4, v242, v4, vcc
	v_cmp_le_f32_e32 vcc, s54, v1
	v_cndmask_b32_e32 v1, 0, v4, vcc
	v_cvt_f16_f32_e32 v32, v1
	v_fmac_f32_e32 v75, v79, v1
	ds_bpermute_b32 v3, v3, v75
	v_pk_mul_f16 v4, v32, v89 op_sel_hi:[0,1]
	v_pk_mul_f16 v1, v32, v88 op_sel_hi:[0,1]
	;; [unrolled: 1-line block ×32, first 2 shown]
	v_pack_b32_f16 v32, v8, v9
	v_cvt_f16_f32_e32 v8, v33
	v_cvt_f16_f32_e32 v9, v68
	;; [unrolled: 1-line block ×3, first 2 shown]
	s_waitcnt lgkmcnt(0)
	v_add_f32_e32 v3, v75, v3
	v_pack_b32_f16 v33, v9, v8
	v_cvt_f16_f32_e32 v8, v80
	v_cvt_f16_f32_e32 v9, v81
	v_mov_b32_e32 v80, s9
	v_pack_b32_f16 v8, v9, v8
	v_cvt_f16_f32_e32 v9, v82
	v_mov_b32_e32 v82, s9
	v_pack_b32_f16 v9, v68, v9
	v_add_co_u32_e32 v68, vcc, s8, v36
	v_addc_co_u32_e32 v81, vcc, v80, v37, vcc
	v_add_co_u32_e32 v80, vcc, v68, v183
	v_addc_co_u32_e32 v81, vcc, 0, v81, vcc
	;; [unrolled: 2-line block ×4, first 2 shown]
	v_add_co_u32_e32 v68, vcc, s8, v40
	v_mov_b32_e32 v82, s9
	v_addc_co_u32_e32 v82, vcc, v82, v41, vcc
	v_add_co_u32_e32 v86, vcc, v68, v183
	v_addc_co_u32_e32 v87, vcc, 0, v82, vcc
	v_add_co_u32_e32 v68, vcc, s8, v42
	v_mov_b32_e32 v82, s9
	v_addc_co_u32_e32 v82, vcc, v82, v43, vcc
	v_add_co_u32_e32 v88, vcc, v68, v183
	v_addc_co_u32_e32 v89, vcc, 0, v82, vcc
	;; [unrolled: 5-line block ×6, first 2 shown]
	global_load_dwordx4 v[80:83], v[80:81], off
	s_cselect_b64 s[8:9], -1, 0
	s_xor_b64 s[72:73], s[0:1], -1
	s_or_b64 s[8:9], s[72:73], s[8:9]
	s_waitcnt vmcnt(0)
	ds_write_b128 v131, v[80:83]
	global_load_dwordx4 v[80:83], v[84:85], off
	s_waitcnt vmcnt(0)
	ds_write_b128 v217, v[80:83]
	global_load_dwordx4 v[80:83], v[86:87], off
	;; [unrolled: 3-line block ×7, first 2 shown]
	s_waitcnt vmcnt(0)
	ds_write_b128 v207, v[80:83]
	s_waitcnt lgkmcnt(0)
	s_barrier
	ds_read_u16 v68, v135 offset:528
	ds_read_u16 v84, v135 offset:1056
	v_cvt_f32_f16_e32 v82, v1
	v_cvt_f32_f16_sdwa v83, v1 dst_sel:DWORD dst_unused:UNUSED_PAD src0_sel:WORD_1
	ds_read_u16 v1, v136
	ds_read_u16 v86, v136 offset:32
	v_cvt_f32_f16_e32 v80, v4
	v_cvt_f32_f16_sdwa v81, v4 dst_sel:DWORD dst_unused:UNUSED_PAD src0_sel:WORD_1
	s_waitcnt lgkmcnt(1)
	v_perm_b32 v85, v1, v84, s53
	ds_read_u16 v1, v134
	ds_read_u16 v87, v134 offset:32
	v_accvgpr_write_b32 a0, v80
	v_accvgpr_write_b32 a1, v81
	;; [unrolled: 1-line block ×3, first 2 shown]
	s_waitcnt lgkmcnt(1)
	v_perm_b32 v84, v68, v1, s53
	v_accvgpr_write_b32 a3, v83
	s_nop 1
	v_mfma_f32_16x16x16f16 a[0:3], v[84:85], v[32:33], a[0:3]
	ds_read_u16 v84, v134 offset:16896
	ds_read_u16 v88, v208 offset:528
	;; [unrolled: 1-line block ×4, first 2 shown]
	s_waitcnt lgkmcnt(2)
	v_perm_b32 v84, v88, v84, s53
	s_waitcnt lgkmcnt(0)
	v_perm_b32 v85, v89, v85, s53
	s_nop 2
	v_accvgpr_read_b32 v1, a0
	v_cvt_f16_f32_e32 v1, v1
	v_accvgpr_read_b32 v4, a1
	v_accvgpr_read_b32 v68, a2
	;; [unrolled: 1-line block ×3, first 2 shown]
	v_cvt_f16_f32_e32 v4, v4
	v_cvt_f16_f32_e32 v68, v68
	;; [unrolled: 1-line block ×3, first 2 shown]
	v_cvt_f32_f16_e32 v80, v1
	v_cvt_f32_f16_e32 v81, v4
	;; [unrolled: 1-line block ×4, first 2 shown]
	v_accvgpr_write_b32 a0, v80
	v_accvgpr_write_b32 a1, v81
	;; [unrolled: 1-line block ×4, first 2 shown]
	v_cvt_f32_f16_sdwa v81, v6 dst_sel:DWORD dst_unused:UNUSED_PAD src0_sel:WORD_1
	v_cvt_f32_f16_e32 v82, v5
	v_mfma_f32_16x16x16f16 a[0:3], v[84:85], v[8:9], a[0:3]
	v_cvt_f32_f16_sdwa v83, v5 dst_sel:DWORD dst_unused:UNUSED_PAD src0_sel:WORD_1
	s_nop 7
	s_nop 1
	v_accvgpr_read_b32 v1, a0
	v_accvgpr_read_b32 v4, a1
	v_accvgpr_read_b32 v68, a2
	v_accvgpr_read_b32 v80, a3
	v_cvt_f16_f32_e32 v1, v1
	v_cvt_f16_f32_e32 v4, v4
	;; [unrolled: 1-line block ×4, first 2 shown]
	v_pack_b32_f16 v4, v1, v4
	v_pack_b32_f16 v1, v68, v80
	ds_read_u16 v68, v209 offset:528
	ds_read_u16 v84, v209 offset:1056
	v_cvt_f32_f16_e32 v80, v6
	s_waitcnt lgkmcnt(0)
	v_perm_b32 v85, v86, v84, s53
	v_perm_b32 v84, v68, v87, s53
	v_accvgpr_write_b32 a0, v80
	v_accvgpr_write_b32 a1, v81
	v_accvgpr_write_b32 a2, v82
	v_accvgpr_write_b32 a3, v83
	s_nop 1
	v_mfma_f32_16x16x16f16 a[0:3], v[84:85], v[32:33], a[0:3]
	ds_read_u16 v84, v137 offset:16896
	ds_read_u16 v86, v171 offset:528
	ds_read_u16 v85, v202 offset:1056
	ds_read_u16 v87, v252 offset:16896
	s_waitcnt lgkmcnt(2)
	v_perm_b32 v84, v86, v84, s53
	s_waitcnt lgkmcnt(0)
	v_perm_b32 v85, v87, v85, s53
	s_nop 2
	v_accvgpr_read_b32 v5, a0
	v_cvt_f16_f32_e32 v5, v5
	v_accvgpr_read_b32 v6, a1
	v_accvgpr_read_b32 v68, a2
	v_accvgpr_read_b32 v80, a3
	v_cvt_f16_f32_e32 v6, v6
	v_cvt_f16_f32_e32 v68, v68
	v_cvt_f16_f32_e32 v83, v80
	v_cvt_f32_f16_e32 v80, v5
	v_cvt_f32_f16_e32 v81, v6
	v_cvt_f32_f16_e32 v82, v68
	v_cvt_f32_f16_e32 v83, v83
	v_accvgpr_write_b32 a0, v80
	v_accvgpr_write_b32 a1, v81
	v_accvgpr_write_b32 a2, v82
	v_accvgpr_write_b32 a3, v83
	v_cvt_f32_f16_sdwa v81, v10 dst_sel:DWORD dst_unused:UNUSED_PAD src0_sel:WORD_1
	v_cvt_f32_f16_e32 v82, v7
	v_mfma_f32_16x16x16f16 a[0:3], v[84:85], v[8:9], a[0:3]
	v_cvt_f32_f16_sdwa v83, v7 dst_sel:DWORD dst_unused:UNUSED_PAD src0_sel:WORD_1
	s_nop 7
	s_nop 1
	v_accvgpr_read_b32 v5, a0
	v_accvgpr_read_b32 v6, a1
	v_accvgpr_read_b32 v68, a2
	v_accvgpr_read_b32 v80, a3
	v_cvt_f16_f32_e32 v5, v5
	v_cvt_f16_f32_e32 v6, v6
	v_cvt_f16_f32_e32 v68, v68
	v_cvt_f16_f32_e32 v80, v80
	v_pack_b32_f16 v6, v5, v6
	v_pack_b32_f16 v5, v68, v80
	ds_read_u16 v68, v134 offset:64
	ds_read_u16 v84, v203 offset:528
	ds_read_u16 v85, v203 offset:1056
	ds_read_u16 v86, v136 offset:64
	v_cvt_f32_f16_e32 v80, v10
	s_waitcnt lgkmcnt(2)
	v_perm_b32 v84, v84, v68, s53
	s_waitcnt lgkmcnt(0)
	v_perm_b32 v85, v86, v85, s53
	v_accvgpr_write_b32 a0, v80
	v_accvgpr_write_b32 a1, v81
	v_accvgpr_write_b32 a2, v82
	v_accvgpr_write_b32 a3, v83
	s_nop 1
	v_mfma_f32_16x16x16f16 a[0:3], v[84:85], v[32:33], a[0:3]
	ds_read_u16 v84, v236 offset:16896
	ds_read_u16 v86, v172 offset:528
	ds_read_u16 v85, v196 offset:1056
	ds_read_u16 v87, v133 offset:16896
	s_waitcnt lgkmcnt(2)
	v_perm_b32 v84, v86, v84, s53
	s_waitcnt lgkmcnt(0)
	v_perm_b32 v85, v87, v85, s53
	s_nop 2
	v_accvgpr_read_b32 v7, a0
	v_cvt_f16_f32_e32 v7, v7
	v_accvgpr_read_b32 v10, a1
	v_accvgpr_read_b32 v68, a2
	v_accvgpr_read_b32 v80, a3
	v_cvt_f16_f32_e32 v10, v10
	v_cvt_f16_f32_e32 v68, v68
	v_cvt_f16_f32_e32 v83, v80
	v_cvt_f32_f16_e32 v80, v7
	v_cvt_f32_f16_e32 v81, v10
	v_cvt_f32_f16_e32 v82, v68
	v_cvt_f32_f16_e32 v83, v83
	v_accvgpr_write_b32 a0, v80
	v_accvgpr_write_b32 a1, v81
	v_accvgpr_write_b32 a2, v82
	v_accvgpr_write_b32 a3, v83
	v_cvt_f32_f16_sdwa v81, v12 dst_sel:DWORD dst_unused:UNUSED_PAD src0_sel:WORD_1
	v_cvt_f32_f16_e32 v82, v11
	v_mfma_f32_16x16x16f16 a[0:3], v[84:85], v[8:9], a[0:3]
	v_cvt_f32_f16_sdwa v83, v11 dst_sel:DWORD dst_unused:UNUSED_PAD src0_sel:WORD_1
	s_nop 7
	s_nop 1
	v_accvgpr_read_b32 v7, a0
	v_accvgpr_read_b32 v10, a1
	v_accvgpr_read_b32 v68, a2
	v_accvgpr_read_b32 v80, a3
	v_cvt_f16_f32_e32 v7, v7
	v_cvt_f16_f32_e32 v10, v10
	v_cvt_f16_f32_e32 v68, v68
	v_cvt_f16_f32_e32 v80, v80
	v_pack_b32_f16 v10, v7, v10
	v_pack_b32_f16 v7, v68, v80
	ds_read_u16 v68, v134 offset:96
	ds_read_u16 v84, v205 offset:528
	ds_read_u16 v85, v205 offset:1056
	ds_read_u16 v86, v136 offset:96
	v_cvt_f32_f16_e32 v80, v12
	s_waitcnt lgkmcnt(2)
	v_perm_b32 v84, v84, v68, s53
	s_waitcnt lgkmcnt(0)
	;; [unrolled: 56-line block ×11, first 2 shown]
	v_perm_b32 v85, v86, v85, s53
	v_accvgpr_write_b32 a0, v80
	v_accvgpr_write_b32 a1, v81
	;; [unrolled: 1-line block ×4, first 2 shown]
	s_nop 1
	v_mfma_f32_16x16x16f16 a[0:3], v[84:85], v[32:33], a[0:3]
	ds_read_u16 v84, v159 offset:16896
	ds_read_u16 v86, v184 offset:528
	ds_read_u16 v85, v244 offset:1056
	ds_read_u16 v87, v167 offset:16896
	s_waitcnt lgkmcnt(2)
	v_perm_b32 v84, v86, v84, s53
	s_waitcnt lgkmcnt(0)
	v_perm_b32 v85, v87, v85, s53
	s_nop 2
	v_accvgpr_read_b32 v29, a0
	v_cvt_f16_f32_e32 v29, v29
	v_accvgpr_read_b32 v30, a1
	v_accvgpr_read_b32 v68, a2
	;; [unrolled: 1-line block ×3, first 2 shown]
	v_cvt_f16_f32_e32 v30, v30
	v_cvt_f16_f32_e32 v68, v68
	;; [unrolled: 1-line block ×3, first 2 shown]
	v_cvt_f32_f16_e32 v80, v29
	v_cvt_f32_f16_e32 v81, v30
	;; [unrolled: 1-line block ×4, first 2 shown]
	v_accvgpr_write_b32 a0, v80
	v_accvgpr_write_b32 a1, v81
	v_accvgpr_write_b32 a2, v82
	v_accvgpr_write_b32 a3, v83
	v_cvt_f32_f16_e32 v82, v78
	v_cvt_f32_f16_sdwa v83, v78 dst_sel:DWORD dst_unused:UNUSED_PAD src0_sel:WORD_1
	v_mfma_f32_16x16x16f16 a[0:3], v[84:85], v[8:9], a[0:3]
	v_cvt_f32_f16_e32 v84, v31
	v_cvt_f32_f16_sdwa v85, v31 dst_sel:DWORD dst_unused:UNUSED_PAD src0_sel:WORD_1
	s_nop 7
	s_nop 0
	v_accvgpr_read_b32 v29, a0
	v_accvgpr_read_b32 v30, a1
	;; [unrolled: 1-line block ×4, first 2 shown]
	v_cvt_f16_f32_e32 v29, v29
	v_cvt_f16_f32_e32 v30, v30
	;; [unrolled: 1-line block ×4, first 2 shown]
	v_accvgpr_write_b32 a0, v82
	v_pack_b32_f16 v30, v29, v30
	v_accvgpr_write_b32 a1, v83
	v_pack_b32_f16 v29, v68, v80
	ds_read_u16 v68, v134 offset:416
	ds_read_u16 v80, v194 offset:528
	;; [unrolled: 1-line block ×4, first 2 shown]
	v_accvgpr_write_b32 a2, v84
	v_accvgpr_write_b32 a3, v85
	s_waitcnt lgkmcnt(2)
	v_perm_b32 v80, v80, v68, s53
	s_waitcnt lgkmcnt(0)
	v_perm_b32 v81, v86, v81, s53
	ds_read_u16 v84, v161 offset:16896
	ds_read_u16 v86, v185 offset:528
	ds_read_u16 v85, v245 offset:1056
	ds_read_u16 v87, v168 offset:16896
	v_mfma_f32_16x16x16f16 a[0:3], v[80:81], v[32:33], a[0:3]
	s_waitcnt lgkmcnt(0)
	v_perm_b32 v85, v87, v85, s53
	v_perm_b32 v84, v86, v84, s53
	s_nop 7
	v_accvgpr_read_b32 v31, a0
	v_cvt_f16_f32_e32 v31, v31
	v_accvgpr_read_b32 v68, a1
	v_accvgpr_read_b32 v78, a2
	;; [unrolled: 1-line block ×3, first 2 shown]
	v_cvt_f16_f32_e32 v68, v68
	v_cvt_f16_f32_e32 v78, v78
	;; [unrolled: 1-line block ×3, first 2 shown]
	v_cvt_f32_f16_e32 v80, v31
	v_cvt_f32_f16_e32 v81, v68
	;; [unrolled: 1-line block ×4, first 2 shown]
	v_accvgpr_write_b32 a0, v80
	v_accvgpr_write_b32 a1, v81
	;; [unrolled: 1-line block ×4, first 2 shown]
	v_cvt_f32_f16_e32 v82, v69
	v_cvt_f32_f16_sdwa v83, v69 dst_sel:DWORD dst_unused:UNUSED_PAD src0_sel:WORD_1
	v_mfma_f32_16x16x16f16 a[0:3], v[84:85], v[8:9], a[0:3]
	s_nop 7
	s_nop 2
	v_accvgpr_read_b32 v31, a0
	v_accvgpr_read_b32 v68, a1
	v_cvt_f16_f32_e32 v31, v31
	v_cvt_f16_f32_e32 v68, v68
	v_accvgpr_read_b32 v78, a2
	v_cvt_f16_f32_e32 v80, v78
	v_accvgpr_read_b32 v78, a3
	v_cvt_f16_f32_e32 v81, v78
	v_pack_b32_f16 v78, v31, v68
	ds_read_u16 v68, v134 offset:448
	ds_read_u16 v84, v34 offset:528
	ds_read_u16 v85, v34 offset:1056
	ds_read_u16 v86, v136 offset:448
	v_pack_b32_f16 v31, v80, v81
	v_cvt_f32_f16_e32 v80, v79
	v_cvt_f32_f16_sdwa v81, v79 dst_sel:DWORD dst_unused:UNUSED_PAD src0_sel:WORD_1
	s_waitcnt lgkmcnt(0)
	v_perm_b32 v69, v86, v85, s53
	v_perm_b32 v68, v84, v68, s53
	v_accvgpr_write_b32 a0, v80
	v_accvgpr_write_b32 a1, v81
	;; [unrolled: 1-line block ×4, first 2 shown]
	ds_read_u16 v84, v163 offset:16896
	ds_read_u16 v85, v222 offset:528
	;; [unrolled: 1-line block ×4, first 2 shown]
	v_mfma_f32_16x16x16f16 a[0:3], v[68:69], v[32:33], a[0:3]
	s_nop 7
	s_nop 2
	v_accvgpr_read_b32 v68, a0
	v_cvt_f16_f32_e32 v68, v68
	v_accvgpr_read_b32 v69, a1
	v_accvgpr_read_b32 v79, a2
	;; [unrolled: 1-line block ×3, first 2 shown]
	v_cvt_f16_f32_e32 v69, v69
	v_cvt_f16_f32_e32 v79, v79
	;; [unrolled: 1-line block ×3, first 2 shown]
	v_cvt_f32_f16_e32 v80, v68
	v_cvt_f32_f16_e32 v81, v69
	v_cvt_f32_f16_e32 v82, v79
	v_cvt_f32_f16_e32 v83, v83
	s_waitcnt lgkmcnt(0)
	v_perm_b32 v69, v87, v86, s53
	v_perm_b32 v68, v85, v84, s53
	v_accvgpr_write_b32 a0, v80
	v_accvgpr_write_b32 a1, v81
	;; [unrolled: 1-line block ×4, first 2 shown]
	v_cvt_f32_f16_e32 v82, v74
	v_cvt_f32_f16_sdwa v83, v74 dst_sel:DWORD dst_unused:UNUSED_PAD src0_sel:WORD_1
	v_mfma_f32_16x16x16f16 a[0:3], v[68:69], v[8:9], a[0:3]
	v_cvt_f32_f16_e32 v84, v72
	v_cvt_f32_f16_sdwa v85, v72 dst_sel:DWORD dst_unused:UNUSED_PAD src0_sel:WORD_1
	s_nop 7
	s_nop 0
	v_accvgpr_read_b32 v68, a0
	v_accvgpr_read_b32 v69, a1
	;; [unrolled: 1-line block ×4, first 2 shown]
	v_cvt_f16_f32_e32 v68, v68
	v_cvt_f16_f32_e32 v69, v69
	v_cvt_f16_f32_e32 v79, v79
	v_cvt_f16_f32_e32 v81, v80
	v_accvgpr_write_b32 a0, v82
	v_pack_b32_f16 v80, v68, v69
	v_accvgpr_write_b32 a1, v83
	v_pack_b32_f16 v69, v79, v81
	ds_read_u16 v68, v134 offset:480
	ds_read_u16 v79, v250 offset:528
	;; [unrolled: 1-line block ×4, first 2 shown]
	v_accvgpr_write_b32 a2, v84
	v_accvgpr_write_b32 a3, v85
	s_waitcnt lgkmcnt(0)
	v_perm_b32 v87, v86, v81, s53
	v_perm_b32 v86, v79, v68, s53
	s_nop 1
	v_mfma_f32_16x16x16f16 a[0:3], v[86:87], v[32:33], a[0:3]
	ds_read_u16 v74, v165 offset:16896
	ds_read_u16 v79, v216 offset:528
	ds_read_u16 v81, v247 offset:1056
	ds_read_u16 v86, v170 offset:16896
	s_waitcnt lgkmcnt(0)
	s_barrier
	s_nop 4
	v_accvgpr_read_b32 v32, a0
	v_cvt_f16_f32_e32 v32, v32
	v_accvgpr_read_b32 v33, a1
	v_accvgpr_read_b32 v68, a2
	;; [unrolled: 1-line block ×3, first 2 shown]
	v_cvt_f16_f32_e32 v33, v33
	v_cvt_f16_f32_e32 v68, v68
	;; [unrolled: 1-line block ×3, first 2 shown]
	v_cvt_f32_f16_e32 v82, v32
	v_cvt_f32_f16_e32 v83, v33
	;; [unrolled: 1-line block ×4, first 2 shown]
	v_perm_b32 v33, v86, v81, s53
	v_perm_b32 v32, v79, v74, s53
	v_accvgpr_write_b32 a0, v82
	v_accvgpr_write_b32 a1, v83
	v_accvgpr_write_b32 a2, v84
	v_accvgpr_write_b32 a3, v85
	s_nop 1
	v_mfma_f32_16x16x16f16 a[0:3], v[32:33], v[8:9], a[0:3]
	s_nop 7
	s_nop 2
	v_accvgpr_read_b32 v8, a0
	v_accvgpr_read_b32 v9, a1
	v_accvgpr_read_b32 v32, a2
	v_accvgpr_read_b32 v33, a3
	v_cvt_f16_f32_e32 v8, v8
	v_cvt_f16_f32_e32 v9, v9
	v_cvt_f16_f32_e32 v32, v32
	v_cvt_f16_f32_e32 v33, v33
	v_pack_b32_f16 v8, v8, v9
	v_pack_b32_f16 v9, v32, v33
	ds_bpermute_b32 v32, v73, v3
	s_waitcnt lgkmcnt(0)
	v_add_f32_e32 v3, v3, v32
	s_and_saveexec_b64 s[72:73], s[8:9]
	s_xor_b64 s[8:9], exec, s[72:73]
	s_andn2_saveexec_b64 s[8:9], s[8:9]
	s_cbranch_execz .LBB29_59
; %bb.58:                               ;   in Loop: Header=BB29_14 Depth=1
	v_accvgpr_read_b32 v32, a154
	v_lshlrev_b32_e32 v32, 2, v32
	global_load_dword v33, v32, s[70:71]
	v_max_f32_e32 v68, v2, v2
	s_waitcnt vmcnt(0)
	v_max_f32_e32 v32, v33, v33
	v_max_f32_e32 v32, v68, v32
	v_sub_f32_e32 v2, v2, v32
	v_mul_f32_e32 v68, 0x3fb8aa3b, v2
	v_fma_f32 v72, v2, s43, -v68
	v_rndne_f32_e32 v74, v68
	v_fmac_f32_e32 v72, 0x32a5705f, v2
	v_sub_f32_e32 v68, v68, v74
	v_add_f32_e32 v68, v68, v72
	v_exp_f32_e32 v68, v68
	v_cvt_i32_f32_e32 v72, v74
	v_cmp_ngt_f32_e32 vcc, s65, v2
	v_sub_f32_e32 v33, v33, v32
	v_ldexp_f32 v68, v68, v72
	v_cndmask_b32_e32 v68, 0, v68, vcc
	v_cmp_nlt_f32_e32 vcc, s95, v2
	v_cndmask_b32_e32 v68, v242, v68, vcc
	v_cmp_le_f32_e32 vcc, s54, v2
	v_cndmask_b32_e32 v2, 0, v68, vcc
	v_cvt_f16_f32_e32 v68, v2
	v_cmp_ngt_f32_e32 vcc, s65, v33
	v_pk_mul_f16 v4, v68, v4 op_sel_hi:[0,1]
	v_pk_mul_f16 v1, v68, v1 op_sel_hi:[0,1]
	;; [unrolled: 1-line block ×32, first 2 shown]
	v_mul_f32_e32 v68, 0x3fb8aa3b, v33
	v_fma_f32 v72, v33, s43, -v68
	v_rndne_f32_e32 v74, v68
	v_fmac_f32_e32 v72, 0x32a5705f, v33
	v_sub_f32_e32 v68, v68, v74
	v_add_f32_e32 v68, v68, v72
	v_exp_f32_e32 v68, v68
	v_cvt_i32_f32_e32 v72, v74
	v_ldexp_f32 v68, v68, v72
	v_cndmask_b32_e32 v68, 0, v68, vcc
	v_cmp_nlt_f32_e32 vcc, s95, v33
	v_cndmask_b32_e32 v33, v242, v68, vcc
	v_fmac_f32_e32 v33, v3, v2
	v_pk_mov_b32 v[2:3], v[32:33], v[32:33] op_sel:[0,1]
.LBB29_59:                              ;   in Loop: Header=BB29_14 Depth=1
	s_or_b64 exec, exec, s[8:9]
	s_and_saveexec_b64 s[8:9], s[4:5]
	s_cbranch_execz .LBB29_61
; %bb.60:                               ;   in Loop: Header=BB29_14 Depth=1
	v_accvgpr_read_b32 v32, a27
	v_add_u32_e32 v32, 0, v32
	ds_write2_b32 v32, v2, v3 offset0:128 offset1:129
.LBB29_61:                              ;   in Loop: Header=BB29_14 Depth=1
	s_or_b64 exec, exec, s[8:9]
	s_waitcnt lgkmcnt(0)
	s_barrier
	s_and_saveexec_b64 s[8:9], s[2:3]
	s_xor_b64 s[8:9], exec, s[8:9]
	s_cbranch_execz .LBB29_63
; %bb.62:                               ;   in Loop: Header=BB29_14 Depth=1
	s_barrier
	s_waitcnt lgkmcnt(0)
                                        ; implicit-def: $vgpr73
.LBB29_63:                              ;   in Loop: Header=BB29_14 Depth=1
	s_andn2_saveexec_b64 s[8:9], s[8:9]
	s_cbranch_execz .LBB29_69
; %bb.64:                               ;   in Loop: Header=BB29_14 Depth=1
	v_accvgpr_read_b32 v2, a28
	v_add_u32_e32 v3, 0, v2
	ds_read_b64 v[74:75], v3 offset:512
	s_waitcnt lgkmcnt(0)
	s_barrier
	ds_bpermute_b32 v2, v73, v74
	v_max_f32_e32 v32, v74, v74
	s_waitcnt lgkmcnt(0)
	v_max_f32_e32 v2, v2, v2
	v_max_f32_e32 v2, v32, v2
	v_sub_f32_e32 v32, v74, v2
	v_mul_f32_e32 v33, 0x3fb8aa3b, v32
	v_fma_f32 v68, v32, s43, -v33
	v_rndne_f32_e32 v72, v33
	v_fmac_f32_e32 v68, 0x32a5705f, v32
	v_sub_f32_e32 v33, v33, v72
	v_add_f32_e32 v33, v33, v68
	v_cvt_i32_f32_e32 v72, v72
	v_exp_f32_e32 v33, v33
	v_cmp_ngt_f32_e32 vcc, s65, v32
	v_ldexp_f32 v33, v33, v72
	v_cndmask_b32_e32 v33, 0, v33, vcc
	v_cmp_nlt_f32_e32 vcc, s95, v32
	v_cndmask_b32_e32 v32, v242, v33, vcc
	v_mul_f32_e32 v33, v75, v32
	ds_bpermute_b32 v33, v73, v33
	s_waitcnt lgkmcnt(0)
	v_fmac_f32_e32 v33, v75, v32
	s_mov_b64 s[72:73], exec
	v_readlane_b32 s74, v255, 14
	v_readlane_b32 s75, v255, 15
	s_and_b64 s[74:75], s[72:73], s[74:75]
	s_mov_b64 exec, s[74:75]
	s_cbranch_execz .LBB29_66
; %bb.65:                               ;   in Loop: Header=BB29_14 Depth=1
	ds_write_b64 v3, v[32:33] offset:512
.LBB29_66:                              ;   in Loop: Header=BB29_14 Depth=1
	s_or_b64 exec, exec, s[72:73]
	s_and_saveexec_b64 s[72:73], s[4:5]
	s_cbranch_execz .LBB29_68
; %bb.67:                               ;   in Loop: Header=BB29_14 Depth=1
	v_mov_b32_e32 v3, v33
	v_accvgpr_read_b32 v33, a23
	v_accvgpr_read_b32 v32, a22
	global_store_dwordx2 v[32:33], v[2:3], off
.LBB29_68:                              ;   in Loop: Header=BB29_14 Depth=1
	s_or_b64 exec, exec, s[72:73]
.LBB29_69:                              ;   in Loop: Header=BB29_14 Depth=1
	s_or_b64 exec, exec, s[8:9]
	ds_write2_b32 v237, v4, v1 offset1:1
	ds_write2_b32 v237, v6, v5 offset0:8 offset1:9
	ds_write2_b32 v237, v10, v7 offset0:16 offset1:17
	;; [unrolled: 1-line block ×15, first 2 shown]
	s_waitcnt lgkmcnt(0)
	s_barrier
	s_and_saveexec_b64 s[72:73], s[0:1]
	s_cbranch_execz .LBB29_147
; %bb.70:                               ;   in Loop: Header=BB29_14 Depth=1
	v_accvgpr_read_b32 v1, a150
	v_add_u32_e32 v2, s92, v1
	v_or_b32_e32 v1, s64, v144
	v_cmp_gt_i32_e64 s[8:9], s28, v2
	v_cmp_gt_i32_e32 vcc, s78, v1
	s_and_b64 s[8:9], s[8:9], vcc
	v_mov_b32_e32 v1, 0x47
	s_and_saveexec_b64 s[74:75], s[8:9]
	s_cbranch_execz .LBB29_72
; %bb.71:                               ;   in Loop: Header=BB29_14 Depth=1
	v_accvgpr_read_b32 v1, a31
	v_add_u32_e32 v1, 0, v1
	v_mad_u64_u32 v[2:3], s[8:9], v2, s29, v[144:145]
	ds_read2st64_b32 v[4:5], v1 offset0:2 offset1:35
	v_accvgpr_read_b32 v1, a30
	ds_read2st64_b32 v[6:7], v1 offset1:1
	ds_read_b32 v1, v1 offset:8448
	v_lshl_add_u32 v2, v2, 7, v232
	v_ashrrev_i32_e32 v3, 31, v2
	v_lshlrev_b64 v[2:3], 3, v[2:3]
	v_add_co_u32_e64 v2, s[8:9], s6, v2
	v_mov_b32_e32 v8, s87
	v_addc_co_u32_e64 v3, s[8:9], v8, v3, s[8:9]
	s_waitcnt lgkmcnt(1)
	v_cvt_f32_f16_sdwa v9, v6 dst_sel:DWORD dst_unused:UNUSED_PAD src0_sel:WORD_1
	v_cvt_f32_f16_e32 v8, v6
	s_waitcnt lgkmcnt(0)
	v_cvt_f32_f16_sdwa v11, v1 dst_sel:DWORD dst_unused:UNUSED_PAD src0_sel:WORD_1
	v_cvt_f32_f16_e32 v10, v1
	v_mov_b32_e32 v6, v5
	v_pk_fma_f32 v[8:9], v[4:5], v[8:9], 0 op_sel_hi:[0,1,0]
	v_accvgpr_read_b32 v1, a32
	v_pk_fma_f32 v[8:9], v[6:7], v[10:11], v[8:9] op_sel_hi:[0,1,1]
	ds_read_b32 v1, v1 offset:8448
	global_store_dwordx2 v[2:3], v[8:9], off
	v_cvt_f32_f16_sdwa v9, v7 dst_sel:DWORD dst_unused:UNUSED_PAD src0_sel:WORD_1
	v_cvt_f32_f16_e32 v8, v7
	v_pk_fma_f32 v[4:5], v[4:5], v[8:9], 0 op_sel_hi:[0,1,0]
	s_waitcnt lgkmcnt(0)
	v_cvt_f32_f16_sdwa v9, v1 dst_sel:DWORD dst_unused:UNUSED_PAD src0_sel:WORD_1
	v_cvt_f32_f16_e32 v8, v1
	v_mov_b32_e32 v1, 0
	v_pk_fma_f32 v[4:5], v[6:7], v[8:9], v[4:5] op_sel_hi:[0,1,1]
	global_store_dwordx2 v[2:3], v[4:5], off offset:512
.LBB29_72:                              ;   in Loop: Header=BB29_14 Depth=1
	s_or_b64 exec, exec, s[74:75]
	s_movk_i32 s8, 0x47
	v_cmp_gt_i32_e64 s[8:9], s8, v1
	s_mov_b64 s[74:75], -1
	s_and_saveexec_b64 s[76:77], s[8:9]
; %bb.73:                               ;   in Loop: Header=BB29_14 Depth=1
	v_cmp_eq_u32_e64 s[8:9], 0, v1
	s_orn2_b64 s[74:75], s[8:9], exec
; %bb.74:                               ;   in Loop: Header=BB29_14 Depth=1
	s_or_b64 exec, exec, s[76:77]
	s_and_b64 exec, exec, s[74:75]
	s_cbranch_execz .LBB29_147
; %bb.75:                               ;   in Loop: Header=BB29_14 Depth=1
	v_accvgpr_read_b32 v1, a33
	v_add_u32_e32 v2, s92, v1
	v_cmp_gt_i32_e64 s[8:9], s28, v2
	s_and_b64 s[8:9], s[8:9], vcc
	v_mov_b32_e32 v1, 0x47
	s_and_saveexec_b64 s[74:75], s[8:9]
	s_cbranch_execz .LBB29_77
; %bb.76:                               ;   in Loop: Header=BB29_14 Depth=1
	v_accvgpr_read_b32 v1, a35
	v_add_u32_e32 v1, 0, v1
	v_mad_u64_u32 v[2:3], s[8:9], v2, s29, v[144:145]
	ds_read2st64_b32 v[4:5], v1 offset0:2 offset1:35
	v_accvgpr_read_b32 v1, a34
	ds_read2st64_b32 v[6:7], v1 offset1:1
	ds_read_b32 v1, v1 offset:8448
	v_lshl_add_u32 v2, v2, 7, v232
	v_ashrrev_i32_e32 v3, 31, v2
	v_lshlrev_b64 v[2:3], 3, v[2:3]
	v_add_co_u32_e64 v2, s[8:9], s6, v2
	v_mov_b32_e32 v8, s87
	v_addc_co_u32_e64 v3, s[8:9], v8, v3, s[8:9]
	s_waitcnt lgkmcnt(1)
	v_cvt_f32_f16_sdwa v9, v6 dst_sel:DWORD dst_unused:UNUSED_PAD src0_sel:WORD_1
	v_cvt_f32_f16_e32 v8, v6
	s_waitcnt lgkmcnt(0)
	v_cvt_f32_f16_sdwa v11, v1 dst_sel:DWORD dst_unused:UNUSED_PAD src0_sel:WORD_1
	v_cvt_f32_f16_e32 v10, v1
	v_mov_b32_e32 v6, v5
	v_pk_fma_f32 v[8:9], v[4:5], v[8:9], 0 op_sel_hi:[0,1,0]
	v_accvgpr_read_b32 v1, a36
	v_pk_fma_f32 v[8:9], v[6:7], v[10:11], v[8:9] op_sel_hi:[0,1,1]
	ds_read_b32 v1, v1 offset:8448
	global_store_dwordx2 v[2:3], v[8:9], off
	v_cvt_f32_f16_sdwa v9, v7 dst_sel:DWORD dst_unused:UNUSED_PAD src0_sel:WORD_1
	v_cvt_f32_f16_e32 v8, v7
	v_pk_fma_f32 v[4:5], v[4:5], v[8:9], 0 op_sel_hi:[0,1,0]
	s_waitcnt lgkmcnt(0)
	v_cvt_f32_f16_sdwa v9, v1 dst_sel:DWORD dst_unused:UNUSED_PAD src0_sel:WORD_1
	v_cvt_f32_f16_e32 v8, v1
	v_mov_b32_e32 v1, 0
	v_pk_fma_f32 v[4:5], v[6:7], v[8:9], v[4:5] op_sel_hi:[0,1,1]
	global_store_dwordx2 v[2:3], v[4:5], off offset:512
.LBB29_77:                              ;   in Loop: Header=BB29_14 Depth=1
	s_or_b64 exec, exec, s[74:75]
	s_movk_i32 s8, 0x47
	v_cmp_gt_i32_e64 s[8:9], s8, v1
	s_mov_b64 s[74:75], -1
	s_and_saveexec_b64 s[76:77], s[8:9]
; %bb.78:                               ;   in Loop: Header=BB29_14 Depth=1
	v_cmp_eq_u32_e64 s[8:9], 0, v1
	s_orn2_b64 s[74:75], s[8:9], exec
; %bb.79:                               ;   in Loop: Header=BB29_14 Depth=1
	s_or_b64 exec, exec, s[76:77]
	s_and_b64 exec, exec, s[74:75]
	s_cbranch_execz .LBB29_147
; %bb.80:                               ;   in Loop: Header=BB29_14 Depth=1
	v_accvgpr_read_b32 v1, a37
	v_add_u32_e32 v2, s92, v1
	v_cmp_gt_i32_e64 s[8:9], s28, v2
	;; [unrolled: 56-line block ×5, first 2 shown]
	s_and_b64 s[8:9], s[8:9], vcc
	v_mov_b32_e32 v1, 0x47
	s_and_saveexec_b64 s[74:75], s[8:9]
	s_cbranch_execz .LBB29_97
; %bb.96:                               ;   in Loop: Header=BB29_14 Depth=1
	v_accvgpr_read_b32 v1, a51
	v_add_u32_e32 v1, 0, v1
	v_mad_u64_u32 v[2:3], s[8:9], v2, s29, v[144:145]
	ds_read2st64_b32 v[4:5], v1 offset0:2 offset1:35
	v_accvgpr_read_b32 v1, a50
	ds_read2st64_b32 v[6:7], v1 offset1:1
	ds_read_b32 v1, v1 offset:8448
	v_lshl_add_u32 v2, v2, 7, v232
	v_ashrrev_i32_e32 v3, 31, v2
	v_lshlrev_b64 v[2:3], 3, v[2:3]
	v_add_co_u32_e64 v2, s[8:9], s6, v2
	v_mov_b32_e32 v8, s87
	v_addc_co_u32_e64 v3, s[8:9], v8, v3, s[8:9]
	s_waitcnt lgkmcnt(1)
	v_cvt_f32_f16_sdwa v9, v6 dst_sel:DWORD dst_unused:UNUSED_PAD src0_sel:WORD_1
	v_cvt_f32_f16_e32 v8, v6
	s_waitcnt lgkmcnt(0)
	v_cvt_f32_f16_sdwa v11, v1 dst_sel:DWORD dst_unused:UNUSED_PAD src0_sel:WORD_1
	v_cvt_f32_f16_e32 v10, v1
	v_mov_b32_e32 v6, v5
	v_pk_fma_f32 v[8:9], v[4:5], v[8:9], 0 op_sel_hi:[0,1,0]
	v_accvgpr_read_b32 v1, a52
	v_pk_fma_f32 v[8:9], v[6:7], v[10:11], v[8:9] op_sel_hi:[0,1,1]
	ds_read_b32 v1, v1 offset:8448
	global_store_dwordx2 v[2:3], v[8:9], off
	v_cvt_f32_f16_sdwa v9, v7 dst_sel:DWORD dst_unused:UNUSED_PAD src0_sel:WORD_1
	v_cvt_f32_f16_e32 v8, v7
	v_pk_fma_f32 v[4:5], v[4:5], v[8:9], 0 op_sel_hi:[0,1,0]
	s_waitcnt lgkmcnt(0)
	v_cvt_f32_f16_sdwa v9, v1 dst_sel:DWORD dst_unused:UNUSED_PAD src0_sel:WORD_1
	v_cvt_f32_f16_e32 v8, v1
	v_mov_b32_e32 v1, 0
	v_pk_fma_f32 v[4:5], v[6:7], v[8:9], v[4:5] op_sel_hi:[0,1,1]
	global_store_dwordx2 v[2:3], v[4:5], off offset:512
.LBB29_97:                              ;   in Loop: Header=BB29_14 Depth=1
	s_or_b64 exec, exec, s[74:75]
	s_movk_i32 s8, 0x47
	v_cmp_gt_i32_e64 s[8:9], s8, v1
	s_mov_b64 s[74:75], -1
	s_and_saveexec_b64 s[76:77], s[8:9]
; %bb.98:                               ;   in Loop: Header=BB29_14 Depth=1
	v_cmp_eq_u32_e64 s[8:9], 0, v1
	s_orn2_b64 s[74:75], s[8:9], exec
; %bb.99:                               ;   in Loop: Header=BB29_14 Depth=1
	s_or_b64 exec, exec, s[76:77]
	s_and_b64 exec, exec, s[74:75]
	s_cbranch_execz .LBB29_147
; %bb.100:                              ;   in Loop: Header=BB29_14 Depth=1
	v_accvgpr_read_b32 v1, a53
	v_add_u32_e32 v2, s92, v1
	v_cmp_gt_i32_e64 s[8:9], s28, v2
	s_and_b64 s[8:9], s[8:9], vcc
	v_mov_b32_e32 v1, 0x47
	s_and_saveexec_b64 s[74:75], s[8:9]
	s_cbranch_execz .LBB29_102
; %bb.101:                              ;   in Loop: Header=BB29_14 Depth=1
	v_accvgpr_read_b32 v1, a55
	v_add_u32_e32 v1, 0, v1
	v_mad_u64_u32 v[2:3], s[8:9], v2, s29, v[144:145]
	ds_read2st64_b32 v[4:5], v1 offset0:2 offset1:35
	v_accvgpr_read_b32 v1, a54
	ds_read2st64_b32 v[6:7], v1 offset1:1
	ds_read_b32 v1, v1 offset:8448
	v_lshl_add_u32 v2, v2, 7, v232
	v_ashrrev_i32_e32 v3, 31, v2
	v_lshlrev_b64 v[2:3], 3, v[2:3]
	v_add_co_u32_e64 v2, s[8:9], s6, v2
	v_mov_b32_e32 v8, s87
	v_addc_co_u32_e64 v3, s[8:9], v8, v3, s[8:9]
	s_waitcnt lgkmcnt(1)
	v_cvt_f32_f16_sdwa v9, v6 dst_sel:DWORD dst_unused:UNUSED_PAD src0_sel:WORD_1
	v_cvt_f32_f16_e32 v8, v6
	s_waitcnt lgkmcnt(0)
	v_cvt_f32_f16_sdwa v11, v1 dst_sel:DWORD dst_unused:UNUSED_PAD src0_sel:WORD_1
	v_cvt_f32_f16_e32 v10, v1
	v_mov_b32_e32 v6, v5
	v_pk_fma_f32 v[8:9], v[4:5], v[8:9], 0 op_sel_hi:[0,1,0]
	v_accvgpr_read_b32 v1, a56
	v_pk_fma_f32 v[8:9], v[6:7], v[10:11], v[8:9] op_sel_hi:[0,1,1]
	ds_read_b32 v1, v1 offset:8448
	global_store_dwordx2 v[2:3], v[8:9], off
	v_cvt_f32_f16_sdwa v9, v7 dst_sel:DWORD dst_unused:UNUSED_PAD src0_sel:WORD_1
	v_cvt_f32_f16_e32 v8, v7
	v_pk_fma_f32 v[4:5], v[4:5], v[8:9], 0 op_sel_hi:[0,1,0]
	s_waitcnt lgkmcnt(0)
	v_cvt_f32_f16_sdwa v9, v1 dst_sel:DWORD dst_unused:UNUSED_PAD src0_sel:WORD_1
	v_cvt_f32_f16_e32 v8, v1
	v_mov_b32_e32 v1, 0
	v_pk_fma_f32 v[4:5], v[6:7], v[8:9], v[4:5] op_sel_hi:[0,1,1]
	global_store_dwordx2 v[2:3], v[4:5], off offset:512
.LBB29_102:                             ;   in Loop: Header=BB29_14 Depth=1
	s_or_b64 exec, exec, s[74:75]
	s_movk_i32 s8, 0x47
	v_cmp_gt_i32_e64 s[8:9], s8, v1
	s_mov_b64 s[74:75], -1
	s_and_saveexec_b64 s[76:77], s[8:9]
; %bb.103:                              ;   in Loop: Header=BB29_14 Depth=1
	v_cmp_eq_u32_e64 s[8:9], 0, v1
	s_orn2_b64 s[74:75], s[8:9], exec
; %bb.104:                              ;   in Loop: Header=BB29_14 Depth=1
	s_or_b64 exec, exec, s[76:77]
	s_and_b64 exec, exec, s[74:75]
	s_cbranch_execz .LBB29_147
; %bb.105:                              ;   in Loop: Header=BB29_14 Depth=1
	v_accvgpr_read_b32 v1, a57
	v_add_u32_e32 v2, s92, v1
	v_cmp_gt_i32_e64 s[8:9], s28, v2
	s_and_b64 s[8:9], s[8:9], vcc
	v_mov_b32_e32 v1, 0x47
	s_and_saveexec_b64 s[74:75], s[8:9]
	s_cbranch_execz .LBB29_107
; %bb.106:                              ;   in Loop: Header=BB29_14 Depth=1
	v_accvgpr_read_b32 v1, a59
	v_add_u32_e32 v1, 0, v1
	v_mad_u64_u32 v[2:3], s[8:9], v2, s29, v[144:145]
	ds_read2st64_b32 v[4:5], v1 offset0:2 offset1:35
	v_accvgpr_read_b32 v1, a58
	ds_read2st64_b32 v[6:7], v1 offset1:1
	ds_read_b32 v1, v1 offset:8448
	v_lshl_add_u32 v2, v2, 7, v232
	v_ashrrev_i32_e32 v3, 31, v2
	v_lshlrev_b64 v[2:3], 3, v[2:3]
	v_add_co_u32_e64 v2, s[8:9], s6, v2
	v_mov_b32_e32 v8, s87
	v_addc_co_u32_e64 v3, s[8:9], v8, v3, s[8:9]
	s_waitcnt lgkmcnt(1)
	v_cvt_f32_f16_sdwa v9, v6 dst_sel:DWORD dst_unused:UNUSED_PAD src0_sel:WORD_1
	v_cvt_f32_f16_e32 v8, v6
	s_waitcnt lgkmcnt(0)
	v_cvt_f32_f16_sdwa v11, v1 dst_sel:DWORD dst_unused:UNUSED_PAD src0_sel:WORD_1
	v_cvt_f32_f16_e32 v10, v1
	v_mov_b32_e32 v6, v5
	v_pk_fma_f32 v[8:9], v[4:5], v[8:9], 0 op_sel_hi:[0,1,0]
	v_accvgpr_read_b32 v1, a60
	v_pk_fma_f32 v[8:9], v[6:7], v[10:11], v[8:9] op_sel_hi:[0,1,1]
	ds_read_b32 v1, v1 offset:8448
	global_store_dwordx2 v[2:3], v[8:9], off
	v_cvt_f32_f16_sdwa v9, v7 dst_sel:DWORD dst_unused:UNUSED_PAD src0_sel:WORD_1
	v_cvt_f32_f16_e32 v8, v7
	v_pk_fma_f32 v[4:5], v[4:5], v[8:9], 0 op_sel_hi:[0,1,0]
	s_waitcnt lgkmcnt(0)
	v_cvt_f32_f16_sdwa v9, v1 dst_sel:DWORD dst_unused:UNUSED_PAD src0_sel:WORD_1
	v_cvt_f32_f16_e32 v8, v1
	v_mov_b32_e32 v1, 0
	v_pk_fma_f32 v[4:5], v[6:7], v[8:9], v[4:5] op_sel_hi:[0,1,1]
	global_store_dwordx2 v[2:3], v[4:5], off offset:512
.LBB29_107:                             ;   in Loop: Header=BB29_14 Depth=1
	s_or_b64 exec, exec, s[74:75]
	s_movk_i32 s8, 0x47
	v_cmp_gt_i32_e64 s[8:9], s8, v1
	s_mov_b64 s[74:75], -1
	s_and_saveexec_b64 s[76:77], s[8:9]
; %bb.108:                              ;   in Loop: Header=BB29_14 Depth=1
	v_cmp_eq_u32_e64 s[8:9], 0, v1
	s_orn2_b64 s[74:75], s[8:9], exec
; %bb.109:                              ;   in Loop: Header=BB29_14 Depth=1
	;; [unrolled: 56-line block ×9, first 2 shown]
	s_or_b64 exec, exec, s[76:77]
	s_and_b64 exec, exec, s[74:75]
	s_cbranch_execz .LBB29_147
; %bb.145:                              ;   in Loop: Header=BB29_14 Depth=1
	v_accvgpr_read_b32 v1, a89
	v_add_u32_e32 v1, s92, v1
	v_cmp_gt_i32_e64 s[8:9], s28, v1
	s_and_b64 s[8:9], s[8:9], vcc
	s_and_b64 exec, exec, s[8:9]
	s_cbranch_execz .LBB29_147
; %bb.146:                              ;   in Loop: Header=BB29_14 Depth=1
	v_mad_u64_u32 v[2:3], s[8:9], v1, s29, v[144:145]
	v_accvgpr_read_b32 v1, a90
	v_add_u32_e32 v1, 0, v1
	ds_read2st64_b32 v[4:5], v1 offset0:2 offset1:35
	v_accvgpr_read_b32 v1, a91
	ds_read2st64_b32 v[6:7], v1 offset1:1
	ds_read_b32 v1, v1 offset:8448
	v_lshl_add_u32 v2, v2, 7, v232
	v_ashrrev_i32_e32 v3, 31, v2
	v_lshlrev_b64 v[2:3], 3, v[2:3]
	v_add_co_u32_e32 v2, vcc, s6, v2
	v_mov_b32_e32 v8, s87
	v_addc_co_u32_e32 v3, vcc, v8, v3, vcc
	s_waitcnt lgkmcnt(1)
	v_cvt_f32_f16_sdwa v9, v6 dst_sel:DWORD dst_unused:UNUSED_PAD src0_sel:WORD_1
	v_cvt_f32_f16_e32 v8, v6
	s_waitcnt lgkmcnt(0)
	v_cvt_f32_f16_sdwa v11, v1 dst_sel:DWORD dst_unused:UNUSED_PAD src0_sel:WORD_1
	v_cvt_f32_f16_e32 v10, v1
	v_mov_b32_e32 v6, v5
	v_pk_fma_f32 v[8:9], v[4:5], v[8:9], 0 op_sel_hi:[0,1,0]
	v_accvgpr_read_b32 v1, a92
	v_pk_fma_f32 v[8:9], v[6:7], v[10:11], v[8:9] op_sel_hi:[0,1,1]
	ds_read_b32 v1, v1 offset:8448
	global_store_dwordx2 v[2:3], v[8:9], off
	v_cvt_f32_f16_sdwa v9, v7 dst_sel:DWORD dst_unused:UNUSED_PAD src0_sel:WORD_1
	v_cvt_f32_f16_e32 v8, v7
	v_pk_fma_f32 v[4:5], v[4:5], v[8:9], 0 op_sel_hi:[0,1,0]
	s_waitcnt lgkmcnt(0)
	v_cvt_f32_f16_sdwa v9, v1 dst_sel:DWORD dst_unused:UNUSED_PAD src0_sel:WORD_1
	v_cvt_f32_f16_e32 v8, v1
	v_pk_fma_f32 v[4:5], v[6:7], v[8:9], v[4:5] op_sel_hi:[0,1,1]
	global_store_dwordx2 v[2:3], v[4:5], off offset:512
.LBB29_147:                             ;   in Loop: Header=BB29_14 Depth=1
	s_or_b64 exec, exec, s[72:73]
	s_barrier
	s_branch .LBB29_13
.LBB29_148:                             ;   in Loop: Header=BB29_14 Depth=1
	s_lshl_b32 s76, s91, 4
	v_add_u32_e32 v1, s76, v148
	v_cmp_gt_i32_e64 s[8:9], s78, v71
	v_cmp_le_i32_e32 vcc, s28, v1
	s_xor_b64 s[8:9], s[8:9], -1
	s_or_b64 s[72:73], vcc, s[8:9]
	s_and_saveexec_b64 s[74:75], s[72:73]
	s_xor_b64 s[72:73], exec, s[74:75]
	s_cbranch_execz .LBB29_150
; %bb.149:                              ;   in Loop: Header=BB29_14 Depth=1
	ds_write2st64_b32 v206, v239, v239 offset1:1
                                        ; implicit-def: $vgpr1
.LBB29_150:                             ;   in Loop: Header=BB29_14 Depth=1
	s_andn2_saveexec_b64 s[72:73], s[72:73]
	s_cbranch_execz .LBB29_152
; %bb.151:                              ;   in Loop: Header=BB29_14 Depth=1
	v_mul_lo_u32 v1, v1, s33
	v_add3_u32 v2, v1, v249, v232
	v_ashrrev_i32_e32 v3, 31, v2
	v_lshlrev_b64 v[2:3], 3, v[2:3]
	v_add_co_u32_e32 v2, vcc, s90, v2
	v_mov_b32_e32 v1, s89
	v_addc_co_u32_e32 v3, vcc, v1, v3, vcc
	global_load_dwordx2 v[4:5], v[2:3], off
	s_waitcnt vmcnt(0)
	v_cvt_f16_f32_e32 v1, v4
	global_load_dwordx2 v[2:3], v[2:3], off offset:512
	v_cvt_f16_f32_e32 v4, v5
	v_pack_b32_f16 v1, v1, v4
	v_pk_mul_f16 v1, v231, v1
	s_waitcnt vmcnt(0)
	v_cvt_f16_f32_e32 v2, v2
	v_cvt_f16_f32_e32 v3, v3
	v_pack_b32_f16 v2, v2, v3
	v_pk_mul_f16 v2, v231, v2
	ds_write2st64_b32 v206, v1, v2 offset1:1
.LBB29_152:                             ;   in Loop: Header=BB29_14 Depth=1
	s_or_b64 exec, exec, s[72:73]
	v_add_u32_e32 v1, s76, v251
	v_cmp_le_i32_e32 vcc, s28, v1
	s_or_b64 s[72:73], vcc, s[8:9]
	s_and_saveexec_b64 s[74:75], s[72:73]
	s_xor_b64 s[72:73], exec, s[74:75]
	s_cbranch_execz .LBB29_154
; %bb.153:                              ;   in Loop: Header=BB29_14 Depth=1
	ds_write2st64_b32 v253, v239, v239 offset1:1
                                        ; implicit-def: $vgpr1
.LBB29_154:                             ;   in Loop: Header=BB29_14 Depth=1
	s_andn2_saveexec_b64 s[72:73], s[72:73]
	s_cbranch_execz .LBB29_156
; %bb.155:                              ;   in Loop: Header=BB29_14 Depth=1
	v_mul_lo_u32 v1, v1, s33
	v_add3_u32 v2, v1, v249, v232
	v_ashrrev_i32_e32 v3, 31, v2
	v_lshlrev_b64 v[2:3], 3, v[2:3]
	v_add_co_u32_e32 v2, vcc, s90, v2
	v_mov_b32_e32 v1, s89
	v_addc_co_u32_e32 v3, vcc, v1, v3, vcc
	global_load_dwordx2 v[4:5], v[2:3], off
	s_waitcnt vmcnt(0)
	v_cvt_f16_f32_e32 v1, v4
	global_load_dwordx2 v[2:3], v[2:3], off offset:512
	v_cvt_f16_f32_e32 v4, v5
	v_pack_b32_f16 v1, v1, v4
	v_pk_mul_f16 v1, v231, v1
	s_waitcnt vmcnt(0)
	v_cvt_f16_f32_e32 v2, v2
	v_cvt_f16_f32_e32 v3, v3
	v_pack_b32_f16 v2, v2, v3
	v_pk_mul_f16 v2, v231, v2
	ds_write2st64_b32 v253, v1, v2 offset1:1
.LBB29_156:                             ;   in Loop: Header=BB29_14 Depth=1
	s_or_b64 exec, exec, s[72:73]
	v_add_u32_e32 v1, s76, v254
	v_cmp_le_i32_e32 vcc, s28, v1
	s_or_b64 s[72:73], vcc, s[8:9]
	s_and_saveexec_b64 s[74:75], s[72:73]
	s_xor_b64 s[72:73], exec, s[74:75]
	s_cbranch_execz .LBB29_158
; %bb.157:                              ;   in Loop: Header=BB29_14 Depth=1
	v_add_u32_e32 v1, 64, v253
	ds_write2st64_b32 v1, v239, v239 offset0:8 offset1:9
                                        ; implicit-def: $vgpr1
.LBB29_158:                             ;   in Loop: Header=BB29_14 Depth=1
	s_andn2_saveexec_b64 s[72:73], s[72:73]
	s_cbranch_execz .LBB29_160
; %bb.159:                              ;   in Loop: Header=BB29_14 Depth=1
	v_mul_lo_u32 v1, v1, s33
	v_add3_u32 v2, v1, v249, v232
	v_ashrrev_i32_e32 v3, 31, v2
	v_lshlrev_b64 v[2:3], 3, v[2:3]
	v_add_co_u32_e32 v2, vcc, s90, v2
	v_mov_b32_e32 v1, s89
	v_addc_co_u32_e32 v3, vcc, v1, v3, vcc
	global_load_dwordx2 v[4:5], v[2:3], off
	s_waitcnt vmcnt(0)
	v_cvt_f16_f32_e32 v1, v4
	global_load_dwordx2 v[2:3], v[2:3], off offset:512
	v_cvt_f16_f32_e32 v4, v5
	v_pack_b32_f16 v1, v1, v4
	v_pk_mul_f16 v1, v231, v1
	s_waitcnt vmcnt(0)
	v_cvt_f16_f32_e32 v2, v2
	v_cvt_f16_f32_e32 v3, v3
	v_pack_b32_f16 v2, v2, v3
	v_pk_mul_f16 v2, v231, v2
	v_add_u32_e32 v3, 64, v253
	ds_write2st64_b32 v3, v1, v2 offset0:8 offset1:9
.LBB29_160:                             ;   in Loop: Header=BB29_14 Depth=1
	s_or_b64 exec, exec, s[72:73]
	v_add_u32_e32 v1, s76, v130
	v_cmp_le_i32_e32 vcc, s28, v1
	s_or_b64 s[72:73], vcc, s[8:9]
	s_and_saveexec_b64 s[74:75], s[72:73]
	s_xor_b64 s[72:73], exec, s[74:75]
	s_cbranch_execz .LBB29_162
; %bb.161:                              ;   in Loop: Header=BB29_14 Depth=1
	v_add_u32_e32 v1, 0x80, v253
	ds_write2st64_b32 v1, v239, v239 offset0:16 offset1:17
                                        ; implicit-def: $vgpr1
.LBB29_162:                             ;   in Loop: Header=BB29_14 Depth=1
	s_andn2_saveexec_b64 s[72:73], s[72:73]
	s_cbranch_execz .LBB29_164
; %bb.163:                              ;   in Loop: Header=BB29_14 Depth=1
	v_mul_lo_u32 v1, v1, s33
	v_add3_u32 v2, v1, v249, v232
	v_ashrrev_i32_e32 v3, 31, v2
	v_lshlrev_b64 v[2:3], 3, v[2:3]
	v_add_co_u32_e32 v2, vcc, s90, v2
	v_mov_b32_e32 v1, s89
	v_addc_co_u32_e32 v3, vcc, v1, v3, vcc
	global_load_dwordx2 v[4:5], v[2:3], off
	s_waitcnt vmcnt(0)
	v_cvt_f16_f32_e32 v1, v4
	global_load_dwordx2 v[2:3], v[2:3], off offset:512
	v_cvt_f16_f32_e32 v4, v5
	v_pack_b32_f16 v1, v1, v4
	v_pk_mul_f16 v1, v231, v1
	s_waitcnt vmcnt(0)
	v_cvt_f16_f32_e32 v2, v2
	v_cvt_f16_f32_e32 v3, v3
	v_pack_b32_f16 v2, v2, v3
	v_pk_mul_f16 v2, v231, v2
	v_add_u32_e32 v3, 0x80, v253
	ds_write2st64_b32 v3, v1, v2 offset0:16 offset1:17
.LBB29_164:                             ;   in Loop: Header=BB29_14 Depth=1
	s_or_b64 exec, exec, s[72:73]
	v_add_u32_e32 v1, s76, v138
	v_cmp_le_i32_e32 vcc, s28, v1
	s_or_b64 s[72:73], vcc, s[8:9]
	s_and_saveexec_b64 s[74:75], s[72:73]
	s_xor_b64 s[72:73], exec, s[74:75]
	s_cbranch_execz .LBB29_166
; %bb.165:                              ;   in Loop: Header=BB29_14 Depth=1
	v_add_u32_e32 v1, 0xc0, v253
	ds_write2st64_b32 v1, v239, v239 offset0:24 offset1:25
                                        ; implicit-def: $vgpr1
.LBB29_166:                             ;   in Loop: Header=BB29_14 Depth=1
	s_andn2_saveexec_b64 s[72:73], s[72:73]
	s_cbranch_execz .LBB29_168
; %bb.167:                              ;   in Loop: Header=BB29_14 Depth=1
	v_mul_lo_u32 v1, v1, s33
	v_add3_u32 v2, v1, v249, v232
	v_ashrrev_i32_e32 v3, 31, v2
	v_lshlrev_b64 v[2:3], 3, v[2:3]
	v_add_co_u32_e32 v2, vcc, s90, v2
	v_mov_b32_e32 v1, s89
	v_addc_co_u32_e32 v3, vcc, v1, v3, vcc
	global_load_dwordx2 v[4:5], v[2:3], off
	s_waitcnt vmcnt(0)
	v_cvt_f16_f32_e32 v1, v4
	global_load_dwordx2 v[2:3], v[2:3], off offset:512
	v_cvt_f16_f32_e32 v4, v5
	v_pack_b32_f16 v1, v1, v4
	v_pk_mul_f16 v1, v231, v1
	s_waitcnt vmcnt(0)
	v_cvt_f16_f32_e32 v2, v2
	v_cvt_f16_f32_e32 v3, v3
	v_pack_b32_f16 v2, v2, v3
	v_pk_mul_f16 v2, v231, v2
	v_add_u32_e32 v3, 0xc0, v253
	ds_write2st64_b32 v3, v1, v2 offset0:24 offset1:25
.LBB29_168:                             ;   in Loop: Header=BB29_14 Depth=1
	s_or_b64 exec, exec, s[72:73]
	v_add_u32_e32 v1, s76, v139
	v_cmp_le_i32_e32 vcc, s28, v1
	s_or_b64 s[72:73], vcc, s[8:9]
	s_and_saveexec_b64 s[74:75], s[72:73]
	s_xor_b64 s[72:73], exec, s[74:75]
	s_cbranch_execz .LBB29_170
; %bb.169:                              ;   in Loop: Header=BB29_14 Depth=1
	ds_write2st64_b32 v253, v239, v239 offset0:33 offset1:34
                                        ; implicit-def: $vgpr1
.LBB29_170:                             ;   in Loop: Header=BB29_14 Depth=1
	s_andn2_saveexec_b64 s[72:73], s[72:73]
	s_cbranch_execz .LBB29_172
; %bb.171:                              ;   in Loop: Header=BB29_14 Depth=1
	v_mul_lo_u32 v1, v1, s33
	v_add3_u32 v2, v1, v249, v232
	v_ashrrev_i32_e32 v3, 31, v2
	v_lshlrev_b64 v[2:3], 3, v[2:3]
	v_add_co_u32_e32 v2, vcc, s90, v2
	v_mov_b32_e32 v1, s89
	v_addc_co_u32_e32 v3, vcc, v1, v3, vcc
	global_load_dwordx2 v[4:5], v[2:3], off
	s_waitcnt vmcnt(0)
	v_cvt_f16_f32_e32 v1, v4
	global_load_dwordx2 v[2:3], v[2:3], off offset:512
	v_cvt_f16_f32_e32 v4, v5
	v_pack_b32_f16 v1, v1, v4
	v_pk_mul_f16 v1, v231, v1
	s_waitcnt vmcnt(0)
	v_cvt_f16_f32_e32 v2, v2
	v_cvt_f16_f32_e32 v3, v3
	v_pack_b32_f16 v2, v2, v3
	v_pk_mul_f16 v2, v231, v2
	ds_write2st64_b32 v253, v1, v2 offset0:33 offset1:34
.LBB29_172:                             ;   in Loop: Header=BB29_14 Depth=1
	s_or_b64 exec, exec, s[72:73]
	v_add_u32_e32 v1, s76, v140
	v_cmp_le_i32_e32 vcc, s28, v1
	s_or_b64 s[72:73], vcc, s[8:9]
	s_and_saveexec_b64 s[74:75], s[72:73]
	s_xor_b64 s[72:73], exec, s[74:75]
	s_cbranch_execz .LBB29_174
; %bb.173:                              ;   in Loop: Header=BB29_14 Depth=1
	v_add_u32_e32 v1, 64, v253
	ds_write2st64_b32 v1, v239, v239 offset0:41 offset1:42
                                        ; implicit-def: $vgpr1
.LBB29_174:                             ;   in Loop: Header=BB29_14 Depth=1
	s_andn2_saveexec_b64 s[72:73], s[72:73]
	s_cbranch_execz .LBB29_176
; %bb.175:                              ;   in Loop: Header=BB29_14 Depth=1
	v_mul_lo_u32 v1, v1, s33
	v_add3_u32 v2, v1, v249, v232
	v_ashrrev_i32_e32 v3, 31, v2
	v_lshlrev_b64 v[2:3], 3, v[2:3]
	v_add_co_u32_e32 v2, vcc, s90, v2
	v_mov_b32_e32 v1, s89
	v_addc_co_u32_e32 v3, vcc, v1, v3, vcc
	global_load_dwordx2 v[4:5], v[2:3], off
	s_waitcnt vmcnt(0)
	v_cvt_f16_f32_e32 v1, v4
	global_load_dwordx2 v[2:3], v[2:3], off offset:512
	v_cvt_f16_f32_e32 v4, v5
	v_pack_b32_f16 v1, v1, v4
	v_pk_mul_f16 v1, v231, v1
	s_waitcnt vmcnt(0)
	v_cvt_f16_f32_e32 v2, v2
	v_cvt_f16_f32_e32 v3, v3
	v_pack_b32_f16 v2, v2, v3
	v_pk_mul_f16 v2, v231, v2
	v_add_u32_e32 v3, 64, v253
	ds_write2st64_b32 v3, v1, v2 offset0:41 offset1:42
.LBB29_176:                             ;   in Loop: Header=BB29_14 Depth=1
	s_or_b64 exec, exec, s[72:73]
	v_add_u32_e32 v1, s76, v141
	v_cmp_le_i32_e32 vcc, s28, v1
	s_or_b64 s[8:9], vcc, s[8:9]
	s_and_saveexec_b64 s[72:73], s[8:9]
	s_xor_b64 s[8:9], exec, s[72:73]
	s_cbranch_execz .LBB29_178
; %bb.177:                              ;   in Loop: Header=BB29_14 Depth=1
	v_add_u32_e32 v1, 0x80, v253
	ds_write2st64_b32 v1, v239, v239 offset0:49 offset1:50
                                        ; implicit-def: $vgpr1
.LBB29_178:                             ;   in Loop: Header=BB29_14 Depth=1
	s_andn2_saveexec_b64 s[8:9], s[8:9]
	s_cbranch_execz .LBB29_180
; %bb.179:                              ;   in Loop: Header=BB29_14 Depth=1
	v_mul_lo_u32 v1, v1, s33
	v_add3_u32 v2, v1, v249, v232
	v_ashrrev_i32_e32 v3, 31, v2
	v_lshlrev_b64 v[2:3], 3, v[2:3]
	v_add_co_u32_e32 v2, vcc, s90, v2
	v_mov_b32_e32 v1, s89
	v_addc_co_u32_e32 v3, vcc, v1, v3, vcc
	global_load_dwordx2 v[4:5], v[2:3], off
	s_waitcnt vmcnt(0)
	v_cvt_f16_f32_e32 v1, v4
	global_load_dwordx2 v[2:3], v[2:3], off offset:512
	v_cvt_f16_f32_e32 v4, v5
	v_pack_b32_f16 v1, v1, v4
	v_pk_mul_f16 v1, v231, v1
	s_waitcnt vmcnt(0)
	v_cvt_f16_f32_e32 v2, v2
	v_cvt_f16_f32_e32 v3, v3
	v_pack_b32_f16 v2, v2, v3
	v_pk_mul_f16 v2, v231, v2
	v_add_u32_e32 v3, 0x80, v253
	ds_write2st64_b32 v3, v1, v2 offset0:49 offset1:50
.LBB29_180:                             ;   in Loop: Header=BB29_14 Depth=1
	s_or_b64 exec, exec, s[8:9]
	s_waitcnt lgkmcnt(0)
	s_barrier
	ds_read2_b64 v[30:33], v234 offset1:4
	ds_read2_b64 v[26:29], v234 offset0:8 offset1:12
	ds_read2_b64 v[22:25], v234 offset0:16 offset1:20
	;; [unrolled: 1-line block ×7, first 2 shown]
	s_cmp_gt_i32 s80, 1
	s_waitcnt lgkmcnt(0)
	s_barrier
	s_cbranch_scc1 .LBB29_182
; %bb.181:                              ;   in Loop: Header=BB29_14 Depth=1
	v_add_u32_e32 v1, s76, v238
	v_mul_hi_u32 v68, s40, v1
	v_add_u32_e32 v68, v1, v68
	v_lshrrev_b32_e32 v68, s41, v68
	v_mul_lo_u32 v68, v68, s28
	v_sub_u32_e32 v1, v1, v68
	v_mad_i64_i32 v[78:79], s[8:9], v1, s42, 0
	v_add_u32_e32 v1, s76, v200
	v_mul_hi_u32 v68, s40, v1
	v_add_u32_e32 v68, v1, v68
	v_lshrrev_b32_e32 v68, s41, v68
	v_mul_lo_u32 v68, v68, s28
	v_sub_u32_e32 v1, v1, v68
	v_mad_i64_i32 v[82:83], s[8:9], v1, s42, 0
	v_accvgpr_read_b32 v1, a151
	v_mbcnt_hi_u32_b32 v237, -1, v1
	v_and_b32_e32 v1, 64, v237
	s_mov_b32 s72, 0
	v_add_u32_e32 v75, 64, v1
	v_xor_b32_e32 v81, 32, v237
	v_xor_b32_e32 v86, 16, v237
	s_mov_b64 s[8:9], 0
	s_mov_b32 s73, 0xfeffffff
	s_branch .LBB29_183
.LBB29_182:                             ;   in Loop: Header=BB29_14 Depth=1
	s_mov_b64 s[8:9], -1
                                        ; implicit-def: $sgpr72
                                        ; implicit-def: $sgpr73
                                        ; implicit-def: $vgpr78_vgpr79
                                        ; implicit-def: $vgpr82_vgpr83
                                        ; implicit-def: $vgpr237
                                        ; implicit-def: $vgpr75
                                        ; implicit-def: $vgpr81
                                        ; implicit-def: $vgpr86
.LBB29_183:                             ;   in Loop: Header=BB29_14 Depth=1
	s_andn2_b64 vcc, exec, s[8:9]
	v_mov_b32_e32 v228, s72
	v_mov_b32_e32 v233, s72
	;; [unrolled: 1-line block ×34, first 2 shown]
	s_cbranch_vccnz .LBB29_187
; %bb.184:                              ;   in Loop: Header=BB29_14 Depth=1
	v_add_u32_e32 v1, s76, v238
	v_mul_hi_u32 v68, s40, v1
	v_add_u32_e32 v68, v1, v68
	v_lshrrev_b32_e32 v68, s41, v68
	v_mul_lo_u32 v68, v68, s28
	v_sub_u32_e32 v1, v1, v68
	v_add_u32_e32 v68, s76, v200
	v_mul_hi_u32 v69, s40, v68
	v_add_u32_e32 v69, v68, v69
	v_accvgpr_write_b32 a133, v37
	v_lshrrev_b32_e32 v69, s41, v69
	v_accvgpr_write_b32 a132, v36
	v_mad_i64_i32 v[36:37], s[8:9], v1, s42, 0
	v_mul_lo_u32 v69, v69, s28
	v_accvgpr_write_b32 a161, v37
	v_sub_u32_e32 v71, v68, v69
	v_accvgpr_write_b32 a160, v36
	v_mad_i64_i32 v[36:37], s[8:9], v71, s42, 0
	v_accvgpr_write_b32 a163, v37
	v_accvgpr_write_b32 a162, v36
	v_accvgpr_read_b32 v36, a151
	v_mbcnt_hi_u32_b32 v237, -1, v36
	v_and_b32_e32 v68, 64, v237
	v_add_u32_e32 v36, 64, v68
	v_xor_b32_e32 v37, 32, v237
	v_cmp_lt_i32_e32 vcc, v37, v36
	v_accvgpr_write_b32 a158, v37
	v_cndmask_b32_e32 v68, v237, v37, vcc
	v_xor_b32_e32 v37, 16, v237
	v_cmp_lt_i32_e32 vcc, v37, v36
	v_readlane_b32 s8, v255, 20
	v_accvgpr_write_b32 a20, v234
	v_lshlrev_b32_e32 v234, 2, v68
	v_cndmask_b32_e32 v68, v237, v37, vcc
	v_readlane_b32 s9, v255, 21
	s_mov_b32 s74, s8
	v_lshlrev_b32_e32 v227, 2, v68
	v_mad_i64_i32 v[68:69], s[8:9], s74, v1, v[76:77]
	v_accvgpr_read_b32 v1, a93
	v_add_co_u32_e32 v84, vcc, v1, v68
	v_accvgpr_read_b32 v72, a94
	s_add_i32 s72, s80, -1
	v_addc_co_u32_e32 v85, vcc, v72, v69, vcc
	v_mad_i64_i32 v[68:69], s[8:9], s74, v71, v[76:77]
	v_add_co_u32_e32 v76, vcc, v1, v68
	s_add_u32 s8, s61, s62
	v_addc_co_u32_e32 v77, vcc, v72, v69, vcc
	s_addc_u32 s9, s58, s63
	v_accvgpr_read_b32 v68, a95
	v_mov_b32_e32 v1, s9
	v_add_co_u32_e32 v86, vcc, s8, v68
	v_accvgpr_read_b32 v68, a96
	v_addc_co_u32_e32 v1, vcc, v68, v1, vcc
	v_accvgpr_read_b32 v69, a97
	v_mov_b32_e32 v68, s9
	v_add_co_u32_e32 v88, vcc, s8, v69
	v_accvgpr_read_b32 v69, a98
	v_addc_co_u32_e32 v69, vcc, v69, v68, vcc
	v_accvgpr_read_b32 v71, a99
	v_add_co_u32_e32 v90, vcc, s8, v71
	v_accvgpr_read_b32 v71, a100
	v_addc_co_u32_e32 v71, vcc, v71, v68, vcc
	v_accvgpr_read_b32 v72, a101
	;; [unrolled: 4-line block ×6, first 2 shown]
	v_add_co_u32_e32 v100, vcc, s8, v72
	v_accvgpr_read_b32 v72, a110
	s_add_u32 s8, s82, s79
	v_addc_co_u32_e32 v89, vcc, v72, v68, vcc
	s_addc_u32 s9, s81, s60
	v_accvgpr_read_b32 v72, a111
	v_mov_b32_e32 v68, s9
	v_add_co_u32_e32 v102, vcc, s8, v72
	v_accvgpr_read_b32 v72, a112
	v_addc_co_u32_e32 v91, vcc, v72, v68, vcc
	v_accvgpr_read_b32 v72, a113
	v_add_co_u32_e32 v104, vcc, s8, v72
	v_accvgpr_read_b32 v72, a114
	v_addc_co_u32_e32 v93, vcc, v72, v68, vcc
	v_accvgpr_read_b32 v72, a115
	;; [unrolled: 4-line block ×7, first 2 shown]
	v_accvgpr_write_b32 a141, v41
	v_accvgpr_write_b32 a137, v39
	v_add_co_u32_e32 v116, vcc, s8, v72
	v_accvgpr_read_b32 v72, a126
	v_accvgpr_write_b32 a155, v145
	v_accvgpr_write_b32 a153, v143
	;; [unrolled: 1-line block ×11, first 2 shown]
	v_mov_b32_e32 v107, 0
	v_accvgpr_write_b32 a157, v36
	v_accvgpr_write_b32 a159, v37
	v_addc_co_u32_e32 v105, vcc, v72, v68, vcc
	v_mov_b32_e32 v233, 0
	v_mov_b32_e32 v80, 0xfeffffff
	s_mov_b32 s8, s72
	v_mov_b32_e32 v120, 0
	v_mov_b32_e32 v186, 0
	;; [unrolled: 1-line block ×76, first 2 shown]
	v_accvgpr_read_b32 v206, a25
	v_accvgpr_read_b32 v200, a127
	;; [unrolled: 1-line block ×7, first 2 shown]
.LBB29_185:                             ;   Parent Loop BB29_14 Depth=1
                                        ; =>  This Inner Loop Header: Depth=2
	global_load_dword v78, v[84:85], off
	v_add_co_u32_e32 v118, vcc, v102, v70
	v_add_u32_e32 v79, v36, v200
	v_addc_co_u32_e32 v119, vcc, 0, v91, vcc
	global_load_dwordx4 v[138:141], v[118:119], off
	v_add_co_u32_e32 v118, vcc, v104, v70
	v_addc_co_u32_e32 v119, vcc, 0, v93, vcc
	v_mov_b32_e32 v121, v80
	v_mov_b32_e32 v68, v233
	s_add_i32 s8, s8, -1
	s_cmp_lg_u32 s8, 0
	s_waitcnt vmcnt(1)
	ds_write_b32 v79, v78 offset:33792
	global_load_dword v78, v[76:77], off
	s_waitcnt vmcnt(0)
	ds_write_b32 v79, v78 offset:34944
	ds_write_b128 v131, v[138:141]
	global_load_dwordx4 v[138:141], v[118:119], off
	v_add_co_u32_e32 v118, vcc, v106, v70
	v_addc_co_u32_e32 v119, vcc, 0, v95, vcc
	v_add_u32_e32 v78, 0x4000, v132
	s_waitcnt vmcnt(0)
	ds_write_b128 v217, v[138:141]
	global_load_dwordx4 v[138:141], v[118:119], off
	v_add_co_u32_e32 v118, vcc, v108, v70
	v_addc_co_u32_e32 v119, vcc, 0, v97, vcc
	s_waitcnt vmcnt(0)
	ds_write_b128 v218, v[138:141]
	global_load_dwordx4 v[138:141], v[118:119], off
	v_add_co_u32_e32 v118, vcc, v110, v70
	v_addc_co_u32_e32 v119, vcc, 0, v99, vcc
	;; [unrolled: 5-line block ×5, first 2 shown]
	s_waitcnt vmcnt(0)
	ds_write_b128 v214, v[138:141]
	global_load_dwordx4 v[138:141], v[118:119], off
	s_waitcnt vmcnt(0)
	ds_write_b128 v207, v[138:141]
	s_waitcnt lgkmcnt(0)
	s_barrier
	ds_read2_b64 v[138:141], v132 offset1:4
	s_waitcnt lgkmcnt(0)
	v_mfma_f32_16x16x16f16 a[0:3], v[138:139], v[30:31], 0
	v_mfma_f32_16x16x16f16 a[0:3], v[140:141], v[32:33], a[0:3]
	ds_read2_b64 v[138:141], v132 offset0:8 offset1:12
	s_waitcnt lgkmcnt(0)
	v_mfma_f32_16x16x16f16 a[0:3], v[138:139], v[26:27], a[0:3]
	v_mfma_f32_16x16x16f16 a[0:3], v[140:141], v[28:29], a[0:3]
	ds_read2_b64 v[138:141], v132 offset0:16 offset1:20
	;; [unrolled: 4-line block ×8, first 2 shown]
	s_nop 7
	s_nop 1
	v_accvgpr_read_b32 v119, a3
	v_accvgpr_read_b32 v118, a2
	s_waitcnt lgkmcnt(0)
	v_mfma_f32_16x16x16f16 a[2:5], v[138:139], v[30:31], 0
	v_accvgpr_read_b32 v83, a1
	v_accvgpr_read_b32 v82, a0
	v_mfma_f32_16x16x16f16 a[2:5], v[140:141], v[32:33], a[2:5]
	ds_read2_b64 v[138:141], v78 offset0:72 offset1:76
	s_waitcnt lgkmcnt(0)
	v_mfma_f32_16x16x16f16 a[2:5], v[138:139], v[26:27], a[2:5]
	v_mfma_f32_16x16x16f16 a[2:5], v[140:141], v[28:29], a[2:5]
	ds_read2_b64 v[138:141], v78 offset0:80 offset1:84
	s_waitcnt lgkmcnt(0)
	v_mfma_f32_16x16x16f16 a[2:5], v[138:139], v[22:23], a[2:5]
	;; [unrolled: 4-line block ×6, first 2 shown]
	v_mfma_f32_16x16x16f16 a[2:5], v[140:141], v[8:9], a[2:5]
	ds_read2_b64 v[138:141], v78 offset0:120 offset1:124
	v_add_u32_e32 v78, 0x8400, v241
	s_waitcnt lgkmcnt(0)
	s_barrier
	v_mfma_f32_16x16x16f16 a[2:5], v[138:139], v[2:3], a[2:5]
	v_mfma_f32_16x16x16f16 a[2:5], v[140:141], v[4:5], a[2:5]
	ds_read2_b32 v[140:141], v78 offset1:1
	ds_read_b32 v80, v206 offset:33792
	ds_read_b32 v128, v204 offset:33792
	s_waitcnt lgkmcnt(2)
	v_cvt_f32_f16_e32 v78, v140
	v_cvt_f32_f16_sdwa v79, v140 dst_sel:DWORD dst_unused:UNUSED_PAD src0_sel:WORD_1
	v_cvt_f32_f16_e32 v140, v141
	v_cvt_f32_f16_sdwa v141, v141 dst_sel:DWORD dst_unused:UNUSED_PAD src0_sel:WORD_1
	v_pk_add_f32 v[78:79], v[82:83], v[78:79]
	v_add_f32_e32 v82, 0x40051340, v78
	v_add_f32_e32 v83, 0x40051340, v79
	v_max3_f32 v130, v121, v82, v83
	s_waitcnt lgkmcnt(0)
	v_cvt_f32_f16_sdwa v83, v128 dst_sel:DWORD dst_unused:UNUSED_PAD src0_sel:WORD_1
	v_cvt_f32_f16_e32 v82, v128
	v_accvgpr_read_b32 v139, a5
	v_accvgpr_read_b32 v138, a4
	;; [unrolled: 1-line block ×3, first 2 shown]
	v_pk_add_f32 v[82:83], v[138:139], v[82:83]
	v_cvt_f32_f16_sdwa v139, v80 dst_sel:DWORD dst_unused:UNUSED_PAD src0_sel:WORD_1
	v_cvt_f32_f16_e32 v138, v80
	v_accvgpr_read_b32 v232, a2
	v_pk_add_f32 v[118:119], v[118:119], v[140:141]
	v_add_f32_e32 v140, 0x40051340, v118
	v_pk_add_f32 v[138:139], v[232:233], v[138:139]
	v_add_f32_e32 v141, 0x40051340, v119
	v_add_f32_e32 v80, 0x40051340, v138
	;; [unrolled: 1-line block ×3, first 2 shown]
	v_max3_f32 v130, v130, v140, v141
	v_add_f32_e32 v128, 0x40051340, v82
	v_add_f32_e32 v142, 0x40051340, v83
	v_max3_f32 v80, v130, v80, v143
	v_max3_f32 v80, v80, v128, v142
	ds_bpermute_b32 v128, v234, v80
	v_mov_b32_e32 v232, v241
	s_waitcnt lgkmcnt(0)
	v_max_f32_e32 v128, v128, v128
	v_max_f32_e32 v80, v80, v128
	ds_bpermute_b32 v128, v227, v80
	s_waitcnt lgkmcnt(0)
	v_max_f32_e32 v128, v128, v128
	v_max_f32_e32 v80, v80, v128
	v_pk_add_f32 v[78:79], v[78:79], v[80:81] op_sel_hi:[1,0] neg_lo:[0,1] neg_hi:[0,1]
	v_mul_f32_e32 v128, 0x3fb8aa3b, v79
	v_fma_f32 v130, v79, s43, -v128
	v_rndne_f32_e32 v140, v128
	v_fmac_f32_e32 v130, 0x32a5705f, v79
	v_sub_f32_e32 v128, v128, v140
	v_add_f32_e32 v128, v128, v130
	v_exp_f32_e32 v128, v128
	v_cvt_i32_f32_e32 v130, v140
	v_cmp_ngt_f32_e32 vcc, s65, v79
	v_ldexp_f32 v128, v128, v130
	v_cndmask_b32_e32 v128, 0, v128, vcc
	v_cmp_nlt_f32_e32 vcc, s95, v79
	v_mul_f32_e32 v79, 0x3fb8aa3b, v78
	v_cndmask_b32_e32 v140, v242, v128, vcc
	v_fma_f32 v128, v78, s43, -v79
	v_rndne_f32_e32 v130, v79
	v_fmac_f32_e32 v128, 0x32a5705f, v78
	v_sub_f32_e32 v79, v79, v130
	v_add_f32_e32 v79, v79, v128
	v_exp_f32_e32 v79, v79
	v_cvt_i32_f32_e32 v128, v130
	v_cmp_ngt_f32_e32 vcc, s65, v78
	v_ldexp_f32 v79, v79, v128
	v_cndmask_b32_e32 v79, 0, v79, vcc
	v_cmp_nlt_f32_e32 vcc, s95, v78
	v_cndmask_b32_e32 v141, v242, v79, vcc
	v_pk_add_f32 v[78:79], v[118:119], v[80:81] op_sel_hi:[1,0] neg_lo:[0,1] neg_hi:[0,1]
	v_mul_f32_e32 v118, 0x3fb8aa3b, v79
	v_fma_f32 v119, v79, s43, -v118
	v_rndne_f32_e32 v128, v118
	v_fmac_f32_e32 v119, 0x32a5705f, v79
	v_sub_f32_e32 v118, v118, v128
	v_add_f32_e32 v118, v118, v119
	v_exp_f32_e32 v118, v118
	v_cvt_i32_f32_e32 v119, v128
	v_cmp_ngt_f32_e32 vcc, s65, v79
	v_ldexp_f32 v118, v118, v119
	v_cndmask_b32_e32 v118, 0, v118, vcc
	v_cmp_nlt_f32_e32 vcc, s95, v79
	v_mul_f32_e32 v79, 0x3fb8aa3b, v78
	v_fma_f32 v119, v78, s43, -v79
	v_rndne_f32_e32 v128, v79
	v_fmac_f32_e32 v119, 0x32a5705f, v78
	v_sub_f32_e32 v79, v79, v128
	v_add_f32_e32 v79, v79, v119
	v_exp_f32_e32 v79, v79
	v_cvt_i32_f32_e32 v119, v128
	v_cndmask_b32_e32 v118, v242, v118, vcc
	v_cmp_ngt_f32_e32 vcc, s65, v78
	v_ldexp_f32 v79, v79, v119
	v_cndmask_b32_e32 v79, 0, v79, vcc
	v_cmp_nlt_f32_e32 vcc, s95, v78
	v_cndmask_b32_e32 v119, v242, v79, vcc
	v_pk_add_f32 v[78:79], v[138:139], v[80:81] op_sel_hi:[1,0] neg_lo:[0,1] neg_hi:[0,1]
	v_mul_f32_e32 v128, 0x3fb8aa3b, v79
	v_fma_f32 v130, v79, s43, -v128
	v_rndne_f32_e32 v138, v128
	v_fmac_f32_e32 v130, 0x32a5705f, v79
	v_sub_f32_e32 v128, v128, v138
	v_add_f32_e32 v128, v128, v130
	v_exp_f32_e32 v128, v128
	v_cvt_i32_f32_e32 v130, v138
	v_cmp_ngt_f32_e32 vcc, s65, v79
	v_ldexp_f32 v128, v128, v130
	v_cndmask_b32_e32 v128, 0, v128, vcc
	v_cmp_nlt_f32_e32 vcc, s95, v79
	v_mul_f32_e32 v79, 0x3fb8aa3b, v78
	v_cndmask_b32_e32 v138, v242, v128, vcc
	v_fma_f32 v128, v78, s43, -v79
	v_rndne_f32_e32 v130, v79
	v_fmac_f32_e32 v128, 0x32a5705f, v78
	v_sub_f32_e32 v79, v79, v130
	v_add_f32_e32 v79, v79, v128
	v_exp_f32_e32 v79, v79
	v_cvt_i32_f32_e32 v128, v130
	v_cmp_ngt_f32_e32 vcc, s65, v78
	v_ldexp_f32 v79, v79, v128
	v_cndmask_b32_e32 v79, 0, v79, vcc
	v_cmp_nlt_f32_e32 vcc, s95, v78
	v_cndmask_b32_e32 v139, v242, v79, vcc
	v_pk_add_f32 v[78:79], v[82:83], v[80:81] op_sel_hi:[1,0] neg_lo:[0,1] neg_hi:[0,1]
	v_mul_f32_e32 v82, 0x3fb8aa3b, v79
	v_fma_f32 v83, v79, s43, -v82
	v_rndne_f32_e32 v128, v82
	v_fmac_f32_e32 v83, 0x32a5705f, v79
	v_sub_f32_e32 v82, v82, v128
	v_add_f32_e32 v82, v82, v83
	v_exp_f32_e32 v82, v82
	v_cvt_i32_f32_e32 v83, v128
	v_cmp_ngt_f32_e32 vcc, s65, v79
	v_ldexp_f32 v82, v82, v83
	v_cndmask_b32_e32 v82, 0, v82, vcc
	v_cmp_nlt_f32_e32 vcc, s95, v79
	v_cndmask_b32_e32 v79, v242, v82, vcc
	v_mul_f32_e32 v82, 0x3fb8aa3b, v78
	v_fma_f32 v83, v78, s43, -v82
	v_rndne_f32_e32 v128, v82
	v_fmac_f32_e32 v83, 0x32a5705f, v78
	v_sub_f32_e32 v82, v82, v128
	v_add_f32_e32 v82, v82, v83
	v_exp_f32_e32 v82, v82
	v_cvt_i32_f32_e32 v83, v128
	v_cmp_ngt_f32_e32 vcc, s65, v78
	v_ldexp_f32 v82, v82, v83
	v_cndmask_b32_e32 v82, 0, v82, vcc
	v_cmp_nlt_f32_e32 vcc, s95, v78
	v_cndmask_b32_e32 v78, v242, v82, vcc
	v_add_f32_e32 v82, v141, v140
	v_add_f32_e32 v82, v119, v82
	;; [unrolled: 1-line block ×7, first 2 shown]
	v_sub_f32_e32 v82, v121, v80
	v_mul_f32_e32 v83, 0x3fb8aa3b, v82
	v_fma_f32 v121, v82, s43, -v83
	v_rndne_f32_e32 v128, v83
	v_fmac_f32_e32 v121, 0x32a5705f, v82
	v_sub_f32_e32 v83, v83, v128
	v_add_f32_e32 v83, v83, v121
	v_exp_f32_e32 v83, v83
	v_cvt_i32_f32_e32 v121, v128
	v_cmp_ngt_f32_e32 vcc, s65, v82
	v_cvt_f16_f32_e32 v79, v79
	v_cvt_f16_f32_e32 v78, v78
	v_ldexp_f32 v83, v83, v121
	v_cndmask_b32_e32 v83, 0, v83, vcc
	v_cmp_nlt_f32_e32 vcc, s95, v82
	v_cndmask_b32_e32 v83, v242, v83, vcc
	v_cmp_le_f32_e32 vcc, s54, v82
	v_cndmask_b32_e32 v82, 0, v83, vcc
	v_fmac_f32_e32 v233, v68, v82
	v_cvt_f16_f32_e32 v82, v82
	v_cvt_f16_f32_e32 v83, v140
	v_pk_mul_f16 v229, v82, v229 op_sel_hi:[0,1]
	v_pk_mul_f16 v228, v82, v228 op_sel_hi:[0,1]
	;; [unrolled: 1-line block ×32, first 2 shown]
	v_cvt_f16_f32_e32 v82, v141
	v_pack_b32_f16 v120, v82, v83
	v_cvt_f16_f32_e32 v82, v118
	v_cvt_f16_f32_e32 v83, v119
	v_pack_b32_f16 v119, v78, v79
	v_add_co_u32_e32 v78, vcc, v86, v70
	v_addc_co_u32_e32 v79, vcc, 0, v1, vcc
	v_pack_b32_f16 v121, v83, v82
	v_cvt_f16_f32_e32 v82, v138
	v_cvt_f16_f32_e32 v83, v139
	global_load_dwordx4 v[138:141], v[78:79], off
	v_pack_b32_f16 v118, v83, v82
	v_add_co_u32_e32 v82, vcc, v88, v70
	v_addc_co_u32_e32 v83, vcc, 0, v69, vcc
	v_add_co_u32_e32 v238, vcc, v90, v70
	v_addc_co_u32_e32 v239, vcc, 0, v71, vcc
	;; [unrolled: 2-line block ×9, first 2 shown]
	v_add_co_u32_e32 v86, vcc, s66, v86
	s_waitcnt vmcnt(0)
	ds_write_b128 v131, v[138:141]
	global_load_dwordx4 v[138:141], v[82:83], off
	s_waitcnt vmcnt(0)
	ds_write_b128 v217, v[138:141]
	global_load_dwordx4 v[138:141], v[238:239], off
	s_waitcnt vmcnt(0)
	ds_write_b128 v218, v[138:141]
	global_load_dwordx4 v[138:141], v[230:231], off
	s_waitcnt vmcnt(0)
	ds_write_b128 v211, v[138:141]
	global_load_dwordx4 v[138:141], v[142:143], off
	s_waitcnt vmcnt(0)
	ds_write_b128 v212, v[138:141]
	global_load_dwordx4 v[138:141], v[144:145], off
	s_waitcnt vmcnt(0)
	ds_write_b128 v213, v[138:141]
	global_load_dwordx4 v[138:141], v[146:147], off
	s_waitcnt vmcnt(0)
	ds_write_b128 v214, v[138:141]
	global_load_dwordx4 v[138:141], v[148:149], off
	s_waitcnt vmcnt(0)
	ds_write_b128 v207, v[138:141]
	s_waitcnt lgkmcnt(0)
	s_barrier
	ds_read_u16 v78, v135 offset:528
	ds_read_u16 v79, v135 offset:1056
	ds_read_u16 v82, v136
	ds_read_u16 v83, v136 offset:32
	v_cvt_f32_f16_e32 v138, v229
	v_cvt_f32_f16_sdwa v139, v229 dst_sel:DWORD dst_unused:UNUSED_PAD src0_sel:WORD_1
	v_cvt_f32_f16_e32 v140, v228
	s_waitcnt lgkmcnt(1)
	v_perm_b32 v79, v82, v79, s53
	ds_read_u16 v82, v134
	ds_read_u16 v142, v134 offset:32
	v_cvt_f32_f16_sdwa v141, v228 dst_sel:DWORD dst_unused:UNUSED_PAD src0_sel:WORD_1
	v_accvgpr_write_b32 a0, v138
	v_accvgpr_write_b32 a1, v139
	s_waitcnt lgkmcnt(1)
	v_perm_b32 v78, v78, v82, s53
	v_accvgpr_write_b32 a2, v140
	v_accvgpr_write_b32 a3, v141
	ds_read_u16 v143, v134 offset:16896
	ds_read_u16 v144, v208 offset:528
	;; [unrolled: 1-line block ×4, first 2 shown]
	v_mfma_f32_16x16x16f16 a[0:3], v[78:79], v[120:121], a[0:3]
	s_nop 7
	s_nop 2
	v_accvgpr_read_b32 v78, a0
	v_cvt_f16_f32_e32 v78, v78
	v_accvgpr_read_b32 v79, a1
	v_accvgpr_read_b32 v82, a2
	v_accvgpr_read_b32 v138, a3
	v_cvt_f16_f32_e32 v79, v79
	v_cvt_f16_f32_e32 v82, v82
	;; [unrolled: 1-line block ×3, first 2 shown]
	v_cvt_f32_f16_e32 v138, v78
	v_cvt_f32_f16_e32 v139, v79
	v_cvt_f32_f16_e32 v140, v82
	v_cvt_f32_f16_e32 v141, v141
	s_waitcnt lgkmcnt(0)
	v_perm_b32 v79, v146, v145, s53
	v_perm_b32 v78, v144, v143, s53
	v_accvgpr_write_b32 a0, v138
	v_accvgpr_write_b32 a1, v139
	;; [unrolled: 1-line block ×4, first 2 shown]
	v_cvt_f32_f16_sdwa v139, v128 dst_sel:DWORD dst_unused:UNUSED_PAD src0_sel:WORD_1
	v_cvt_f32_f16_e32 v140, v223
	v_mfma_f32_16x16x16f16 a[0:3], v[78:79], v[118:119], a[0:3]
	v_cvt_f32_f16_sdwa v141, v223 dst_sel:DWORD dst_unused:UNUSED_PAD src0_sel:WORD_1
	s_nop 7
	s_nop 1
	v_accvgpr_read_b32 v78, a0
	v_accvgpr_read_b32 v79, a1
	v_cvt_f16_f32_e32 v78, v78
	v_cvt_f16_f32_e32 v79, v79
	v_accvgpr_read_b32 v82, a2
	v_accvgpr_read_b32 v138, a3
	v_cvt_f16_f32_e32 v82, v82
	v_cvt_f16_f32_e32 v138, v138
	v_pack_b32_f16 v229, v78, v79
	ds_read_u16 v78, v209 offset:528
	ds_read_u16 v79, v209 offset:1056
	v_pack_b32_f16 v228, v82, v138
	v_cvt_f32_f16_e32 v138, v128
	s_waitcnt lgkmcnt(1)
	v_perm_b32 v78, v78, v142, s53
	s_waitcnt lgkmcnt(0)
	v_perm_b32 v79, v83, v79, s53
	ds_read_u16 v128, v236 offset:16896
	ds_read_u16 v142, v172 offset:528
	;; [unrolled: 1-line block ×4, first 2 shown]
	v_accvgpr_write_b32 a0, v138
	v_accvgpr_write_b32 a1, v139
	;; [unrolled: 1-line block ×4, first 2 shown]
	s_nop 1
	v_mfma_f32_16x16x16f16 a[0:3], v[78:79], v[120:121], a[0:3]
	s_nop 7
	s_nop 2
	v_accvgpr_read_b32 v78, a0
	v_cvt_f16_f32_e32 v78, v78
	v_accvgpr_read_b32 v79, a1
	v_accvgpr_read_b32 v82, a2
	v_accvgpr_read_b32 v83, a3
	v_cvt_f16_f32_e32 v79, v79
	v_cvt_f16_f32_e32 v82, v82
	v_cvt_f16_f32_e32 v83, v83
	v_cvt_f32_f16_e32 v138, v78
	v_cvt_f32_f16_e32 v139, v79
	v_cvt_f32_f16_e32 v140, v82
	v_cvt_f32_f16_e32 v141, v83
	s_waitcnt lgkmcnt(0)
	v_perm_b32 v79, v144, v143, s53
	v_perm_b32 v78, v142, v128, s53
	v_accvgpr_write_b32 a0, v138
	v_accvgpr_write_b32 a1, v139
	v_accvgpr_write_b32 a2, v140
	v_accvgpr_write_b32 a3, v141
	v_cvt_f32_f16_e32 v138, v225
	v_cvt_f32_f16_sdwa v139, v225 dst_sel:DWORD dst_unused:UNUSED_PAD src0_sel:WORD_1
	v_mfma_f32_16x16x16f16 a[0:3], v[78:79], v[118:119], a[0:3]
	v_cvt_f32_f16_e32 v140, v224
	v_cvt_f32_f16_sdwa v141, v224 dst_sel:DWORD dst_unused:UNUSED_PAD src0_sel:WORD_1
	s_nop 7
	s_nop 0
	v_accvgpr_read_b32 v78, a0
	v_accvgpr_read_b32 v79, a1
	v_accvgpr_read_b32 v82, a2
	v_accvgpr_read_b32 v83, a3
	v_cvt_f16_f32_e32 v78, v78
	v_cvt_f16_f32_e32 v79, v79
	v_cvt_f16_f32_e32 v82, v82
	v_cvt_f16_f32_e32 v83, v83
	v_accvgpr_write_b32 a0, v138
	v_pack_b32_f16 v223, v78, v79
	v_accvgpr_write_b32 a1, v139
	v_pack_b32_f16 v230, v82, v83
	ds_read_u16 v78, v134 offset:64
	ds_read_u16 v82, v203 offset:528
	ds_read_u16 v79, v203 offset:1056
	ds_read_u16 v83, v136 offset:64
	v_accvgpr_write_b32 a2, v140
	v_accvgpr_write_b32 a3, v141
	s_waitcnt lgkmcnt(2)
	v_perm_b32 v78, v82, v78, s53
	ds_read_u16 v128, v129 offset:16896
	ds_read_u16 v142, v173 offset:528
	ds_read_u16 v143, v196 offset:1056
	ds_read_u16 v144, v137 offset:16896
	s_waitcnt lgkmcnt(4)
	v_perm_b32 v79, v83, v79, s53
	s_nop 1
	v_mfma_f32_16x16x16f16 a[0:3], v[78:79], v[120:121], a[0:3]
	s_nop 7
	s_nop 2
	v_accvgpr_read_b32 v78, a0
	v_cvt_f16_f32_e32 v78, v78
	v_accvgpr_read_b32 v79, a1
	v_accvgpr_read_b32 v82, a2
	v_accvgpr_read_b32 v83, a3
	v_cvt_f16_f32_e32 v79, v79
	v_cvt_f16_f32_e32 v82, v82
	v_cvt_f16_f32_e32 v83, v83
	v_cvt_f32_f16_e32 v138, v78
	v_cvt_f32_f16_e32 v139, v79
	v_cvt_f32_f16_e32 v140, v82
	v_cvt_f32_f16_e32 v141, v83
	s_waitcnt lgkmcnt(0)
	v_perm_b32 v79, v144, v143, s53
	v_perm_b32 v78, v142, v128, s53
	v_accvgpr_write_b32 a0, v138
	v_accvgpr_write_b32 a1, v139
	v_accvgpr_write_b32 a2, v140
	v_accvgpr_write_b32 a3, v141
	v_cvt_f32_f16_e32 v138, v221
	v_cvt_f32_f16_sdwa v139, v221 dst_sel:DWORD dst_unused:UNUSED_PAD src0_sel:WORD_1
	v_mfma_f32_16x16x16f16 a[0:3], v[78:79], v[118:119], a[0:3]
	v_cvt_f32_f16_e32 v140, v219
	v_cvt_f32_f16_sdwa v141, v219 dst_sel:DWORD dst_unused:UNUSED_PAD src0_sel:WORD_1
	s_nop 7
	s_nop 0
	v_accvgpr_read_b32 v78, a0
	v_accvgpr_read_b32 v79, a1
	v_accvgpr_read_b32 v82, a2
	v_accvgpr_read_b32 v83, a3
	v_cvt_f16_f32_e32 v78, v78
	v_cvt_f16_f32_e32 v79, v79
	v_cvt_f16_f32_e32 v82, v82
	v_cvt_f16_f32_e32 v83, v83
	v_accvgpr_write_b32 a0, v138
	v_pack_b32_f16 v225, v78, v79
	v_accvgpr_write_b32 a1, v139
	v_pack_b32_f16 v224, v82, v83
	ds_read_u16 v78, v134 offset:96
	ds_read_u16 v82, v205 offset:528
	ds_read_u16 v79, v205 offset:1056
	ds_read_u16 v83, v136 offset:96
	v_accvgpr_write_b32 a2, v140
	v_accvgpr_write_b32 a3, v141
	s_waitcnt lgkmcnt(2)
	v_perm_b32 v78, v82, v78, s53
	ds_read_u16 v128, v115 offset:16896
	ds_read_u16 v142, v174 offset:528
	ds_read_u16 v143, v198 offset:1056
	ds_read_u16 v144, v235 offset:16896
	s_waitcnt lgkmcnt(4)
	v_perm_b32 v79, v83, v79, s53
	;; [unrolled: 56-line block ×4, first 2 shown]
	s_nop 1
	v_mfma_f32_16x16x16f16 a[0:3], v[78:79], v[120:121], a[0:3]
	s_nop 7
	s_nop 2
	v_accvgpr_read_b32 v78, a0
	v_cvt_f16_f32_e32 v78, v78
	v_accvgpr_read_b32 v79, a1
	v_accvgpr_read_b32 v82, a2
	;; [unrolled: 1-line block ×3, first 2 shown]
	v_cvt_f16_f32_e32 v79, v79
	v_cvt_f16_f32_e32 v82, v82
	;; [unrolled: 1-line block ×3, first 2 shown]
	v_cvt_f32_f16_e32 v138, v78
	v_cvt_f32_f16_e32 v139, v79
	;; [unrolled: 1-line block ×4, first 2 shown]
	s_waitcnt lgkmcnt(0)
	v_perm_b32 v79, v144, v143, s53
	v_perm_b32 v78, v142, v128, s53
	v_accvgpr_write_b32 a0, v138
	v_accvgpr_write_b32 a1, v139
	;; [unrolled: 1-line block ×4, first 2 shown]
	v_cvt_f32_f16_e32 v138, v241
	v_cvt_f32_f16_sdwa v139, v241 dst_sel:DWORD dst_unused:UNUSED_PAD src0_sel:WORD_1
	v_mfma_f32_16x16x16f16 a[0:3], v[78:79], v[118:119], a[0:3]
	v_cvt_f32_f16_e32 v140, v72
	v_cvt_f32_f16_sdwa v141, v72 dst_sel:DWORD dst_unused:UNUSED_PAD src0_sel:WORD_1
	s_nop 7
	s_nop 0
	v_accvgpr_read_b32 v78, a0
	v_accvgpr_read_b32 v79, a1
	;; [unrolled: 1-line block ×4, first 2 shown]
	v_cvt_f16_f32_e32 v78, v78
	v_cvt_f16_f32_e32 v79, v79
	;; [unrolled: 1-line block ×4, first 2 shown]
	v_accvgpr_write_b32 a0, v138
	v_pack_b32_f16 v190, v78, v79
	v_accvgpr_write_b32 a1, v139
	v_pack_b32_f16 v188, v82, v83
	ds_read_u16 v78, v134 offset:192
	ds_read_u16 v82, v195 offset:528
	;; [unrolled: 1-line block ×4, first 2 shown]
	v_accvgpr_write_b32 a2, v140
	v_accvgpr_write_b32 a3, v141
	s_waitcnt lgkmcnt(2)
	v_perm_b32 v78, v82, v78, s53
	s_waitcnt lgkmcnt(0)
	v_perm_b32 v79, v83, v79, s53
	ds_read_u16 v83, v154 offset:16896
	ds_read_u16 v128, v177 offset:528
	;; [unrolled: 1-line block ×4, first 2 shown]
	v_mfma_f32_16x16x16f16 a[0:3], v[78:79], v[120:121], a[0:3]
	s_nop 7
	s_nop 2
	v_accvgpr_read_b32 v72, a0
	v_cvt_f16_f32_e32 v72, v72
	v_accvgpr_read_b32 v78, a1
	v_accvgpr_read_b32 v79, a2
	;; [unrolled: 1-line block ×3, first 2 shown]
	v_cvt_f16_f32_e32 v78, v78
	v_cvt_f16_f32_e32 v79, v79
	;; [unrolled: 1-line block ×3, first 2 shown]
	v_cvt_f32_f16_e32 v138, v72
	v_cvt_f32_f16_e32 v139, v78
	;; [unrolled: 1-line block ×4, first 2 shown]
	s_waitcnt lgkmcnt(0)
	v_perm_b32 v79, v143, v142, s53
	v_perm_b32 v78, v128, v83, s53
	v_accvgpr_write_b32 a0, v138
	v_accvgpr_write_b32 a1, v139
	;; [unrolled: 1-line block ×4, first 2 shown]
	v_cvt_f32_f16_e32 v138, v240
	v_cvt_f32_f16_sdwa v139, v240 dst_sel:DWORD dst_unused:UNUSED_PAD src0_sel:WORD_1
	v_mfma_f32_16x16x16f16 a[0:3], v[78:79], v[118:119], a[0:3]
	v_cvt_f32_f16_e32 v140, v109
	v_cvt_f32_f16_sdwa v141, v109 dst_sel:DWORD dst_unused:UNUSED_PAD src0_sel:WORD_1
	s_nop 7
	s_nop 0
	v_accvgpr_read_b32 v72, a0
	v_accvgpr_read_b32 v78, a1
	;; [unrolled: 1-line block ×4, first 2 shown]
	v_cvt_f16_f32_e32 v72, v72
	v_cvt_f16_f32_e32 v78, v78
	;; [unrolled: 1-line block ×4, first 2 shown]
	v_accvgpr_write_b32 a0, v138
	v_pack_b32_f16 v72, v72, v78
	v_accvgpr_write_b32 a1, v139
	v_pack_b32_f16 v239, v79, v82
	ds_read_u16 v78, v134 offset:224
	ds_read_u16 v82, v197 offset:528
	;; [unrolled: 1-line block ×4, first 2 shown]
	v_accvgpr_write_b32 a2, v140
	v_accvgpr_write_b32 a3, v141
	s_waitcnt lgkmcnt(2)
	v_perm_b32 v78, v82, v78, s53
	ds_read_u16 v109, v158 offset:16896
	ds_read_u16 v128, v178 offset:528
	;; [unrolled: 1-line block ×4, first 2 shown]
	s_waitcnt lgkmcnt(4)
	v_perm_b32 v79, v83, v79, s53
	s_nop 1
	v_mfma_f32_16x16x16f16 a[0:3], v[78:79], v[120:121], a[0:3]
	s_nop 7
	s_nop 2
	v_accvgpr_read_b32 v78, a0
	v_cvt_f16_f32_e32 v78, v78
	v_accvgpr_read_b32 v79, a1
	v_accvgpr_read_b32 v82, a2
	;; [unrolled: 1-line block ×3, first 2 shown]
	v_cvt_f16_f32_e32 v79, v79
	v_cvt_f16_f32_e32 v82, v82
	v_cvt_f16_f32_e32 v83, v83
	v_cvt_f32_f16_e32 v138, v78
	v_cvt_f32_f16_e32 v139, v79
	;; [unrolled: 1-line block ×4, first 2 shown]
	s_waitcnt lgkmcnt(0)
	v_perm_b32 v79, v143, v142, s53
	v_perm_b32 v78, v128, v109, s53
	v_accvgpr_write_b32 a0, v138
	v_accvgpr_write_b32 a1, v139
	;; [unrolled: 1-line block ×4, first 2 shown]
	v_cvt_f32_f16_e32 v138, v68
	v_cvt_f32_f16_sdwa v139, v68 dst_sel:DWORD dst_unused:UNUSED_PAD src0_sel:WORD_1
	v_mfma_f32_16x16x16f16 a[0:3], v[78:79], v[118:119], a[0:3]
	v_cvt_f32_f16_e32 v140, v113
	v_cvt_f32_f16_sdwa v141, v113 dst_sel:DWORD dst_unused:UNUSED_PAD src0_sel:WORD_1
	s_nop 7
	s_nop 0
	v_accvgpr_read_b32 v78, a0
	v_accvgpr_read_b32 v79, a1
	;; [unrolled: 1-line block ×4, first 2 shown]
	v_cvt_f16_f32_e32 v78, v78
	v_cvt_f16_f32_e32 v79, v79
	;; [unrolled: 1-line block ×4, first 2 shown]
	v_accvgpr_write_b32 a0, v138
	v_pack_b32_f16 v240, v78, v79
	v_accvgpr_write_b32 a1, v139
	v_pack_b32_f16 v109, v82, v83
	ds_read_u16 v78, v134 offset:256
	ds_read_u16 v82, v117 offset:528
	;; [unrolled: 1-line block ×4, first 2 shown]
	v_accvgpr_write_b32 a2, v140
	v_accvgpr_write_b32 a3, v141
	s_waitcnt lgkmcnt(2)
	v_perm_b32 v78, v82, v78, s53
	s_waitcnt lgkmcnt(0)
	v_perm_b32 v79, v83, v79, s53
	ds_read_u16 v83, v153 offset:16896
	ds_read_u16 v113, v179 offset:528
	;; [unrolled: 1-line block ×4, first 2 shown]
	v_mfma_f32_16x16x16f16 a[0:3], v[78:79], v[120:121], a[0:3]
	s_nop 7
	s_nop 2
	v_accvgpr_read_b32 v68, a0
	v_cvt_f16_f32_e32 v68, v68
	v_accvgpr_read_b32 v78, a1
	v_accvgpr_read_b32 v79, a2
	v_accvgpr_read_b32 v82, a3
	v_cvt_f16_f32_e32 v78, v78
	v_cvt_f16_f32_e32 v79, v79
	v_cvt_f16_f32_e32 v82, v82
	v_cvt_f32_f16_e32 v138, v68
	v_cvt_f32_f16_e32 v139, v78
	v_cvt_f32_f16_e32 v140, v79
	v_cvt_f32_f16_e32 v141, v82
	s_waitcnt lgkmcnt(0)
	v_perm_b32 v79, v142, v128, s53
	v_perm_b32 v78, v113, v83, s53
	v_accvgpr_write_b32 a0, v138
	v_accvgpr_write_b32 a1, v139
	v_accvgpr_write_b32 a2, v140
	v_accvgpr_write_b32 a3, v141
	v_cvt_f32_f16_e32 v138, v254
	v_cvt_f32_f16_sdwa v139, v254 dst_sel:DWORD dst_unused:UNUSED_PAD src0_sel:WORD_1
	v_mfma_f32_16x16x16f16 a[0:3], v[78:79], v[118:119], a[0:3]
	v_cvt_f32_f16_e32 v140, v253
	v_cvt_f32_f16_sdwa v141, v253 dst_sel:DWORD dst_unused:UNUSED_PAD src0_sel:WORD_1
	s_nop 7
	s_nop 0
	v_accvgpr_read_b32 v68, a0
	v_accvgpr_read_b32 v78, a1
	v_accvgpr_read_b32 v79, a2
	v_accvgpr_read_b32 v82, a3
	v_cvt_f16_f32_e32 v68, v68
	v_cvt_f16_f32_e32 v78, v78
	v_cvt_f16_f32_e32 v79, v79
	v_cvt_f16_f32_e32 v82, v82
	v_accvgpr_write_b32 a0, v138
	v_pack_b32_f16 v113, v68, v78
	v_accvgpr_write_b32 a1, v139
	v_pack_b32_f16 v182, v79, v82
	ds_read_u16 v68, v134 offset:288
	ds_read_u16 v78, v123 offset:528
	ds_read_u16 v79, v123 offset:1056
	ds_read_u16 v82, v136 offset:288
	v_accvgpr_write_b32 a2, v140
	v_accvgpr_write_b32 a3, v141
	s_waitcnt lgkmcnt(2)
	v_perm_b32 v78, v78, v68, s53
	ds_read_u16 v83, v155 offset:16896
	ds_read_u16 v128, v180 offset:528
	ds_read_u16 v142, v111 offset:1056
	ds_read_u16 v143, v164 offset:16896
	s_waitcnt lgkmcnt(4)
	v_perm_b32 v79, v82, v79, s53
	s_nop 1
	v_mfma_f32_16x16x16f16 a[0:3], v[78:79], v[120:121], a[0:3]
	s_nop 7
	s_nop 2
	v_accvgpr_read_b32 v68, a0
	v_cvt_f16_f32_e32 v68, v68
	v_accvgpr_read_b32 v78, a1
	v_accvgpr_read_b32 v79, a2
	v_accvgpr_read_b32 v82, a3
	v_cvt_f16_f32_e32 v78, v78
	v_cvt_f16_f32_e32 v79, v79
	v_cvt_f16_f32_e32 v82, v82
	v_cvt_f32_f16_e32 v138, v68
	v_cvt_f32_f16_e32 v139, v78
	v_cvt_f32_f16_e32 v140, v79
	v_cvt_f32_f16_e32 v141, v82
	s_waitcnt lgkmcnt(0)
	v_perm_b32 v79, v143, v142, s53
	v_perm_b32 v78, v128, v83, s53
	v_accvgpr_write_b32 a0, v138
	v_accvgpr_write_b32 a1, v139
	v_accvgpr_write_b32 a2, v140
	v_accvgpr_write_b32 a3, v141
	v_cvt_f32_f16_e32 v138, v247
	v_cvt_f32_f16_sdwa v139, v247 dst_sel:DWORD dst_unused:UNUSED_PAD src0_sel:WORD_1
	v_mfma_f32_16x16x16f16 a[0:3], v[78:79], v[118:119], a[0:3]
	v_cvt_f32_f16_e32 v140, v215
	v_cvt_f32_f16_sdwa v141, v215 dst_sel:DWORD dst_unused:UNUSED_PAD src0_sel:WORD_1
	s_nop 7
	s_nop 0
	v_accvgpr_read_b32 v68, a0
	v_accvgpr_read_b32 v78, a1
	v_accvgpr_read_b32 v79, a2
	v_accvgpr_read_b32 v82, a3
	v_cvt_f16_f32_e32 v68, v68
	v_cvt_f16_f32_e32 v78, v78
	v_cvt_f16_f32_e32 v79, v79
	v_cvt_f16_f32_e32 v82, v82
	v_accvgpr_write_b32 a0, v138
	v_pack_b32_f16 v254, v68, v78
	v_accvgpr_write_b32 a1, v139
	v_pack_b32_f16 v253, v79, v82
	ds_read_u16 v68, v134 offset:320
	ds_read_u16 v78, v125 offset:528
	ds_read_u16 v79, v125 offset:1056
	ds_read_u16 v82, v136 offset:320
	v_accvgpr_write_b32 a2, v140
	v_accvgpr_write_b32 a3, v141
	s_waitcnt lgkmcnt(2)
	v_perm_b32 v78, v78, v68, s53
	ds_read_u16 v83, v157 offset:16896
	ds_read_u16 v128, v181 offset:528
	ds_read_u16 v142, v35 offset:1056
	ds_read_u16 v143, v166 offset:16896
	s_waitcnt lgkmcnt(4)
	v_perm_b32 v79, v82, v79, s53
	s_nop 1
	;; [unrolled: 56-line block ×5, first 2 shown]
	v_mfma_f32_16x16x16f16 a[0:3], v[78:79], v[120:121], a[0:3]
	s_nop 7
	s_nop 2
	v_accvgpr_read_b32 v68, a0
	v_cvt_f16_f32_e32 v68, v68
	v_accvgpr_read_b32 v78, a1
	v_accvgpr_read_b32 v79, a2
	;; [unrolled: 1-line block ×3, first 2 shown]
	v_cvt_f16_f32_e32 v78, v78
	v_cvt_f16_f32_e32 v79, v79
	;; [unrolled: 1-line block ×3, first 2 shown]
	v_cvt_f32_f16_e32 v138, v68
	v_cvt_f32_f16_e32 v139, v78
	;; [unrolled: 1-line block ×4, first 2 shown]
	s_waitcnt lgkmcnt(0)
	v_perm_b32 v79, v143, v142, s53
	v_perm_b32 v78, v128, v83, s53
	v_accvgpr_write_b32 a0, v138
	v_accvgpr_write_b32 a1, v139
	;; [unrolled: 1-line block ×4, first 2 shown]
	v_cvt_f32_f16_e32 v138, v186
	v_cvt_f32_f16_sdwa v139, v186 dst_sel:DWORD dst_unused:UNUSED_PAD src0_sel:WORD_1
	v_mfma_f32_16x16x16f16 a[0:3], v[78:79], v[118:119], a[0:3]
	v_cvt_f32_f16_e32 v140, v74
	v_cvt_f32_f16_sdwa v141, v74 dst_sel:DWORD dst_unused:UNUSED_PAD src0_sel:WORD_1
	s_nop 7
	s_nop 0
	v_accvgpr_read_b32 v68, a0
	v_accvgpr_read_b32 v78, a1
	;; [unrolled: 1-line block ×4, first 2 shown]
	v_cvt_f16_f32_e32 v68, v68
	v_cvt_f16_f32_e32 v78, v78
	;; [unrolled: 1-line block ×4, first 2 shown]
	v_accvgpr_write_b32 a0, v138
	v_pack_b32_f16 v246, v68, v78
	v_accvgpr_write_b32 a1, v139
	v_pack_b32_f16 v245, v79, v82
	ds_read_u16 v68, v134 offset:448
	ds_read_u16 v78, v34 offset:528
	;; [unrolled: 1-line block ×4, first 2 shown]
	v_accvgpr_write_b32 a2, v140
	v_accvgpr_write_b32 a3, v141
	s_waitcnt lgkmcnt(2)
	v_perm_b32 v78, v78, v68, s53
	s_waitcnt lgkmcnt(0)
	v_perm_b32 v79, v82, v79, s53
	ds_read_u16 v82, v165 offset:16896
	ds_read_u16 v83, v216 offset:528
	;; [unrolled: 1-line block ×4, first 2 shown]
	v_mfma_f32_16x16x16f16 a[0:3], v[78:79], v[120:121], a[0:3]
	s_nop 7
	s_nop 2
	v_accvgpr_read_b32 v68, a0
	v_cvt_f16_f32_e32 v68, v68
	v_accvgpr_read_b32 v74, a1
	v_accvgpr_read_b32 v78, a2
	v_accvgpr_read_b32 v79, a3
	v_cvt_f16_f32_e32 v74, v74
	v_cvt_f16_f32_e32 v78, v78
	v_cvt_f16_f32_e32 v79, v79
	v_cvt_f32_f16_e32 v138, v68
	v_cvt_f32_f16_e32 v139, v74
	;; [unrolled: 1-line block ×4, first 2 shown]
	s_waitcnt lgkmcnt(0)
	v_perm_b32 v79, v142, v128, s53
	v_perm_b32 v78, v83, v82, s53
	v_accvgpr_write_b32 a0, v138
	v_accvgpr_write_b32 a1, v139
	;; [unrolled: 1-line block ×4, first 2 shown]
	v_cvt_f32_f16_e32 v138, v107
	v_cvt_f32_f16_sdwa v139, v107 dst_sel:DWORD dst_unused:UNUSED_PAD src0_sel:WORD_1
	v_mfma_f32_16x16x16f16 a[0:3], v[78:79], v[118:119], a[0:3]
	v_cvt_f32_f16_e32 v140, v130
	v_cvt_f32_f16_sdwa v141, v130 dst_sel:DWORD dst_unused:UNUSED_PAD src0_sel:WORD_1
	s_nop 7
	s_nop 0
	v_accvgpr_read_b32 v68, a0
	v_accvgpr_read_b32 v74, a1
	;; [unrolled: 1-line block ×4, first 2 shown]
	v_cvt_f16_f32_e32 v68, v68
	v_cvt_f16_f32_e32 v74, v74
	;; [unrolled: 1-line block ×4, first 2 shown]
	v_accvgpr_write_b32 a0, v138
	v_pack_b32_f16 v186, v68, v74
	v_accvgpr_write_b32 a1, v139
	v_pack_b32_f16 v74, v78, v79
	ds_read_u16 v68, v134 offset:480
	ds_read_u16 v221, v250 offset:528
	;; [unrolled: 1-line block ×4, first 2 shown]
	v_accvgpr_write_b32 a2, v140
	v_accvgpr_write_b32 a3, v141
	s_waitcnt lgkmcnt(0)
	v_perm_b32 v79, v78, v241, s53
	v_perm_b32 v78, v221, v68, s53
	v_mov_b32_e32 v241, v232
	s_nop 0
	v_mfma_f32_16x16x16f16 a[0:3], v[78:79], v[120:121], a[0:3]
	ds_read_u16 v83, v184 offset:16896
	ds_read_u16 v107, v210 offset:528
	;; [unrolled: 1-line block ×4, first 2 shown]
	s_waitcnt lgkmcnt(0)
	s_barrier
	s_nop 4
	v_accvgpr_read_b32 v68, a0
	v_cvt_f16_f32_e32 v68, v68
	v_accvgpr_read_b32 v78, a1
	v_accvgpr_read_b32 v79, a2
	;; [unrolled: 1-line block ×3, first 2 shown]
	v_cvt_f16_f32_e32 v78, v78
	v_cvt_f16_f32_e32 v79, v79
	;; [unrolled: 1-line block ×3, first 2 shown]
	v_cvt_f32_f16_e32 v138, v68
	v_cvt_f32_f16_e32 v139, v78
	;; [unrolled: 1-line block ×4, first 2 shown]
	v_perm_b32 v79, v121, v120, s53
	v_perm_b32 v78, v107, v83, s53
	v_accvgpr_write_b32 a0, v138
	v_accvgpr_write_b32 a1, v139
	;; [unrolled: 1-line block ×4, first 2 shown]
	s_nop 1
	v_mfma_f32_16x16x16f16 a[0:3], v[78:79], v[118:119], a[0:3]
	s_nop 7
	s_nop 2
	v_accvgpr_read_b32 v68, a0
	v_accvgpr_read_b32 v78, a1
	v_cvt_f16_f32_e32 v68, v68
	v_cvt_f16_f32_e32 v78, v78
	v_accvgpr_read_b32 v79, a2
	v_accvgpr_read_b32 v82, a3
	v_cvt_f16_f32_e32 v79, v79
	v_pack_b32_f16 v107, v68, v78
	v_mov_b32_e32 v68, s67
	v_addc_co_u32_e32 v1, vcc, v1, v68, vcc
	v_add_co_u32_e32 v88, vcc, s66, v88
	v_addc_co_u32_e32 v69, vcc, v69, v68, vcc
	v_add_co_u32_e32 v90, vcc, s66, v90
	;; [unrolled: 2-line block ×8, first 2 shown]
	v_mov_b32_e32 v68, s69
	v_addc_co_u32_e32 v91, vcc, v91, v68, vcc
	v_add_co_u32_e32 v104, vcc, s68, v104
	v_addc_co_u32_e32 v93, vcc, v93, v68, vcc
	v_add_co_u32_e32 v106, vcc, s68, v106
	;; [unrolled: 2-line block ×5, first 2 shown]
	v_cvt_f16_f32_e32 v82, v82
	v_addc_co_u32_e32 v101, vcc, v101, v68, vcc
	v_add_co_u32_e32 v114, vcc, s68, v114
	v_addc_co_u32_e32 v103, vcc, v103, v68, vcc
	v_add_co_u32_e32 v116, vcc, s68, v116
	v_pack_b32_f16 v120, v79, v82
	v_addc_co_u32_e32 v105, vcc, v105, v68, vcc
	s_cbranch_scc1 .LBB29_185
; %bb.186:                              ;   in Loop: Header=BB29_14 Depth=1
	v_accvgpr_read_b32 v36, a132
	v_accvgpr_read_b32 v38, a136
	;; [unrolled: 1-line block ×11, first 2 shown]
	v_mov_b32_e32 v252, v133
	v_mov_b32_e32 v133, v137
	;; [unrolled: 1-line block ×45, first 2 shown]
	v_accvgpr_read_b32 v210, a24
	v_accvgpr_read_b32 v206, a26
	;; [unrolled: 1-line block ×21, first 2 shown]
.LBB29_187:                             ;   in Loop: Header=BB29_14 Depth=1
	s_lshl_b32 s58, s72, 6
	s_lshl_b64 s[8:9], s[58:59], 1
	v_add_co_u32_e32 v1, vcc, s8, v145
	v_mov_b32_e32 v68, s9
	v_addc_co_u32_e32 v68, vcc, v143, v68, vcc
	v_lshlrev_b32_e32 v69, 1, v128
	v_add_co_u32_e32 v1, vcc, v1, v69
	v_addc_co_u32_e32 v71, vcc, 0, v68, vcc
	v_lshlrev_b64 v[68:69], 1, v[78:79]
	v_add_co_u32_e32 v68, vcc, v1, v68
	v_addc_co_u32_e32 v69, vcc, v71, v69, vcc
	global_load_dword v68, v[68:69], off
	v_accvgpr_read_b32 v69, a127
	v_accvgpr_read_b32 v73, a130
	v_add_u32_e32 v73, v73, v69
	s_mul_i32 s8, s35, s58
	s_mul_hi_u32 s9, s34, s58
	s_add_i32 s9, s9, s8
	s_mul_i32 s8, s34, s58
	s_lshl_b64 s[8:9], s[8:9], 2
	s_add_u32 s8, s10, s8
	s_addc_u32 s9, s11, s9
	s_waitcnt vmcnt(0)
	ds_write_b32 v73, v68 offset:33792
	v_lshlrev_b64 v[68:69], 1, v[82:83]
	v_add_co_u32_e32 v68, vcc, v1, v68
	v_addc_co_u32_e32 v69, vcc, v71, v69, vcc
	global_load_dword v1, v[68:69], off
	v_mov_b32_e32 v68, s9
	s_waitcnt vmcnt(0)
	ds_write_b32 v73, v1 offset:34944
	v_add_co_u32_e32 v1, vcc, s8, v52
	v_addc_co_u32_e32 v69, vcc, v68, v53, vcc
	v_add_co_u32_e32 v68, vcc, v1, v183
	v_addc_co_u32_e32 v69, vcc, 0, v69, vcc
	global_load_dwordx4 v[76:79], v[68:69], off
	v_add_co_u32_e32 v1, vcc, s8, v54
	v_mov_b32_e32 v68, s9
	v_addc_co_u32_e32 v69, vcc, v68, v55, vcc
	v_add_co_u32_e32 v68, vcc, v1, v183
	v_addc_co_u32_e32 v69, vcc, 0, v69, vcc
	v_add_co_u32_e32 v1, vcc, s8, v56
	s_waitcnt vmcnt(0)
	ds_write_b128 v131, v[76:79]
	global_load_dwordx4 v[76:79], v[68:69], off
	v_mov_b32_e32 v68, s9
	v_addc_co_u32_e32 v69, vcc, v68, v57, vcc
	v_add_co_u32_e32 v68, vcc, v1, v183
	v_addc_co_u32_e32 v69, vcc, 0, v69, vcc
	v_add_co_u32_e32 v1, vcc, s8, v58
	s_waitcnt vmcnt(0)
	ds_write_b128 v217, v[76:79]
	global_load_dwordx4 v[76:79], v[68:69], off
	;; [unrolled: 8-line block ×5, first 2 shown]
	v_mov_b32_e32 v68, s9
	v_addc_co_u32_e32 v69, vcc, v68, v65, vcc
	v_add_co_u32_e32 v68, vcc, v1, v183
	v_addc_co_u32_e32 v69, vcc, 0, v69, vcc
	v_add_co_u32_e32 v1, vcc, s8, v66
	s_mul_i32 s8, s31, s58
	s_waitcnt vmcnt(0)
	ds_write_b128 v213, v[76:79]
	global_load_dwordx4 v[76:79], v[68:69], off
	v_mov_b32_e32 v68, s9
	v_addc_co_u32_e32 v69, vcc, v68, v67, vcc
	v_add_co_u32_e32 v68, vcc, v1, v183
	v_addc_co_u32_e32 v69, vcc, 0, v69, vcc
	v_add_u32_e32 v1, 0x4000, v132
	v_cmp_lt_i32_e32 vcc, v81, v75
	s_mul_hi_u32 s9, s30, s58
	s_add_i32 s9, s9, s8
	s_mul_i32 s8, s30, s58
	s_lshl_b64 s[8:9], s[8:9], 2
	s_add_u32 s8, s49, s8
	s_addc_u32 s7, s7, s9
	s_cmp_eq_u64 s[70:71], 0
	s_waitcnt vmcnt(0)
	ds_write_b128 v214, v[76:79]
	global_load_dwordx4 v[76:79], v[68:69], off
	s_waitcnt vmcnt(0)
	ds_write_b128 v207, v[76:79]
	s_waitcnt lgkmcnt(0)
	s_barrier
	ds_read2_b64 v[76:79], v132 offset1:4
	s_waitcnt lgkmcnt(0)
	v_mfma_f32_16x16x16f16 a[0:3], v[76:77], v[30:31], 0
	ds_read2_b64 v[82:85], v1 offset0:64 offset1:68
	v_mfma_f32_16x16x16f16 a[0:3], v[78:79], v[32:33], a[0:3]
	ds_read2_b64 v[76:79], v132 offset0:8 offset1:12
	s_waitcnt lgkmcnt(0)
	v_mfma_f32_16x16x16f16 a[0:3], v[76:77], v[26:27], a[0:3]
	v_mfma_f32_16x16x16f16 a[0:3], v[78:79], v[28:29], a[0:3]
	ds_read2_b64 v[76:79], v132 offset0:16 offset1:20
	s_waitcnt lgkmcnt(0)
	v_mfma_f32_16x16x16f16 a[0:3], v[76:77], v[22:23], a[0:3]
	;; [unrolled: 4-line block ×7, first 2 shown]
	v_mfma_f32_16x16x16f16 a[0:3], v[78:79], v[4:5], a[0:3]
	s_nop 7
	s_nop 2
	v_accvgpr_read_b32 v77, a3
	v_accvgpr_read_b32 v76, a2
	v_mfma_f32_16x16x16f16 a[2:5], v[82:83], v[30:31], 0
	v_mfma_f32_16x16x16f16 a[2:5], v[84:85], v[32:33], a[2:5]
	ds_read2_b64 v[30:33], v1 offset0:72 offset1:76
	s_waitcnt lgkmcnt(0)
	v_mfma_f32_16x16x16f16 a[2:5], v[30:31], v[26:27], a[2:5]
	v_mfma_f32_16x16x16f16 a[2:5], v[32:33], v[28:29], a[2:5]
	ds_read2_b64 v[26:29], v1 offset0:80 offset1:84
	s_waitcnt lgkmcnt(0)
	v_mfma_f32_16x16x16f16 a[2:5], v[26:27], v[22:23], a[2:5]
	v_mfma_f32_16x16x16f16 a[2:5], v[28:29], v[24:25], a[2:5]
	ds_read2_b64 v[22:25], v1 offset0:88 offset1:92
	s_waitcnt lgkmcnt(0)
	v_mfma_f32_16x16x16f16 a[2:5], v[22:23], v[18:19], a[2:5]
	v_mfma_f32_16x16x16f16 a[2:5], v[24:25], v[20:21], a[2:5]
	ds_read2_b64 v[18:21], v1 offset0:96 offset1:100
	s_waitcnt lgkmcnt(0)
	v_mfma_f32_16x16x16f16 a[2:5], v[18:19], v[14:15], a[2:5]
	v_mfma_f32_16x16x16f16 a[2:5], v[20:21], v[16:17], a[2:5]
	ds_read2_b64 v[14:17], v1 offset0:104 offset1:108
	s_waitcnt lgkmcnt(0)
	v_mfma_f32_16x16x16f16 a[2:5], v[14:15], v[10:11], a[2:5]
	v_mfma_f32_16x16x16f16 a[2:5], v[16:17], v[12:13], a[2:5]
	ds_read2_b64 v[10:13], v1 offset0:112 offset1:116
	s_waitcnt lgkmcnt(0)
	v_mfma_f32_16x16x16f16 a[2:5], v[10:11], v[6:7], a[2:5]
	v_accvgpr_read_b32 v11, a1
	v_accvgpr_read_b32 v10, a0
	v_mfma_f32_16x16x16f16 a[2:5], v[12:13], v[8:9], a[2:5]
	ds_read2_b64 v[6:9], v1 offset0:120 offset1:124
	v_add_u32_e32 v1, 0x8400, v241
	s_waitcnt lgkmcnt(0)
	s_barrier
	v_mfma_f32_16x16x16f16 a[2:5], v[6:7], v[2:3], a[2:5]
	ds_read2_b32 v[6:7], v1 offset1:1
	v_cndmask_b32_e32 v3, v237, v81, vcc
	v_cmp_lt_i32_e32 vcc, v86, v75
	v_accvgpr_read_b32 v1, a25
	ds_read_b32 v1, v1 offset:33792
	ds_read_b32 v2, v204 offset:33792
	v_lshlrev_b32_e32 v3, 2, v3
	v_mfma_f32_16x16x16f16 a[2:5], v[8:9], v[4:5], a[2:5]
	v_cndmask_b32_e32 v8, v237, v86, vcc
	v_lshlrev_b32_e32 v71, 2, v8
	s_waitcnt lgkmcnt(2)
	v_cvt_f32_f16_e32 v8, v6
	v_cvt_f32_f16_sdwa v9, v6 dst_sel:DWORD dst_unused:UNUSED_PAD src0_sel:WORD_1
	v_pk_add_f32 v[8:9], v[10:11], v[8:9]
	v_add_f32_e32 v6, 0x40051340, v8
	v_add_f32_e32 v10, 0x40051340, v9
	v_max3_f32 v14, v80, v6, v10
	s_waitcnt lgkmcnt(0)
	v_cvt_f32_f16_sdwa v11, v2 dst_sel:DWORD dst_unused:UNUSED_PAD src0_sel:WORD_1
	v_cvt_f32_f16_e32 v10, v2
	v_accvgpr_read_b32 v5, a5
	v_accvgpr_read_b32 v4, a4
	v_cvt_f32_f16_e32 v6, v7
	v_cvt_f32_f16_sdwa v7, v7 dst_sel:DWORD dst_unused:UNUSED_PAD src0_sel:WORD_1
	v_pk_add_f32 v[4:5], v[4:5], v[10:11]
	v_cvt_f32_f16_sdwa v11, v1 dst_sel:DWORD dst_unused:UNUSED_PAD src0_sel:WORD_1
	v_cvt_f32_f16_e32 v10, v1
	v_accvgpr_read_b32 v13, a3
	v_accvgpr_read_b32 v12, a2
	v_pk_add_f32 v[6:7], v[76:77], v[6:7]
	v_pk_add_f32 v[10:11], v[12:13], v[10:11]
	v_add_f32_e32 v13, 0x40051340, v6
	v_add_f32_e32 v16, 0x40051340, v7
	;; [unrolled: 1-line block ×4, first 2 shown]
	v_max3_f32 v13, v14, v13, v16
	v_add_f32_e32 v2, 0x40051340, v4
	v_add_f32_e32 v15, 0x40051340, v5
	v_max3_f32 v1, v13, v1, v12
	v_max3_f32 v1, v1, v2, v15
	ds_bpermute_b32 v2, v3, v1
	s_waitcnt lgkmcnt(0)
	v_max_f32_e32 v2, v2, v2
	v_max_f32_e32 v1, v1, v2
	ds_bpermute_b32 v2, v71, v1
	s_waitcnt lgkmcnt(0)
	v_max_f32_e32 v2, v2, v2
	v_max_f32_e32 v2, v1, v2
	v_pk_add_f32 v[8:9], v[8:9], v[2:3] op_sel_hi:[1,0] neg_lo:[0,1] neg_hi:[0,1]
	v_mul_f32_e32 v1, 0x3fb8aa3b, v9
	v_fma_f32 v12, v9, s43, -v1
	v_rndne_f32_e32 v13, v1
	v_fmac_f32_e32 v12, 0x32a5705f, v9
	v_sub_f32_e32 v1, v1, v13
	v_add_f32_e32 v1, v1, v12
	v_exp_f32_e32 v1, v1
	v_cvt_i32_f32_e32 v12, v13
	v_cmp_ngt_f32_e32 vcc, s65, v9
	v_pk_add_f32 v[6:7], v[6:7], v[2:3] op_sel_hi:[1,0] neg_lo:[0,1] neg_hi:[0,1]
	v_pk_add_f32 v[4:5], v[4:5], v[2:3] op_sel_hi:[1,0] neg_lo:[0,1] neg_hi:[0,1]
	v_ldexp_f32 v1, v1, v12
	v_cndmask_b32_e32 v1, 0, v1, vcc
	v_cmp_nlt_f32_e32 vcc, s95, v9
	v_cndmask_b32_e32 v9, v242, v1, vcc
	v_mul_f32_e32 v1, 0x3fb8aa3b, v8
	v_fma_f32 v12, v8, s43, -v1
	v_rndne_f32_e32 v13, v1
	v_fmac_f32_e32 v12, 0x32a5705f, v8
	v_sub_f32_e32 v1, v1, v13
	v_add_f32_e32 v1, v1, v12
	v_exp_f32_e32 v1, v1
	v_cvt_i32_f32_e32 v12, v13
	v_cmp_ngt_f32_e32 vcc, s65, v8
	v_ldexp_f32 v1, v1, v12
	v_cndmask_b32_e32 v1, 0, v1, vcc
	v_cmp_nlt_f32_e32 vcc, s95, v8
	v_cndmask_b32_e32 v8, v242, v1, vcc
	v_mul_f32_e32 v1, 0x3fb8aa3b, v7
	v_fma_f32 v12, v7, s43, -v1
	v_rndne_f32_e32 v13, v1
	v_fmac_f32_e32 v12, 0x32a5705f, v7
	v_sub_f32_e32 v1, v1, v13
	v_add_f32_e32 v1, v1, v12
	v_exp_f32_e32 v1, v1
	v_cvt_i32_f32_e32 v12, v13
	v_cmp_ngt_f32_e32 vcc, s65, v7
	;; [unrolled: 13-line block ×3, first 2 shown]
	v_ldexp_f32 v1, v1, v7
	v_cndmask_b32_e32 v1, 0, v1, vcc
	v_cmp_nlt_f32_e32 vcc, s95, v6
	v_pk_add_f32 v[6:7], v[10:11], v[2:3] op_sel_hi:[1,0] neg_lo:[0,1] neg_hi:[0,1]
	v_cndmask_b32_e32 v68, v242, v1, vcc
	v_mul_f32_e32 v1, 0x3fb8aa3b, v7
	v_fma_f32 v10, v7, s43, -v1
	v_rndne_f32_e32 v11, v1
	v_fmac_f32_e32 v10, 0x32a5705f, v7
	v_sub_f32_e32 v1, v1, v11
	v_add_f32_e32 v1, v1, v10
	v_exp_f32_e32 v1, v1
	v_cvt_i32_f32_e32 v10, v11
	v_cmp_ngt_f32_e32 vcc, s65, v7
	v_ldexp_f32 v1, v1, v10
	v_cndmask_b32_e32 v1, 0, v1, vcc
	v_cmp_nlt_f32_e32 vcc, s95, v7
	v_cndmask_b32_e32 v77, v242, v1, vcc
	v_mul_f32_e32 v1, 0x3fb8aa3b, v6
	v_fma_f32 v7, v6, s43, -v1
	v_rndne_f32_e32 v10, v1
	v_fmac_f32_e32 v7, 0x32a5705f, v6
	v_sub_f32_e32 v1, v1, v10
	v_add_f32_e32 v1, v1, v7
	v_exp_f32_e32 v1, v1
	v_cvt_i32_f32_e32 v7, v10
	v_cmp_ngt_f32_e32 vcc, s65, v6
	v_ldexp_f32 v1, v1, v7
	v_cndmask_b32_e32 v1, 0, v1, vcc
	v_cmp_nlt_f32_e32 vcc, s95, v6
	v_cndmask_b32_e32 v78, v242, v1, vcc
	v_mul_f32_e32 v1, 0x3fb8aa3b, v5
	v_fma_f32 v6, v5, s43, -v1
	v_rndne_f32_e32 v7, v1
	v_fmac_f32_e32 v6, 0x32a5705f, v5
	v_sub_f32_e32 v1, v1, v7
	v_add_f32_e32 v1, v1, v6
	v_exp_f32_e32 v1, v1
	v_cvt_i32_f32_e32 v6, v7
	v_cmp_ngt_f32_e32 vcc, s65, v5
	v_ldexp_f32 v1, v1, v6
	v_cndmask_b32_e32 v1, 0, v1, vcc
	v_cmp_nlt_f32_e32 vcc, s95, v5
	v_cndmask_b32_e32 v79, v242, v1, vcc
	v_mul_f32_e32 v1, 0x3fb8aa3b, v4
	v_fma_f32 v5, v4, s43, -v1
	v_rndne_f32_e32 v6, v1
	v_fmac_f32_e32 v5, 0x32a5705f, v4
	v_sub_f32_e32 v1, v1, v6
	v_add_f32_e32 v1, v1, v5
	v_exp_f32_e32 v1, v1
	v_cvt_i32_f32_e32 v5, v6
	v_cmp_ngt_f32_e32 vcc, s65, v4
	v_ldexp_f32 v1, v1, v5
	v_cndmask_b32_e32 v1, 0, v1, vcc
	v_cmp_nlt_f32_e32 vcc, s95, v4
	v_cndmask_b32_e32 v81, v242, v1, vcc
	v_add_f32_e32 v1, v8, v9
	v_add_f32_e32 v1, v68, v1
	;; [unrolled: 1-line block ×7, first 2 shown]
	v_sub_f32_e32 v1, v80, v2
	v_mul_f32_e32 v4, 0x3fb8aa3b, v1
	v_fma_f32 v5, v1, s43, -v4
	v_rndne_f32_e32 v6, v4
	v_fmac_f32_e32 v5, 0x32a5705f, v1
	v_sub_f32_e32 v4, v4, v6
	v_add_f32_e32 v4, v4, v5
	v_exp_f32_e32 v4, v4
	v_cvt_i32_f32_e32 v5, v6
	v_cmp_ngt_f32_e32 vcc, s65, v1
	v_cvt_f16_f32_e32 v8, v8
	v_cvt_f16_f32_e32 v9, v9
	v_ldexp_f32 v4, v4, v5
	v_cndmask_b32_e32 v4, 0, v4, vcc
	v_cmp_nlt_f32_e32 vcc, s95, v1
	v_cndmask_b32_e32 v4, v242, v4, vcc
	v_cmp_le_f32_e32 vcc, s54, v1
	v_cndmask_b32_e32 v1, 0, v4, vcc
	v_cvt_f16_f32_e32 v32, v1
	v_fmac_f32_e32 v73, v233, v1
	ds_bpermute_b32 v3, v3, v73
	v_pk_mul_f16 v4, v32, v229 op_sel_hi:[0,1]
	v_pk_mul_f16 v1, v32, v228 op_sel_hi:[0,1]
	;; [unrolled: 1-line block ×32, first 2 shown]
	v_pack_b32_f16 v32, v8, v9
	v_cvt_f16_f32_e32 v8, v33
	v_cvt_f16_f32_e32 v9, v68
	;; [unrolled: 1-line block ×3, first 2 shown]
	v_accvgpr_read_b32 v244, a131
	v_accvgpr_read_b32 v245, a134
	v_pack_b32_f16 v33, v9, v8
	v_cvt_f16_f32_e32 v8, v77
	v_cvt_f16_f32_e32 v9, v78
	v_mov_b32_e32 v77, s7
	v_accvgpr_read_b32 v246, a135
	v_accvgpr_read_b32 v247, a138
	v_pack_b32_f16 v8, v9, v8
	v_cvt_f16_f32_e32 v9, v79
	s_waitcnt lgkmcnt(0)
	v_add_f32_e32 v3, v73, v3
	v_pack_b32_f16 v9, v68, v9
	v_add_co_u32_e32 v68, vcc, s8, v36
	v_addc_co_u32_e32 v77, vcc, v77, v37, vcc
	v_add_co_u32_e32 v78, vcc, v68, v183
	v_addc_co_u32_e32 v79, vcc, 0, v77, vcc
	global_load_dwordx4 v[78:81], v[78:79], off
	v_add_co_u32_e32 v68, vcc, s8, v38
	v_mov_b32_e32 v77, s7
	v_addc_co_u32_e32 v77, vcc, v77, v39, vcc
	v_add_co_u32_e32 v82, vcc, v68, v183
	v_addc_co_u32_e32 v83, vcc, 0, v77, vcc
	v_add_co_u32_e32 v68, vcc, s8, v40
	v_mov_b32_e32 v77, s7
	v_addc_co_u32_e32 v77, vcc, v77, v41, vcc
	v_add_co_u32_e32 v84, vcc, v68, v183
	v_addc_co_u32_e32 v85, vcc, 0, v77, vcc
	;; [unrolled: 5-line block ×7, first 2 shown]
	s_cselect_b64 s[8:9], -1, 0
	s_xor_b64 s[10:11], s[0:1], -1
	s_or_b64 s[8:9], s[10:11], s[8:9]
	s_waitcnt vmcnt(0)
	ds_write_b128 v131, v[78:81]
	global_load_dwordx4 v[78:81], v[82:83], off
	s_waitcnt vmcnt(0)
	ds_write_b128 v217, v[78:81]
	global_load_dwordx4 v[78:81], v[84:85], off
	;; [unrolled: 3-line block ×7, first 2 shown]
	s_waitcnt vmcnt(0)
	ds_write_b128 v207, v[78:81]
	s_waitcnt lgkmcnt(0)
	s_barrier
	ds_read_u16 v68, v135 offset:528
	ds_read_u16 v77, v135 offset:1056
	v_cvt_f32_f16_e32 v80, v1
	v_cvt_f32_f16_sdwa v81, v1 dst_sel:DWORD dst_unused:UNUSED_PAD src0_sel:WORD_1
	ds_read_u16 v1, v136
	ds_read_u16 v84, v136 offset:32
	v_cvt_f32_f16_e32 v78, v4
	v_cvt_f32_f16_sdwa v79, v4 dst_sel:DWORD dst_unused:UNUSED_PAD src0_sel:WORD_1
	s_waitcnt lgkmcnt(1)
	v_perm_b32 v83, v1, v77, s53
	ds_read_u16 v1, v134
	ds_read_u16 v77, v134 offset:32
	v_accvgpr_write_b32 a0, v78
	v_accvgpr_write_b32 a1, v79
	;; [unrolled: 1-line block ×3, first 2 shown]
	s_waitcnt lgkmcnt(1)
	v_perm_b32 v82, v68, v1, s53
	v_accvgpr_write_b32 a3, v81
	s_nop 1
	v_mfma_f32_16x16x16f16 a[0:3], v[82:83], v[32:33], a[0:3]
	ds_read_u16 v82, v134 offset:16896
	ds_read_u16 v85, v208 offset:528
	;; [unrolled: 1-line block ×4, first 2 shown]
	s_waitcnt lgkmcnt(2)
	v_perm_b32 v82, v85, v82, s53
	s_waitcnt lgkmcnt(0)
	v_perm_b32 v83, v86, v83, s53
	s_nop 2
	v_accvgpr_read_b32 v1, a0
	v_cvt_f16_f32_e32 v1, v1
	v_accvgpr_read_b32 v4, a1
	v_accvgpr_read_b32 v68, a2
	;; [unrolled: 1-line block ×3, first 2 shown]
	v_cvt_f16_f32_e32 v4, v4
	v_cvt_f16_f32_e32 v68, v68
	;; [unrolled: 1-line block ×3, first 2 shown]
	v_cvt_f32_f16_e32 v78, v1
	v_cvt_f32_f16_e32 v79, v4
	;; [unrolled: 1-line block ×4, first 2 shown]
	v_accvgpr_write_b32 a0, v78
	v_accvgpr_write_b32 a1, v79
	;; [unrolled: 1-line block ×4, first 2 shown]
	v_cvt_f32_f16_sdwa v79, v6 dst_sel:DWORD dst_unused:UNUSED_PAD src0_sel:WORD_1
	v_cvt_f32_f16_e32 v80, v5
	v_mfma_f32_16x16x16f16 a[0:3], v[82:83], v[8:9], a[0:3]
	v_cvt_f32_f16_sdwa v81, v5 dst_sel:DWORD dst_unused:UNUSED_PAD src0_sel:WORD_1
	s_nop 7
	s_nop 1
	v_accvgpr_read_b32 v1, a0
	v_accvgpr_read_b32 v4, a1
	;; [unrolled: 1-line block ×4, first 2 shown]
	v_cvt_f16_f32_e32 v1, v1
	v_cvt_f16_f32_e32 v4, v4
	;; [unrolled: 1-line block ×4, first 2 shown]
	v_pack_b32_f16 v4, v1, v4
	v_pack_b32_f16 v1, v68, v78
	ds_read_u16 v68, v209 offset:528
	ds_read_u16 v82, v209 offset:1056
	v_cvt_f32_f16_e32 v78, v6
	s_waitcnt lgkmcnt(0)
	v_perm_b32 v83, v84, v82, s53
	v_perm_b32 v82, v68, v77, s53
	v_accvgpr_write_b32 a0, v78
	v_accvgpr_write_b32 a1, v79
	v_accvgpr_write_b32 a2, v80
	v_accvgpr_write_b32 a3, v81
	s_nop 1
	v_mfma_f32_16x16x16f16 a[0:3], v[82:83], v[32:33], a[0:3]
	ds_read_u16 v82, v137 offset:16896
	ds_read_u16 v84, v171 offset:528
	ds_read_u16 v83, v202 offset:1056
	ds_read_u16 v85, v252 offset:16896
	s_waitcnt lgkmcnt(2)
	v_perm_b32 v82, v84, v82, s53
	s_waitcnt lgkmcnt(0)
	v_perm_b32 v83, v85, v83, s53
	s_nop 2
	v_accvgpr_read_b32 v5, a0
	v_cvt_f16_f32_e32 v5, v5
	v_accvgpr_read_b32 v6, a1
	v_accvgpr_read_b32 v68, a2
	v_accvgpr_read_b32 v77, a3
	v_cvt_f16_f32_e32 v6, v6
	v_cvt_f16_f32_e32 v68, v68
	v_cvt_f16_f32_e32 v77, v77
	v_cvt_f32_f16_e32 v78, v5
	v_cvt_f32_f16_e32 v79, v6
	v_cvt_f32_f16_e32 v80, v68
	v_cvt_f32_f16_e32 v81, v77
	v_accvgpr_write_b32 a0, v78
	v_accvgpr_write_b32 a1, v79
	v_accvgpr_write_b32 a2, v80
	v_accvgpr_write_b32 a3, v81
	v_cvt_f32_f16_e32 v78, v10
	v_cvt_f32_f16_sdwa v79, v10 dst_sel:DWORD dst_unused:UNUSED_PAD src0_sel:WORD_1
	v_mfma_f32_16x16x16f16 a[0:3], v[82:83], v[8:9], a[0:3]
	v_cvt_f32_f16_e32 v80, v7
	v_cvt_f32_f16_sdwa v81, v7 dst_sel:DWORD dst_unused:UNUSED_PAD src0_sel:WORD_1
	s_nop 7
	s_nop 0
	v_accvgpr_read_b32 v5, a0
	v_accvgpr_read_b32 v6, a1
	v_accvgpr_read_b32 v68, a2
	v_accvgpr_read_b32 v77, a3
	v_cvt_f16_f32_e32 v5, v5
	v_cvt_f16_f32_e32 v6, v6
	v_cvt_f16_f32_e32 v68, v68
	v_cvt_f16_f32_e32 v77, v77
	v_accvgpr_write_b32 a0, v78
	v_pack_b32_f16 v6, v5, v6
	v_accvgpr_write_b32 a1, v79
	v_pack_b32_f16 v5, v68, v77
	ds_read_u16 v68, v134 offset:64
	ds_read_u16 v77, v203 offset:528
	ds_read_u16 v82, v203 offset:1056
	ds_read_u16 v83, v136 offset:64
	v_accvgpr_write_b32 a2, v80
	v_accvgpr_write_b32 a3, v81
	s_waitcnt lgkmcnt(0)
	v_perm_b32 v83, v83, v82, s53
	v_perm_b32 v82, v77, v68, s53
	s_nop 1
	v_mfma_f32_16x16x16f16 a[0:3], v[82:83], v[32:33], a[0:3]
	ds_read_u16 v82, v236 offset:16896
	ds_read_u16 v84, v172 offset:528
	ds_read_u16 v83, v196 offset:1056
	ds_read_u16 v85, v133 offset:16896
	s_waitcnt lgkmcnt(2)
	v_perm_b32 v82, v84, v82, s53
	s_waitcnt lgkmcnt(0)
	v_perm_b32 v83, v85, v83, s53
	s_nop 2
	v_accvgpr_read_b32 v7, a0
	v_cvt_f16_f32_e32 v7, v7
	v_accvgpr_read_b32 v10, a1
	v_accvgpr_read_b32 v68, a2
	v_accvgpr_read_b32 v77, a3
	v_cvt_f16_f32_e32 v10, v10
	v_cvt_f16_f32_e32 v68, v68
	v_cvt_f16_f32_e32 v77, v77
	v_cvt_f32_f16_e32 v78, v7
	v_cvt_f32_f16_e32 v79, v10
	v_cvt_f32_f16_e32 v80, v68
	v_cvt_f32_f16_e32 v81, v77
	v_accvgpr_write_b32 a0, v78
	v_accvgpr_write_b32 a1, v79
	v_accvgpr_write_b32 a2, v80
	v_accvgpr_write_b32 a3, v81
	v_cvt_f32_f16_e32 v78, v12
	v_cvt_f32_f16_sdwa v79, v12 dst_sel:DWORD dst_unused:UNUSED_PAD src0_sel:WORD_1
	v_mfma_f32_16x16x16f16 a[0:3], v[82:83], v[8:9], a[0:3]
	v_cvt_f32_f16_e32 v80, v11
	v_cvt_f32_f16_sdwa v81, v11 dst_sel:DWORD dst_unused:UNUSED_PAD src0_sel:WORD_1
	s_nop 7
	s_nop 0
	v_accvgpr_read_b32 v7, a0
	v_accvgpr_read_b32 v10, a1
	v_accvgpr_read_b32 v68, a2
	v_accvgpr_read_b32 v77, a3
	v_cvt_f16_f32_e32 v7, v7
	v_cvt_f16_f32_e32 v10, v10
	v_cvt_f16_f32_e32 v68, v68
	v_cvt_f16_f32_e32 v77, v77
	v_accvgpr_write_b32 a0, v78
	v_pack_b32_f16 v10, v7, v10
	v_accvgpr_write_b32 a1, v79
	v_pack_b32_f16 v7, v68, v77
	ds_read_u16 v68, v134 offset:96
	ds_read_u16 v77, v205 offset:528
	ds_read_u16 v82, v205 offset:1056
	ds_read_u16 v83, v136 offset:96
	v_accvgpr_write_b32 a2, v80
	v_accvgpr_write_b32 a3, v81
	s_waitcnt lgkmcnt(0)
	v_perm_b32 v83, v83, v82, s53
	v_perm_b32 v82, v77, v68, s53
	;; [unrolled: 55-line block ×11, first 2 shown]
	s_nop 1
	v_mfma_f32_16x16x16f16 a[0:3], v[82:83], v[32:33], a[0:3]
	ds_read_u16 v82, v159 offset:16896
	ds_read_u16 v84, v184 offset:528
	;; [unrolled: 1-line block ×4, first 2 shown]
	s_waitcnt lgkmcnt(2)
	v_perm_b32 v82, v84, v82, s53
	s_waitcnt lgkmcnt(0)
	v_perm_b32 v83, v85, v83, s53
	s_nop 2
	v_accvgpr_read_b32 v29, a0
	v_cvt_f16_f32_e32 v29, v29
	v_accvgpr_read_b32 v30, a1
	v_accvgpr_read_b32 v68, a2
	;; [unrolled: 1-line block ×3, first 2 shown]
	v_cvt_f16_f32_e32 v30, v30
	v_cvt_f16_f32_e32 v68, v68
	;; [unrolled: 1-line block ×3, first 2 shown]
	v_cvt_f32_f16_e32 v78, v29
	v_cvt_f32_f16_e32 v79, v30
	v_cvt_f32_f16_e32 v80, v68
	v_cvt_f32_f16_e32 v81, v77
	v_accvgpr_write_b32 a0, v78
	v_accvgpr_write_b32 a1, v79
	;; [unrolled: 1-line block ×4, first 2 shown]
	v_cvt_f32_f16_e32 v80, v76
	v_cvt_f32_f16_sdwa v81, v76 dst_sel:DWORD dst_unused:UNUSED_PAD src0_sel:WORD_1
	v_mfma_f32_16x16x16f16 a[0:3], v[82:83], v[8:9], a[0:3]
	v_cvt_f32_f16_e32 v82, v31
	v_cvt_f32_f16_sdwa v83, v31 dst_sel:DWORD dst_unused:UNUSED_PAD src0_sel:WORD_1
	s_nop 7
	s_nop 0
	v_accvgpr_read_b32 v29, a0
	v_accvgpr_read_b32 v30, a1
	;; [unrolled: 1-line block ×4, first 2 shown]
	v_cvt_f16_f32_e32 v29, v29
	v_cvt_f16_f32_e32 v30, v30
	;; [unrolled: 1-line block ×4, first 2 shown]
	v_accvgpr_write_b32 a0, v80
	v_pack_b32_f16 v30, v29, v30
	v_accvgpr_write_b32 a1, v81
	v_pack_b32_f16 v29, v68, v77
	ds_read_u16 v68, v134 offset:416
	ds_read_u16 v77, v194 offset:528
	;; [unrolled: 1-line block ×4, first 2 shown]
	v_accvgpr_write_b32 a2, v82
	v_accvgpr_write_b32 a3, v83
	ds_read_u16 v80, v161 offset:16896
	ds_read_u16 v82, v185 offset:528
	;; [unrolled: 1-line block ×4, first 2 shown]
	s_waitcnt lgkmcnt(4)
	v_perm_b32 v79, v79, v78, s53
	v_perm_b32 v78, v77, v68, s53
	s_waitcnt lgkmcnt(2)
	v_perm_b32 v80, v82, v80, s53
	v_mfma_f32_16x16x16f16 a[0:3], v[78:79], v[32:33], a[0:3]
	s_waitcnt lgkmcnt(0)
	v_perm_b32 v81, v83, v81, s53
	s_nop 7
	s_nop 0
	v_accvgpr_read_b32 v31, a0
	v_accvgpr_read_b32 v76, a2
	v_cvt_f16_f32_e32 v31, v31
	v_accvgpr_read_b32 v68, a1
	v_cvt_f16_f32_e32 v78, v76
	;; [unrolled: 2-line block ×3, first 2 shown]
	v_cvt_f16_f32_e32 v79, v76
	v_cvt_f32_f16_e32 v76, v31
	v_cvt_f32_f16_e32 v78, v78
	;; [unrolled: 1-line block ×4, first 2 shown]
	v_accvgpr_write_b32 a0, v76
	v_accvgpr_write_b32 a2, v78
	;; [unrolled: 1-line block ×4, first 2 shown]
	v_cvt_f32_f16_sdwa v79, v75 dst_sel:DWORD dst_unused:UNUSED_PAD src0_sel:WORD_1
	s_nop 0
	v_mfma_f32_16x16x16f16 a[0:3], v[80:81], v[8:9], a[0:3]
	v_cvt_f32_f16_e32 v80, v69
	v_cvt_f32_f16_sdwa v81, v69 dst_sel:DWORD dst_unused:UNUSED_PAD src0_sel:WORD_1
	s_nop 7
	s_nop 0
	v_accvgpr_read_b32 v76, a2
	v_accvgpr_read_b32 v31, a0
	;; [unrolled: 1-line block ×3, first 2 shown]
	v_cvt_f16_f32_e32 v77, v76
	v_accvgpr_read_b32 v76, a3
	v_cvt_f16_f32_e32 v31, v31
	v_cvt_f16_f32_e32 v68, v68
	;; [unrolled: 1-line block ×3, first 2 shown]
	v_pack_b32_f16 v76, v31, v68
	v_pack_b32_f16 v31, v77, v78
	ds_read_u16 v68, v134 offset:448
	ds_read_u16 v77, v34 offset:528
	;; [unrolled: 1-line block ×4, first 2 shown]
	v_cvt_f32_f16_e32 v78, v75
	s_waitcnt lgkmcnt(2)
	v_perm_b32 v68, v77, v68, s53
	s_waitcnt lgkmcnt(0)
	v_perm_b32 v69, v83, v82, s53
	v_accvgpr_write_b32 a0, v78
	v_accvgpr_write_b32 a1, v79
	;; [unrolled: 1-line block ×4, first 2 shown]
	ds_read_u16 v82, v163 offset:16896
	ds_read_u16 v83, v222 offset:528
	v_mfma_f32_16x16x16f16 a[0:3], v[68:69], v[32:33], a[0:3]
	ds_read_u16 v84, v246 offset:1056
	ds_read_u16 v85, v169 offset:16896
	s_nop 7
	s_nop 0
	v_accvgpr_read_b32 v68, a0
	v_cvt_f16_f32_e32 v68, v68
	v_accvgpr_read_b32 v69, a1
	v_accvgpr_read_b32 v75, a2
	;; [unrolled: 1-line block ×3, first 2 shown]
	v_cvt_f16_f32_e32 v69, v69
	v_cvt_f16_f32_e32 v75, v75
	;; [unrolled: 1-line block ×3, first 2 shown]
	v_cvt_f32_f16_e32 v78, v68
	v_cvt_f32_f16_e32 v79, v69
	;; [unrolled: 1-line block ×4, first 2 shown]
	s_waitcnt lgkmcnt(0)
	v_perm_b32 v69, v85, v84, s53
	v_perm_b32 v68, v83, v82, s53
	v_accvgpr_write_b32 a0, v78
	v_accvgpr_write_b32 a1, v79
	;; [unrolled: 1-line block ×4, first 2 shown]
	v_cvt_f32_f16_e32 v80, v74
	v_cvt_f32_f16_sdwa v81, v74 dst_sel:DWORD dst_unused:UNUSED_PAD src0_sel:WORD_1
	v_mfma_f32_16x16x16f16 a[0:3], v[68:69], v[8:9], a[0:3]
	v_cvt_f32_f16_e32 v82, v72
	v_cvt_f32_f16_sdwa v83, v72 dst_sel:DWORD dst_unused:UNUSED_PAD src0_sel:WORD_1
	s_nop 7
	s_nop 0
	v_accvgpr_read_b32 v68, a0
	v_accvgpr_read_b32 v69, a1
	;; [unrolled: 1-line block ×4, first 2 shown]
	v_cvt_f16_f32_e32 v68, v68
	v_cvt_f16_f32_e32 v69, v69
	;; [unrolled: 1-line block ×4, first 2 shown]
	v_accvgpr_write_b32 a0, v80
	v_pack_b32_f16 v78, v68, v69
	v_accvgpr_write_b32 a1, v81
	v_pack_b32_f16 v69, v75, v77
	ds_read_u16 v68, v134 offset:480
	ds_read_u16 v77, v250 offset:528
	;; [unrolled: 1-line block ×4, first 2 shown]
	v_accvgpr_write_b32 a2, v82
	v_accvgpr_write_b32 a3, v83
	s_waitcnt lgkmcnt(2)
	v_perm_b32 v74, v77, v68, s53
	s_waitcnt lgkmcnt(0)
	v_perm_b32 v75, v79, v75, s53
	s_nop 1
	v_mfma_f32_16x16x16f16 a[0:3], v[74:75], v[32:33], a[0:3]
	ds_read_u16 v74, v165 offset:16896
	ds_read_u16 v75, v216 offset:528
	;; [unrolled: 1-line block ×4, first 2 shown]
	s_waitcnt lgkmcnt(0)
	s_barrier
	s_nop 4
	v_accvgpr_read_b32 v32, a0
	v_cvt_f16_f32_e32 v32, v32
	v_accvgpr_read_b32 v33, a1
	v_accvgpr_read_b32 v68, a2
	v_accvgpr_read_b32 v72, a3
	v_cvt_f16_f32_e32 v33, v33
	v_cvt_f16_f32_e32 v68, v68
	;; [unrolled: 1-line block ×3, first 2 shown]
	v_cvt_f32_f16_e32 v80, v32
	v_cvt_f32_f16_e32 v81, v33
	;; [unrolled: 1-line block ×4, first 2 shown]
	v_perm_b32 v33, v79, v77, s53
	v_perm_b32 v32, v75, v74, s53
	v_accvgpr_write_b32 a0, v80
	v_accvgpr_write_b32 a1, v81
	;; [unrolled: 1-line block ×4, first 2 shown]
	s_nop 1
	v_mfma_f32_16x16x16f16 a[0:3], v[32:33], v[8:9], a[0:3]
	s_nop 7
	s_nop 2
	v_accvgpr_read_b32 v8, a0
	v_accvgpr_read_b32 v9, a1
	;; [unrolled: 1-line block ×4, first 2 shown]
	v_cvt_f16_f32_e32 v8, v8
	v_cvt_f16_f32_e32 v9, v9
	;; [unrolled: 1-line block ×4, first 2 shown]
	v_pack_b32_f16 v8, v8, v9
	v_pack_b32_f16 v9, v32, v33
	ds_bpermute_b32 v32, v71, v3
	s_waitcnt lgkmcnt(0)
	v_add_f32_e32 v3, v3, v32
	s_and_saveexec_b64 s[10:11], s[8:9]
	s_xor_b64 s[8:9], exec, s[10:11]
	s_or_saveexec_b64 s[8:9], s[8:9]
	v_accvgpr_read_b32 v237, a29
	v_mov_b32_e32 v239, 0
	v_accvgpr_read_b32 v249, a139
	v_accvgpr_read_b32 v251, a142
	;; [unrolled: 1-line block ×4, first 2 shown]
	s_xor_b64 exec, exec, s[8:9]
	s_cbranch_execz .LBB29_189
; %bb.188:                              ;   in Loop: Header=BB29_14 Depth=1
	v_accvgpr_read_b32 v32, a154
	v_lshlrev_b32_e32 v32, 2, v32
	global_load_dword v33, v32, s[70:71]
	v_max_f32_e32 v68, v2, v2
	s_waitcnt vmcnt(0)
	v_max_f32_e32 v32, v33, v33
	v_max_f32_e32 v32, v68, v32
	v_sub_f32_e32 v2, v2, v32
	v_mul_f32_e32 v68, 0x3fb8aa3b, v2
	v_fma_f32 v72, v2, s43, -v68
	v_rndne_f32_e32 v73, v68
	v_fmac_f32_e32 v72, 0x32a5705f, v2
	v_sub_f32_e32 v68, v68, v73
	v_add_f32_e32 v68, v68, v72
	v_exp_f32_e32 v68, v68
	v_cvt_i32_f32_e32 v72, v73
	v_cmp_ngt_f32_e32 vcc, s65, v2
	v_sub_f32_e32 v33, v33, v32
	v_ldexp_f32 v68, v68, v72
	v_cndmask_b32_e32 v68, 0, v68, vcc
	v_cmp_nlt_f32_e32 vcc, s95, v2
	v_cndmask_b32_e32 v68, v242, v68, vcc
	v_cmp_le_f32_e32 vcc, s54, v2
	v_cndmask_b32_e32 v2, 0, v68, vcc
	v_cvt_f16_f32_e32 v68, v2
	v_cmp_ngt_f32_e32 vcc, s65, v33
	v_pk_mul_f16 v4, v68, v4 op_sel_hi:[0,1]
	v_pk_mul_f16 v1, v68, v1 op_sel_hi:[0,1]
	;; [unrolled: 1-line block ×32, first 2 shown]
	v_mul_f32_e32 v68, 0x3fb8aa3b, v33
	v_fma_f32 v72, v33, s43, -v68
	v_rndne_f32_e32 v73, v68
	v_fmac_f32_e32 v72, 0x32a5705f, v33
	v_sub_f32_e32 v68, v68, v73
	v_add_f32_e32 v68, v68, v72
	v_exp_f32_e32 v68, v68
	v_cvt_i32_f32_e32 v72, v73
	v_ldexp_f32 v68, v68, v72
	v_cndmask_b32_e32 v68, 0, v68, vcc
	v_cmp_nlt_f32_e32 vcc, s95, v33
	v_cndmask_b32_e32 v33, v242, v68, vcc
	v_fmac_f32_e32 v33, v3, v2
	v_pk_mov_b32 v[2:3], v[32:33], v[32:33] op_sel:[0,1]
.LBB29_189:                             ;   in Loop: Header=BB29_14 Depth=1
	s_or_b64 exec, exec, s[8:9]
	s_mov_b64 s[8:9], exec
	s_and_b64 s[10:11], s[8:9], s[4:5]
	v_accvgpr_read_b32 v233, a25
	v_accvgpr_read_b32 v240, a127
	;; [unrolled: 1-line block ×3, first 2 shown]
	s_mov_b64 exec, s[10:11]
	s_cbranch_execz .LBB29_191
; %bb.190:                              ;   in Loop: Header=BB29_14 Depth=1
	v_accvgpr_read_b32 v32, a27
	v_add_u32_e32 v32, 0, v32
	ds_write2_b32 v32, v2, v3 offset0:128 offset1:129
.LBB29_191:                             ;   in Loop: Header=BB29_14 Depth=1
	s_or_b64 exec, exec, s[8:9]
	s_waitcnt lgkmcnt(0)
	s_barrier
	s_and_saveexec_b64 s[8:9], s[2:3]
	s_xor_b64 s[8:9], exec, s[8:9]
	s_cbranch_execz .LBB29_193
; %bb.192:                              ;   in Loop: Header=BB29_14 Depth=1
	s_barrier
	s_waitcnt lgkmcnt(0)
                                        ; implicit-def: $vgpr71
.LBB29_193:                             ;   in Loop: Header=BB29_14 Depth=1
	s_andn2_saveexec_b64 s[8:9], s[8:9]
	s_cbranch_execz .LBB29_197
; %bb.194:                              ;   in Loop: Header=BB29_14 Depth=1
	v_accvgpr_read_b32 v2, a28
	v_add_u32_e32 v32, 0, v2
	ds_read_b64 v[2:3], v32 offset:512
	s_waitcnt lgkmcnt(0)
	s_barrier
	ds_bpermute_b32 v33, v71, v2
	v_max_f32_e32 v68, v2, v2
	s_waitcnt lgkmcnt(0)
	v_max_f32_e32 v33, v33, v33
	v_max_f32_e32 v33, v68, v33
	v_sub_f32_e32 v2, v2, v33
	v_mul_f32_e32 v33, 0x3fb8aa3b, v2
	v_fma_f32 v68, v2, s43, -v33
	v_rndne_f32_e32 v72, v33
	v_fmac_f32_e32 v68, 0x32a5705f, v2
	v_sub_f32_e32 v33, v33, v72
	v_add_f32_e32 v33, v33, v68
	v_cvt_i32_f32_e32 v72, v72
	v_exp_f32_e32 v33, v33
	v_cmp_ngt_f32_e32 vcc, s65, v2
	v_ldexp_f32 v33, v33, v72
	v_cndmask_b32_e32 v33, 0, v33, vcc
	v_cmp_nlt_f32_e32 vcc, s95, v2
	v_cndmask_b32_e32 v2, v242, v33, vcc
	v_mul_f32_e32 v3, v3, v2
	ds_bpermute_b32 v33, v71, v3
	s_mov_b64 s[70:71], exec
	v_readlane_b32 s10, v255, 14
	v_readlane_b32 s11, v255, 15
	s_and_b64 s[10:11], s[70:71], s[10:11]
	s_mov_b64 exec, s[10:11]
	s_cbranch_execz .LBB29_196
; %bb.195:                              ;   in Loop: Header=BB29_14 Depth=1
	s_waitcnt lgkmcnt(0)
	v_add_f32_e32 v3, v3, v33
	ds_write_b64 v32, v[2:3] offset:512
.LBB29_196:                             ;   in Loop: Header=BB29_14 Depth=1
	s_or_b64 exec, exec, s[70:71]
.LBB29_197:                             ;   in Loop: Header=BB29_14 Depth=1
	s_or_b64 exec, exec, s[8:9]
	ds_write2_b32 v237, v4, v1 offset1:1
	ds_write2_b32 v237, v6, v5 offset0:8 offset1:9
	ds_write2_b32 v237, v10, v7 offset0:16 offset1:17
	;; [unrolled: 1-line block ×15, first 2 shown]
	s_waitcnt lgkmcnt(0)
	s_barrier
	s_and_saveexec_b64 s[70:71], s[0:1]
	s_cbranch_execz .LBB29_12
; %bb.198:                              ;   in Loop: Header=BB29_14 Depth=1
	v_accvgpr_read_b32 v1, a150
	v_add_u32_e32 v4, s76, v1
	v_or_b32_e32 v1, s64, v144
	v_cmp_gt_i32_e32 vcc, s28, v4
	v_cmp_gt_i32_e64 s[8:9], s78, v1
	s_and_b64 s[10:11], vcc, s[8:9]
	v_mov_b32_e32 v1, 0x47
	s_and_saveexec_b64 s[72:73], s[10:11]
	s_cbranch_execz .LBB29_200
; %bb.199:                              ;   in Loop: Header=BB29_14 Depth=1
	v_accvgpr_read_b32 v1, a31
	v_add_u32_e32 v1, 0, v1
	ds_read2_b32 v[2:3], v1 offset0:128 offset1:129
	ds_read_b32 v6, v1 offset:8960
	v_accvgpr_read_b32 v1, a30
	ds_read2st64_b32 v[8:9], v1 offset1:1
	ds_read_b32 v1, v1 offset:8448
	v_mad_u64_u32 v[4:5], s[10:11], v4, s29, v[144:145]
	v_lshl_add_u32 v4, v4, 7, v232
	s_waitcnt lgkmcnt(1)
	v_cvt_f32_f16_sdwa v11, v8 dst_sel:DWORD dst_unused:UNUSED_PAD src0_sel:WORD_1
	v_cvt_f32_f16_e32 v10, v8
	s_waitcnt lgkmcnt(0)
	v_cvt_f32_f16_sdwa v13, v1 dst_sel:DWORD dst_unused:UNUSED_PAD src0_sel:WORD_1
	v_cvt_f32_f16_e32 v12, v1
	v_ashrrev_i32_e32 v5, 31, v4
	v_mov_b32_e32 v7, s87
	v_pk_fma_f32 v[10:11], v[2:3], v[10:11], 0 op_sel_hi:[0,1,0]
	v_lshlrev_b64 v[4:5], 3, v[4:5]
	v_pk_fma_f32 v[10:11], v[6:7], v[12:13], v[10:11] op_sel_hi:[0,1,1]
	v_add_co_u32_e32 v4, vcc, s6, v4
	v_div_scale_f32 v1, s[10:11], v3, v3, v11
	v_addc_co_u32_e32 v5, vcc, v7, v5, vcc
	v_rcp_f32_e32 v7, v1
	v_fma_f32 v8, -v1, v7, 1.0
	v_fmac_f32_e32 v7, v8, v7
	v_div_scale_f32 v8, vcc, v11, v3, v11
	v_mul_f32_e32 v12, v8, v7
	v_fma_f32 v13, -v1, v12, v8
	v_fmac_f32_e32 v12, v13, v7
	v_fma_f32 v1, -v1, v12, v8
	v_div_fmas_f32 v1, v1, v7, v12
	v_div_fixup_f32 v11, v1, v3, v11
	v_div_scale_f32 v1, s[10:11], v3, v3, v10
	v_rcp_f32_e32 v7, v1
	v_fma_f32 v8, -v1, v7, 1.0
	v_fmac_f32_e32 v7, v8, v7
	v_div_scale_f32 v8, vcc, v10, v3, v10
	v_mul_f32_e32 v12, v8, v7
	v_fma_f32 v13, -v1, v12, v8
	v_fmac_f32_e32 v12, v13, v7
	v_fma_f32 v1, -v1, v12, v8
	v_div_fmas_f32 v1, v1, v7, v12
	v_div_fixup_f32 v10, v1, v3, v10
	v_accvgpr_read_b32 v1, a32
	ds_read_b32 v1, v1 offset:8448
	global_store_dwordx2 v[4:5], v[10:11], off
	v_cvt_f32_f16_sdwa v11, v9 dst_sel:DWORD dst_unused:UNUSED_PAD src0_sel:WORD_1
	v_cvt_f32_f16_e32 v10, v9
	v_pk_fma_f32 v[8:9], v[2:3], v[10:11], 0 op_sel_hi:[0,1,0]
	s_waitcnt lgkmcnt(0)
	v_cvt_f32_f16_sdwa v11, v1 dst_sel:DWORD dst_unused:UNUSED_PAD src0_sel:WORD_1
	v_cvt_f32_f16_e32 v10, v1
	v_pk_fma_f32 v[6:7], v[6:7], v[10:11], v[8:9] op_sel_hi:[0,1,1]
	v_div_scale_f32 v1, s[10:11], v3, v3, v7
	v_rcp_f32_e32 v2, v1
	v_fma_f32 v8, -v1, v2, 1.0
	v_fmac_f32_e32 v2, v8, v2
	v_div_scale_f32 v8, vcc, v7, v3, v7
	v_mul_f32_e32 v9, v8, v2
	v_fma_f32 v10, -v1, v9, v8
	v_fmac_f32_e32 v9, v10, v2
	v_fma_f32 v1, -v1, v9, v8
	v_div_fmas_f32 v1, v1, v2, v9
	v_div_fixup_f32 v7, v1, v3, v7
	v_div_scale_f32 v1, s[10:11], v3, v3, v6
	v_rcp_f32_e32 v2, v1
	v_fma_f32 v8, -v1, v2, 1.0
	v_fmac_f32_e32 v2, v8, v2
	v_div_scale_f32 v8, vcc, v6, v3, v6
	v_mul_f32_e32 v9, v8, v2
	v_fma_f32 v10, -v1, v9, v8
	v_fmac_f32_e32 v9, v10, v2
	v_fma_f32 v1, -v1, v9, v8
	v_div_fmas_f32 v1, v1, v2, v9
	v_div_fixup_f32 v6, v1, v3, v6
	v_mov_b32_e32 v1, 0
	global_store_dwordx2 v[4:5], v[6:7], off offset:512
.LBB29_200:                             ;   in Loop: Header=BB29_14 Depth=1
	s_or_b64 exec, exec, s[72:73]
	s_movk_i32 s7, 0x47
	v_cmp_gt_i32_e32 vcc, s7, v1
	s_mov_b64 s[72:73], -1
	s_and_saveexec_b64 s[74:75], vcc
; %bb.201:                              ;   in Loop: Header=BB29_14 Depth=1
	v_cmp_eq_u32_e32 vcc, 0, v1
	s_orn2_b64 s[72:73], vcc, exec
; %bb.202:                              ;   in Loop: Header=BB29_14 Depth=1
	s_or_b64 exec, exec, s[74:75]
	s_and_b64 exec, exec, s[72:73]
	s_cbranch_execz .LBB29_12
; %bb.203:                              ;   in Loop: Header=BB29_14 Depth=1
	v_accvgpr_read_b32 v1, a33
	v_add_u32_e32 v4, s76, v1
	v_cmp_gt_i32_e32 vcc, s28, v4
	s_and_b64 s[10:11], vcc, s[8:9]
	v_mov_b32_e32 v1, 0x47
	s_and_saveexec_b64 s[72:73], s[10:11]
	s_cbranch_execz .LBB29_205
; %bb.204:                              ;   in Loop: Header=BB29_14 Depth=1
	v_accvgpr_read_b32 v1, a35
	v_add_u32_e32 v1, 0, v1
	ds_read2_b32 v[2:3], v1 offset0:128 offset1:129
	ds_read_b32 v6, v1 offset:8960
	v_accvgpr_read_b32 v1, a34
	ds_read2st64_b32 v[8:9], v1 offset1:1
	ds_read_b32 v1, v1 offset:8448
	v_mad_u64_u32 v[4:5], s[10:11], v4, s29, v[144:145]
	v_lshl_add_u32 v4, v4, 7, v232
	s_waitcnt lgkmcnt(1)
	v_cvt_f32_f16_sdwa v11, v8 dst_sel:DWORD dst_unused:UNUSED_PAD src0_sel:WORD_1
	v_cvt_f32_f16_e32 v10, v8
	s_waitcnt lgkmcnt(0)
	v_cvt_f32_f16_sdwa v13, v1 dst_sel:DWORD dst_unused:UNUSED_PAD src0_sel:WORD_1
	v_cvt_f32_f16_e32 v12, v1
	v_ashrrev_i32_e32 v5, 31, v4
	v_mov_b32_e32 v7, s87
	v_pk_fma_f32 v[10:11], v[2:3], v[10:11], 0 op_sel_hi:[0,1,0]
	v_lshlrev_b64 v[4:5], 3, v[4:5]
	v_pk_fma_f32 v[10:11], v[6:7], v[12:13], v[10:11] op_sel_hi:[0,1,1]
	v_add_co_u32_e32 v4, vcc, s6, v4
	v_div_scale_f32 v1, s[10:11], v3, v3, v11
	v_addc_co_u32_e32 v5, vcc, v7, v5, vcc
	v_rcp_f32_e32 v7, v1
	v_fma_f32 v8, -v1, v7, 1.0
	v_fmac_f32_e32 v7, v8, v7
	v_div_scale_f32 v8, vcc, v11, v3, v11
	v_mul_f32_e32 v12, v8, v7
	v_fma_f32 v13, -v1, v12, v8
	v_fmac_f32_e32 v12, v13, v7
	v_fma_f32 v1, -v1, v12, v8
	v_div_fmas_f32 v1, v1, v7, v12
	v_div_fixup_f32 v11, v1, v3, v11
	v_div_scale_f32 v1, s[10:11], v3, v3, v10
	v_rcp_f32_e32 v7, v1
	v_fma_f32 v8, -v1, v7, 1.0
	v_fmac_f32_e32 v7, v8, v7
	v_div_scale_f32 v8, vcc, v10, v3, v10
	v_mul_f32_e32 v12, v8, v7
	v_fma_f32 v13, -v1, v12, v8
	v_fmac_f32_e32 v12, v13, v7
	v_fma_f32 v1, -v1, v12, v8
	v_div_fmas_f32 v1, v1, v7, v12
	v_div_fixup_f32 v10, v1, v3, v10
	v_accvgpr_read_b32 v1, a36
	ds_read_b32 v1, v1 offset:8448
	global_store_dwordx2 v[4:5], v[10:11], off
	v_cvt_f32_f16_sdwa v11, v9 dst_sel:DWORD dst_unused:UNUSED_PAD src0_sel:WORD_1
	v_cvt_f32_f16_e32 v10, v9
	v_pk_fma_f32 v[8:9], v[2:3], v[10:11], 0 op_sel_hi:[0,1,0]
	s_waitcnt lgkmcnt(0)
	v_cvt_f32_f16_sdwa v11, v1 dst_sel:DWORD dst_unused:UNUSED_PAD src0_sel:WORD_1
	v_cvt_f32_f16_e32 v10, v1
	v_pk_fma_f32 v[6:7], v[6:7], v[10:11], v[8:9] op_sel_hi:[0,1,1]
	v_div_scale_f32 v1, s[10:11], v3, v3, v7
	v_rcp_f32_e32 v2, v1
	v_fma_f32 v8, -v1, v2, 1.0
	v_fmac_f32_e32 v2, v8, v2
	v_div_scale_f32 v8, vcc, v7, v3, v7
	v_mul_f32_e32 v9, v8, v2
	v_fma_f32 v10, -v1, v9, v8
	v_fmac_f32_e32 v9, v10, v2
	v_fma_f32 v1, -v1, v9, v8
	v_div_fmas_f32 v1, v1, v2, v9
	v_div_fixup_f32 v7, v1, v3, v7
	v_div_scale_f32 v1, s[10:11], v3, v3, v6
	v_rcp_f32_e32 v2, v1
	v_fma_f32 v8, -v1, v2, 1.0
	v_fmac_f32_e32 v2, v8, v2
	v_div_scale_f32 v8, vcc, v6, v3, v6
	v_mul_f32_e32 v9, v8, v2
	v_fma_f32 v10, -v1, v9, v8
	v_fmac_f32_e32 v9, v10, v2
	v_fma_f32 v1, -v1, v9, v8
	v_div_fmas_f32 v1, v1, v2, v9
	v_div_fixup_f32 v6, v1, v3, v6
	v_mov_b32_e32 v1, 0
	global_store_dwordx2 v[4:5], v[6:7], off offset:512
.LBB29_205:                             ;   in Loop: Header=BB29_14 Depth=1
	s_or_b64 exec, exec, s[72:73]
	v_cmp_gt_i32_e32 vcc, s7, v1
	s_mov_b64 s[72:73], -1
	s_and_saveexec_b64 s[74:75], vcc
; %bb.206:                              ;   in Loop: Header=BB29_14 Depth=1
	v_cmp_eq_u32_e32 vcc, 0, v1
	s_orn2_b64 s[72:73], vcc, exec
; %bb.207:                              ;   in Loop: Header=BB29_14 Depth=1
	s_or_b64 exec, exec, s[74:75]
	s_and_b64 exec, exec, s[72:73]
	s_cbranch_execz .LBB29_12
; %bb.208:                              ;   in Loop: Header=BB29_14 Depth=1
	v_accvgpr_read_b32 v1, a37
	v_add_u32_e32 v4, s76, v1
	v_cmp_gt_i32_e32 vcc, s28, v4
	s_and_b64 s[10:11], vcc, s[8:9]
	v_mov_b32_e32 v1, 0x47
	s_and_saveexec_b64 s[72:73], s[10:11]
	s_cbranch_execz .LBB29_210
; %bb.209:                              ;   in Loop: Header=BB29_14 Depth=1
	v_accvgpr_read_b32 v1, a39
	v_add_u32_e32 v1, 0, v1
	ds_read2_b32 v[2:3], v1 offset0:128 offset1:129
	ds_read_b32 v6, v1 offset:8960
	v_accvgpr_read_b32 v1, a38
	ds_read2st64_b32 v[8:9], v1 offset1:1
	ds_read_b32 v1, v1 offset:8448
	v_mad_u64_u32 v[4:5], s[10:11], v4, s29, v[144:145]
	v_lshl_add_u32 v4, v4, 7, v232
	s_waitcnt lgkmcnt(1)
	v_cvt_f32_f16_sdwa v11, v8 dst_sel:DWORD dst_unused:UNUSED_PAD src0_sel:WORD_1
	v_cvt_f32_f16_e32 v10, v8
	s_waitcnt lgkmcnt(0)
	v_cvt_f32_f16_sdwa v13, v1 dst_sel:DWORD dst_unused:UNUSED_PAD src0_sel:WORD_1
	v_cvt_f32_f16_e32 v12, v1
	v_ashrrev_i32_e32 v5, 31, v4
	v_mov_b32_e32 v7, s87
	v_pk_fma_f32 v[10:11], v[2:3], v[10:11], 0 op_sel_hi:[0,1,0]
	v_lshlrev_b64 v[4:5], 3, v[4:5]
	v_pk_fma_f32 v[10:11], v[6:7], v[12:13], v[10:11] op_sel_hi:[0,1,1]
	v_add_co_u32_e32 v4, vcc, s6, v4
	v_div_scale_f32 v1, s[10:11], v3, v3, v11
	v_addc_co_u32_e32 v5, vcc, v7, v5, vcc
	v_rcp_f32_e32 v7, v1
	v_fma_f32 v8, -v1, v7, 1.0
	v_fmac_f32_e32 v7, v8, v7
	v_div_scale_f32 v8, vcc, v11, v3, v11
	v_mul_f32_e32 v12, v8, v7
	v_fma_f32 v13, -v1, v12, v8
	v_fmac_f32_e32 v12, v13, v7
	v_fma_f32 v1, -v1, v12, v8
	v_div_fmas_f32 v1, v1, v7, v12
	v_div_fixup_f32 v11, v1, v3, v11
	v_div_scale_f32 v1, s[10:11], v3, v3, v10
	v_rcp_f32_e32 v7, v1
	v_fma_f32 v8, -v1, v7, 1.0
	v_fmac_f32_e32 v7, v8, v7
	v_div_scale_f32 v8, vcc, v10, v3, v10
	v_mul_f32_e32 v12, v8, v7
	v_fma_f32 v13, -v1, v12, v8
	v_fmac_f32_e32 v12, v13, v7
	v_fma_f32 v1, -v1, v12, v8
	v_div_fmas_f32 v1, v1, v7, v12
	v_div_fixup_f32 v10, v1, v3, v10
	v_accvgpr_read_b32 v1, a40
	ds_read_b32 v1, v1 offset:8448
	global_store_dwordx2 v[4:5], v[10:11], off
	v_cvt_f32_f16_sdwa v11, v9 dst_sel:DWORD dst_unused:UNUSED_PAD src0_sel:WORD_1
	v_cvt_f32_f16_e32 v10, v9
	v_pk_fma_f32 v[8:9], v[2:3], v[10:11], 0 op_sel_hi:[0,1,0]
	s_waitcnt lgkmcnt(0)
	v_cvt_f32_f16_sdwa v11, v1 dst_sel:DWORD dst_unused:UNUSED_PAD src0_sel:WORD_1
	v_cvt_f32_f16_e32 v10, v1
	v_pk_fma_f32 v[6:7], v[6:7], v[10:11], v[8:9] op_sel_hi:[0,1,1]
	v_div_scale_f32 v1, s[10:11], v3, v3, v7
	v_rcp_f32_e32 v2, v1
	v_fma_f32 v8, -v1, v2, 1.0
	v_fmac_f32_e32 v2, v8, v2
	v_div_scale_f32 v8, vcc, v7, v3, v7
	v_mul_f32_e32 v9, v8, v2
	v_fma_f32 v10, -v1, v9, v8
	v_fmac_f32_e32 v9, v10, v2
	v_fma_f32 v1, -v1, v9, v8
	v_div_fmas_f32 v1, v1, v2, v9
	v_div_fixup_f32 v7, v1, v3, v7
	v_div_scale_f32 v1, s[10:11], v3, v3, v6
	v_rcp_f32_e32 v2, v1
	v_fma_f32 v8, -v1, v2, 1.0
	v_fmac_f32_e32 v2, v8, v2
	v_div_scale_f32 v8, vcc, v6, v3, v6
	v_mul_f32_e32 v9, v8, v2
	v_fma_f32 v10, -v1, v9, v8
	v_fmac_f32_e32 v9, v10, v2
	v_fma_f32 v1, -v1, v9, v8
	v_div_fmas_f32 v1, v1, v2, v9
	v_div_fixup_f32 v6, v1, v3, v6
	v_mov_b32_e32 v1, 0
	global_store_dwordx2 v[4:5], v[6:7], off offset:512
.LBB29_210:                             ;   in Loop: Header=BB29_14 Depth=1
	s_or_b64 exec, exec, s[72:73]
	v_cmp_gt_i32_e32 vcc, s7, v1
	s_mov_b64 s[72:73], -1
	s_and_saveexec_b64 s[74:75], vcc
; %bb.211:                              ;   in Loop: Header=BB29_14 Depth=1
	v_cmp_eq_u32_e32 vcc, 0, v1
	s_orn2_b64 s[72:73], vcc, exec
; %bb.212:                              ;   in Loop: Header=BB29_14 Depth=1
	s_or_b64 exec, exec, s[74:75]
	s_and_b64 exec, exec, s[72:73]
	s_cbranch_execz .LBB29_12
; %bb.213:                              ;   in Loop: Header=BB29_14 Depth=1
	v_accvgpr_read_b32 v1, a41
	v_add_u32_e32 v4, s76, v1
	v_cmp_gt_i32_e32 vcc, s28, v4
	s_and_b64 s[10:11], vcc, s[8:9]
	v_mov_b32_e32 v1, 0x47
	s_and_saveexec_b64 s[72:73], s[10:11]
	s_cbranch_execz .LBB29_215
; %bb.214:                              ;   in Loop: Header=BB29_14 Depth=1
	v_accvgpr_read_b32 v1, a43
	v_add_u32_e32 v1, 0, v1
	ds_read2_b32 v[2:3], v1 offset0:128 offset1:129
	ds_read_b32 v6, v1 offset:8960
	v_accvgpr_read_b32 v1, a42
	ds_read2st64_b32 v[8:9], v1 offset1:1
	ds_read_b32 v1, v1 offset:8448
	v_mad_u64_u32 v[4:5], s[10:11], v4, s29, v[144:145]
	v_lshl_add_u32 v4, v4, 7, v232
	s_waitcnt lgkmcnt(1)
	v_cvt_f32_f16_sdwa v11, v8 dst_sel:DWORD dst_unused:UNUSED_PAD src0_sel:WORD_1
	v_cvt_f32_f16_e32 v10, v8
	s_waitcnt lgkmcnt(0)
	v_cvt_f32_f16_sdwa v13, v1 dst_sel:DWORD dst_unused:UNUSED_PAD src0_sel:WORD_1
	v_cvt_f32_f16_e32 v12, v1
	v_ashrrev_i32_e32 v5, 31, v4
	v_mov_b32_e32 v7, s87
	v_pk_fma_f32 v[10:11], v[2:3], v[10:11], 0 op_sel_hi:[0,1,0]
	v_lshlrev_b64 v[4:5], 3, v[4:5]
	v_pk_fma_f32 v[10:11], v[6:7], v[12:13], v[10:11] op_sel_hi:[0,1,1]
	v_add_co_u32_e32 v4, vcc, s6, v4
	v_div_scale_f32 v1, s[10:11], v3, v3, v11
	v_addc_co_u32_e32 v5, vcc, v7, v5, vcc
	v_rcp_f32_e32 v7, v1
	v_fma_f32 v8, -v1, v7, 1.0
	v_fmac_f32_e32 v7, v8, v7
	v_div_scale_f32 v8, vcc, v11, v3, v11
	v_mul_f32_e32 v12, v8, v7
	v_fma_f32 v13, -v1, v12, v8
	v_fmac_f32_e32 v12, v13, v7
	v_fma_f32 v1, -v1, v12, v8
	v_div_fmas_f32 v1, v1, v7, v12
	v_div_fixup_f32 v11, v1, v3, v11
	v_div_scale_f32 v1, s[10:11], v3, v3, v10
	v_rcp_f32_e32 v7, v1
	v_fma_f32 v8, -v1, v7, 1.0
	v_fmac_f32_e32 v7, v8, v7
	v_div_scale_f32 v8, vcc, v10, v3, v10
	v_mul_f32_e32 v12, v8, v7
	v_fma_f32 v13, -v1, v12, v8
	v_fmac_f32_e32 v12, v13, v7
	v_fma_f32 v1, -v1, v12, v8
	v_div_fmas_f32 v1, v1, v7, v12
	v_div_fixup_f32 v10, v1, v3, v10
	v_accvgpr_read_b32 v1, a44
	ds_read_b32 v1, v1 offset:8448
	global_store_dwordx2 v[4:5], v[10:11], off
	v_cvt_f32_f16_sdwa v11, v9 dst_sel:DWORD dst_unused:UNUSED_PAD src0_sel:WORD_1
	v_cvt_f32_f16_e32 v10, v9
	v_pk_fma_f32 v[8:9], v[2:3], v[10:11], 0 op_sel_hi:[0,1,0]
	s_waitcnt lgkmcnt(0)
	v_cvt_f32_f16_sdwa v11, v1 dst_sel:DWORD dst_unused:UNUSED_PAD src0_sel:WORD_1
	v_cvt_f32_f16_e32 v10, v1
	v_pk_fma_f32 v[6:7], v[6:7], v[10:11], v[8:9] op_sel_hi:[0,1,1]
	v_div_scale_f32 v1, s[10:11], v3, v3, v7
	v_rcp_f32_e32 v2, v1
	v_fma_f32 v8, -v1, v2, 1.0
	v_fmac_f32_e32 v2, v8, v2
	v_div_scale_f32 v8, vcc, v7, v3, v7
	v_mul_f32_e32 v9, v8, v2
	v_fma_f32 v10, -v1, v9, v8
	v_fmac_f32_e32 v9, v10, v2
	v_fma_f32 v1, -v1, v9, v8
	v_div_fmas_f32 v1, v1, v2, v9
	v_div_fixup_f32 v7, v1, v3, v7
	v_div_scale_f32 v1, s[10:11], v3, v3, v6
	v_rcp_f32_e32 v2, v1
	v_fma_f32 v8, -v1, v2, 1.0
	v_fmac_f32_e32 v2, v8, v2
	v_div_scale_f32 v8, vcc, v6, v3, v6
	v_mul_f32_e32 v9, v8, v2
	v_fma_f32 v10, -v1, v9, v8
	v_fmac_f32_e32 v9, v10, v2
	v_fma_f32 v1, -v1, v9, v8
	v_div_fmas_f32 v1, v1, v2, v9
	v_div_fixup_f32 v6, v1, v3, v6
	v_mov_b32_e32 v1, 0
	global_store_dwordx2 v[4:5], v[6:7], off offset:512
.LBB29_215:                             ;   in Loop: Header=BB29_14 Depth=1
	s_or_b64 exec, exec, s[72:73]
	v_cmp_gt_i32_e32 vcc, s7, v1
	s_mov_b64 s[72:73], -1
	s_and_saveexec_b64 s[74:75], vcc
; %bb.216:                              ;   in Loop: Header=BB29_14 Depth=1
	v_cmp_eq_u32_e32 vcc, 0, v1
	s_orn2_b64 s[72:73], vcc, exec
; %bb.217:                              ;   in Loop: Header=BB29_14 Depth=1
	s_or_b64 exec, exec, s[74:75]
	s_and_b64 exec, exec, s[72:73]
	s_cbranch_execz .LBB29_12
; %bb.218:                              ;   in Loop: Header=BB29_14 Depth=1
	v_accvgpr_read_b32 v1, a45
	v_add_u32_e32 v4, s76, v1
	v_cmp_gt_i32_e32 vcc, s28, v4
	s_and_b64 s[10:11], vcc, s[8:9]
	v_mov_b32_e32 v1, 0x47
	s_and_saveexec_b64 s[72:73], s[10:11]
	s_cbranch_execz .LBB29_220
; %bb.219:                              ;   in Loop: Header=BB29_14 Depth=1
	v_accvgpr_read_b32 v1, a47
	v_add_u32_e32 v1, 0, v1
	ds_read2_b32 v[2:3], v1 offset0:128 offset1:129
	ds_read_b32 v6, v1 offset:8960
	v_accvgpr_read_b32 v1, a46
	ds_read2st64_b32 v[8:9], v1 offset1:1
	ds_read_b32 v1, v1 offset:8448
	v_mad_u64_u32 v[4:5], s[10:11], v4, s29, v[144:145]
	v_lshl_add_u32 v4, v4, 7, v232
	s_waitcnt lgkmcnt(1)
	v_cvt_f32_f16_sdwa v11, v8 dst_sel:DWORD dst_unused:UNUSED_PAD src0_sel:WORD_1
	v_cvt_f32_f16_e32 v10, v8
	s_waitcnt lgkmcnt(0)
	v_cvt_f32_f16_sdwa v13, v1 dst_sel:DWORD dst_unused:UNUSED_PAD src0_sel:WORD_1
	v_cvt_f32_f16_e32 v12, v1
	v_ashrrev_i32_e32 v5, 31, v4
	v_mov_b32_e32 v7, s87
	v_pk_fma_f32 v[10:11], v[2:3], v[10:11], 0 op_sel_hi:[0,1,0]
	v_lshlrev_b64 v[4:5], 3, v[4:5]
	v_pk_fma_f32 v[10:11], v[6:7], v[12:13], v[10:11] op_sel_hi:[0,1,1]
	v_add_co_u32_e32 v4, vcc, s6, v4
	v_div_scale_f32 v1, s[10:11], v3, v3, v11
	v_addc_co_u32_e32 v5, vcc, v7, v5, vcc
	v_rcp_f32_e32 v7, v1
	v_fma_f32 v8, -v1, v7, 1.0
	v_fmac_f32_e32 v7, v8, v7
	v_div_scale_f32 v8, vcc, v11, v3, v11
	v_mul_f32_e32 v12, v8, v7
	v_fma_f32 v13, -v1, v12, v8
	v_fmac_f32_e32 v12, v13, v7
	v_fma_f32 v1, -v1, v12, v8
	v_div_fmas_f32 v1, v1, v7, v12
	v_div_fixup_f32 v11, v1, v3, v11
	v_div_scale_f32 v1, s[10:11], v3, v3, v10
	v_rcp_f32_e32 v7, v1
	v_fma_f32 v8, -v1, v7, 1.0
	v_fmac_f32_e32 v7, v8, v7
	v_div_scale_f32 v8, vcc, v10, v3, v10
	v_mul_f32_e32 v12, v8, v7
	v_fma_f32 v13, -v1, v12, v8
	v_fmac_f32_e32 v12, v13, v7
	v_fma_f32 v1, -v1, v12, v8
	v_div_fmas_f32 v1, v1, v7, v12
	v_div_fixup_f32 v10, v1, v3, v10
	v_accvgpr_read_b32 v1, a48
	ds_read_b32 v1, v1 offset:8448
	global_store_dwordx2 v[4:5], v[10:11], off
	v_cvt_f32_f16_sdwa v11, v9 dst_sel:DWORD dst_unused:UNUSED_PAD src0_sel:WORD_1
	v_cvt_f32_f16_e32 v10, v9
	v_pk_fma_f32 v[8:9], v[2:3], v[10:11], 0 op_sel_hi:[0,1,0]
	s_waitcnt lgkmcnt(0)
	v_cvt_f32_f16_sdwa v11, v1 dst_sel:DWORD dst_unused:UNUSED_PAD src0_sel:WORD_1
	v_cvt_f32_f16_e32 v10, v1
	v_pk_fma_f32 v[6:7], v[6:7], v[10:11], v[8:9] op_sel_hi:[0,1,1]
	v_div_scale_f32 v1, s[10:11], v3, v3, v7
	v_rcp_f32_e32 v2, v1
	v_fma_f32 v8, -v1, v2, 1.0
	v_fmac_f32_e32 v2, v8, v2
	v_div_scale_f32 v8, vcc, v7, v3, v7
	v_mul_f32_e32 v9, v8, v2
	v_fma_f32 v10, -v1, v9, v8
	v_fmac_f32_e32 v9, v10, v2
	v_fma_f32 v1, -v1, v9, v8
	v_div_fmas_f32 v1, v1, v2, v9
	v_div_fixup_f32 v7, v1, v3, v7
	v_div_scale_f32 v1, s[10:11], v3, v3, v6
	v_rcp_f32_e32 v2, v1
	v_fma_f32 v8, -v1, v2, 1.0
	v_fmac_f32_e32 v2, v8, v2
	v_div_scale_f32 v8, vcc, v6, v3, v6
	v_mul_f32_e32 v9, v8, v2
	v_fma_f32 v10, -v1, v9, v8
	v_fmac_f32_e32 v9, v10, v2
	v_fma_f32 v1, -v1, v9, v8
	v_div_fmas_f32 v1, v1, v2, v9
	v_div_fixup_f32 v6, v1, v3, v6
	v_mov_b32_e32 v1, 0
	global_store_dwordx2 v[4:5], v[6:7], off offset:512
.LBB29_220:                             ;   in Loop: Header=BB29_14 Depth=1
	s_or_b64 exec, exec, s[72:73]
	v_cmp_gt_i32_e32 vcc, s7, v1
	s_mov_b64 s[72:73], -1
	s_and_saveexec_b64 s[74:75], vcc
; %bb.221:                              ;   in Loop: Header=BB29_14 Depth=1
	v_cmp_eq_u32_e32 vcc, 0, v1
	s_orn2_b64 s[72:73], vcc, exec
; %bb.222:                              ;   in Loop: Header=BB29_14 Depth=1
	s_or_b64 exec, exec, s[74:75]
	s_and_b64 exec, exec, s[72:73]
	s_cbranch_execz .LBB29_12
; %bb.223:                              ;   in Loop: Header=BB29_14 Depth=1
	v_accvgpr_read_b32 v1, a49
	v_add_u32_e32 v4, s76, v1
	v_cmp_gt_i32_e32 vcc, s28, v4
	s_and_b64 s[10:11], vcc, s[8:9]
	v_mov_b32_e32 v1, 0x47
	s_and_saveexec_b64 s[72:73], s[10:11]
	s_cbranch_execz .LBB29_225
; %bb.224:                              ;   in Loop: Header=BB29_14 Depth=1
	v_accvgpr_read_b32 v1, a51
	v_add_u32_e32 v1, 0, v1
	ds_read2_b32 v[2:3], v1 offset0:128 offset1:129
	ds_read_b32 v6, v1 offset:8960
	v_accvgpr_read_b32 v1, a50
	ds_read2st64_b32 v[8:9], v1 offset1:1
	ds_read_b32 v1, v1 offset:8448
	v_mad_u64_u32 v[4:5], s[10:11], v4, s29, v[144:145]
	v_lshl_add_u32 v4, v4, 7, v232
	s_waitcnt lgkmcnt(1)
	v_cvt_f32_f16_sdwa v11, v8 dst_sel:DWORD dst_unused:UNUSED_PAD src0_sel:WORD_1
	v_cvt_f32_f16_e32 v10, v8
	s_waitcnt lgkmcnt(0)
	v_cvt_f32_f16_sdwa v13, v1 dst_sel:DWORD dst_unused:UNUSED_PAD src0_sel:WORD_1
	v_cvt_f32_f16_e32 v12, v1
	v_ashrrev_i32_e32 v5, 31, v4
	v_mov_b32_e32 v7, s87
	v_pk_fma_f32 v[10:11], v[2:3], v[10:11], 0 op_sel_hi:[0,1,0]
	v_lshlrev_b64 v[4:5], 3, v[4:5]
	v_pk_fma_f32 v[10:11], v[6:7], v[12:13], v[10:11] op_sel_hi:[0,1,1]
	v_add_co_u32_e32 v4, vcc, s6, v4
	v_div_scale_f32 v1, s[10:11], v3, v3, v11
	v_addc_co_u32_e32 v5, vcc, v7, v5, vcc
	v_rcp_f32_e32 v7, v1
	v_fma_f32 v8, -v1, v7, 1.0
	v_fmac_f32_e32 v7, v8, v7
	v_div_scale_f32 v8, vcc, v11, v3, v11
	v_mul_f32_e32 v12, v8, v7
	v_fma_f32 v13, -v1, v12, v8
	v_fmac_f32_e32 v12, v13, v7
	v_fma_f32 v1, -v1, v12, v8
	v_div_fmas_f32 v1, v1, v7, v12
	v_div_fixup_f32 v11, v1, v3, v11
	v_div_scale_f32 v1, s[10:11], v3, v3, v10
	v_rcp_f32_e32 v7, v1
	v_fma_f32 v8, -v1, v7, 1.0
	v_fmac_f32_e32 v7, v8, v7
	v_div_scale_f32 v8, vcc, v10, v3, v10
	v_mul_f32_e32 v12, v8, v7
	v_fma_f32 v13, -v1, v12, v8
	v_fmac_f32_e32 v12, v13, v7
	v_fma_f32 v1, -v1, v12, v8
	v_div_fmas_f32 v1, v1, v7, v12
	v_div_fixup_f32 v10, v1, v3, v10
	v_accvgpr_read_b32 v1, a52
	ds_read_b32 v1, v1 offset:8448
	global_store_dwordx2 v[4:5], v[10:11], off
	v_cvt_f32_f16_sdwa v11, v9 dst_sel:DWORD dst_unused:UNUSED_PAD src0_sel:WORD_1
	v_cvt_f32_f16_e32 v10, v9
	v_pk_fma_f32 v[8:9], v[2:3], v[10:11], 0 op_sel_hi:[0,1,0]
	s_waitcnt lgkmcnt(0)
	v_cvt_f32_f16_sdwa v11, v1 dst_sel:DWORD dst_unused:UNUSED_PAD src0_sel:WORD_1
	v_cvt_f32_f16_e32 v10, v1
	v_pk_fma_f32 v[6:7], v[6:7], v[10:11], v[8:9] op_sel_hi:[0,1,1]
	v_div_scale_f32 v1, s[10:11], v3, v3, v7
	v_rcp_f32_e32 v2, v1
	v_fma_f32 v8, -v1, v2, 1.0
	v_fmac_f32_e32 v2, v8, v2
	v_div_scale_f32 v8, vcc, v7, v3, v7
	v_mul_f32_e32 v9, v8, v2
	v_fma_f32 v10, -v1, v9, v8
	v_fmac_f32_e32 v9, v10, v2
	v_fma_f32 v1, -v1, v9, v8
	v_div_fmas_f32 v1, v1, v2, v9
	v_div_fixup_f32 v7, v1, v3, v7
	v_div_scale_f32 v1, s[10:11], v3, v3, v6
	v_rcp_f32_e32 v2, v1
	v_fma_f32 v8, -v1, v2, 1.0
	v_fmac_f32_e32 v2, v8, v2
	v_div_scale_f32 v8, vcc, v6, v3, v6
	v_mul_f32_e32 v9, v8, v2
	v_fma_f32 v10, -v1, v9, v8
	v_fmac_f32_e32 v9, v10, v2
	v_fma_f32 v1, -v1, v9, v8
	v_div_fmas_f32 v1, v1, v2, v9
	v_div_fixup_f32 v6, v1, v3, v6
	v_mov_b32_e32 v1, 0
	global_store_dwordx2 v[4:5], v[6:7], off offset:512
.LBB29_225:                             ;   in Loop: Header=BB29_14 Depth=1
	s_or_b64 exec, exec, s[72:73]
	v_cmp_gt_i32_e32 vcc, s7, v1
	s_mov_b64 s[72:73], -1
	s_and_saveexec_b64 s[74:75], vcc
; %bb.226:                              ;   in Loop: Header=BB29_14 Depth=1
	v_cmp_eq_u32_e32 vcc, 0, v1
	s_orn2_b64 s[72:73], vcc, exec
; %bb.227:                              ;   in Loop: Header=BB29_14 Depth=1
	s_or_b64 exec, exec, s[74:75]
	s_and_b64 exec, exec, s[72:73]
	s_cbranch_execz .LBB29_12
; %bb.228:                              ;   in Loop: Header=BB29_14 Depth=1
	v_accvgpr_read_b32 v1, a53
	v_add_u32_e32 v4, s76, v1
	v_cmp_gt_i32_e32 vcc, s28, v4
	s_and_b64 s[10:11], vcc, s[8:9]
	v_mov_b32_e32 v1, 0x47
	s_and_saveexec_b64 s[72:73], s[10:11]
	s_cbranch_execz .LBB29_230
; %bb.229:                              ;   in Loop: Header=BB29_14 Depth=1
	v_accvgpr_read_b32 v1, a55
	v_add_u32_e32 v1, 0, v1
	ds_read2_b32 v[2:3], v1 offset0:128 offset1:129
	ds_read_b32 v6, v1 offset:8960
	v_accvgpr_read_b32 v1, a54
	ds_read2st64_b32 v[8:9], v1 offset1:1
	ds_read_b32 v1, v1 offset:8448
	v_mad_u64_u32 v[4:5], s[10:11], v4, s29, v[144:145]
	v_lshl_add_u32 v4, v4, 7, v232
	s_waitcnt lgkmcnt(1)
	v_cvt_f32_f16_sdwa v11, v8 dst_sel:DWORD dst_unused:UNUSED_PAD src0_sel:WORD_1
	v_cvt_f32_f16_e32 v10, v8
	s_waitcnt lgkmcnt(0)
	v_cvt_f32_f16_sdwa v13, v1 dst_sel:DWORD dst_unused:UNUSED_PAD src0_sel:WORD_1
	v_cvt_f32_f16_e32 v12, v1
	v_ashrrev_i32_e32 v5, 31, v4
	v_mov_b32_e32 v7, s87
	v_pk_fma_f32 v[10:11], v[2:3], v[10:11], 0 op_sel_hi:[0,1,0]
	v_lshlrev_b64 v[4:5], 3, v[4:5]
	v_pk_fma_f32 v[10:11], v[6:7], v[12:13], v[10:11] op_sel_hi:[0,1,1]
	v_add_co_u32_e32 v4, vcc, s6, v4
	v_div_scale_f32 v1, s[10:11], v3, v3, v11
	v_addc_co_u32_e32 v5, vcc, v7, v5, vcc
	v_rcp_f32_e32 v7, v1
	v_fma_f32 v8, -v1, v7, 1.0
	v_fmac_f32_e32 v7, v8, v7
	v_div_scale_f32 v8, vcc, v11, v3, v11
	v_mul_f32_e32 v12, v8, v7
	v_fma_f32 v13, -v1, v12, v8
	v_fmac_f32_e32 v12, v13, v7
	v_fma_f32 v1, -v1, v12, v8
	v_div_fmas_f32 v1, v1, v7, v12
	v_div_fixup_f32 v11, v1, v3, v11
	v_div_scale_f32 v1, s[10:11], v3, v3, v10
	v_rcp_f32_e32 v7, v1
	v_fma_f32 v8, -v1, v7, 1.0
	v_fmac_f32_e32 v7, v8, v7
	v_div_scale_f32 v8, vcc, v10, v3, v10
	v_mul_f32_e32 v12, v8, v7
	v_fma_f32 v13, -v1, v12, v8
	v_fmac_f32_e32 v12, v13, v7
	v_fma_f32 v1, -v1, v12, v8
	v_div_fmas_f32 v1, v1, v7, v12
	v_div_fixup_f32 v10, v1, v3, v10
	v_accvgpr_read_b32 v1, a56
	ds_read_b32 v1, v1 offset:8448
	global_store_dwordx2 v[4:5], v[10:11], off
	v_cvt_f32_f16_sdwa v11, v9 dst_sel:DWORD dst_unused:UNUSED_PAD src0_sel:WORD_1
	v_cvt_f32_f16_e32 v10, v9
	v_pk_fma_f32 v[8:9], v[2:3], v[10:11], 0 op_sel_hi:[0,1,0]
	s_waitcnt lgkmcnt(0)
	v_cvt_f32_f16_sdwa v11, v1 dst_sel:DWORD dst_unused:UNUSED_PAD src0_sel:WORD_1
	v_cvt_f32_f16_e32 v10, v1
	v_pk_fma_f32 v[6:7], v[6:7], v[10:11], v[8:9] op_sel_hi:[0,1,1]
	v_div_scale_f32 v1, s[10:11], v3, v3, v7
	v_rcp_f32_e32 v2, v1
	v_fma_f32 v8, -v1, v2, 1.0
	v_fmac_f32_e32 v2, v8, v2
	v_div_scale_f32 v8, vcc, v7, v3, v7
	v_mul_f32_e32 v9, v8, v2
	v_fma_f32 v10, -v1, v9, v8
	v_fmac_f32_e32 v9, v10, v2
	v_fma_f32 v1, -v1, v9, v8
	v_div_fmas_f32 v1, v1, v2, v9
	v_div_fixup_f32 v7, v1, v3, v7
	v_div_scale_f32 v1, s[10:11], v3, v3, v6
	v_rcp_f32_e32 v2, v1
	v_fma_f32 v8, -v1, v2, 1.0
	v_fmac_f32_e32 v2, v8, v2
	v_div_scale_f32 v8, vcc, v6, v3, v6
	v_mul_f32_e32 v9, v8, v2
	v_fma_f32 v10, -v1, v9, v8
	v_fmac_f32_e32 v9, v10, v2
	v_fma_f32 v1, -v1, v9, v8
	v_div_fmas_f32 v1, v1, v2, v9
	v_div_fixup_f32 v6, v1, v3, v6
	v_mov_b32_e32 v1, 0
	global_store_dwordx2 v[4:5], v[6:7], off offset:512
.LBB29_230:                             ;   in Loop: Header=BB29_14 Depth=1
	s_or_b64 exec, exec, s[72:73]
	v_cmp_gt_i32_e32 vcc, s7, v1
	s_mov_b64 s[72:73], -1
	s_and_saveexec_b64 s[74:75], vcc
; %bb.231:                              ;   in Loop: Header=BB29_14 Depth=1
	v_cmp_eq_u32_e32 vcc, 0, v1
	s_orn2_b64 s[72:73], vcc, exec
; %bb.232:                              ;   in Loop: Header=BB29_14 Depth=1
	s_or_b64 exec, exec, s[74:75]
	s_and_b64 exec, exec, s[72:73]
	s_cbranch_execz .LBB29_12
; %bb.233:                              ;   in Loop: Header=BB29_14 Depth=1
	v_accvgpr_read_b32 v1, a57
	v_add_u32_e32 v4, s76, v1
	v_cmp_gt_i32_e32 vcc, s28, v4
	s_and_b64 s[10:11], vcc, s[8:9]
	v_mov_b32_e32 v1, 0x47
	s_and_saveexec_b64 s[72:73], s[10:11]
	s_cbranch_execz .LBB29_235
; %bb.234:                              ;   in Loop: Header=BB29_14 Depth=1
	v_accvgpr_read_b32 v1, a59
	v_add_u32_e32 v1, 0, v1
	ds_read2_b32 v[2:3], v1 offset0:128 offset1:129
	ds_read_b32 v6, v1 offset:8960
	v_accvgpr_read_b32 v1, a58
	ds_read2st64_b32 v[8:9], v1 offset1:1
	ds_read_b32 v1, v1 offset:8448
	v_mad_u64_u32 v[4:5], s[10:11], v4, s29, v[144:145]
	v_lshl_add_u32 v4, v4, 7, v232
	s_waitcnt lgkmcnt(1)
	v_cvt_f32_f16_sdwa v11, v8 dst_sel:DWORD dst_unused:UNUSED_PAD src0_sel:WORD_1
	v_cvt_f32_f16_e32 v10, v8
	s_waitcnt lgkmcnt(0)
	v_cvt_f32_f16_sdwa v13, v1 dst_sel:DWORD dst_unused:UNUSED_PAD src0_sel:WORD_1
	v_cvt_f32_f16_e32 v12, v1
	v_ashrrev_i32_e32 v5, 31, v4
	v_mov_b32_e32 v7, s87
	v_pk_fma_f32 v[10:11], v[2:3], v[10:11], 0 op_sel_hi:[0,1,0]
	v_lshlrev_b64 v[4:5], 3, v[4:5]
	v_pk_fma_f32 v[10:11], v[6:7], v[12:13], v[10:11] op_sel_hi:[0,1,1]
	v_add_co_u32_e32 v4, vcc, s6, v4
	v_div_scale_f32 v1, s[10:11], v3, v3, v11
	v_addc_co_u32_e32 v5, vcc, v7, v5, vcc
	v_rcp_f32_e32 v7, v1
	v_fma_f32 v8, -v1, v7, 1.0
	v_fmac_f32_e32 v7, v8, v7
	v_div_scale_f32 v8, vcc, v11, v3, v11
	v_mul_f32_e32 v12, v8, v7
	v_fma_f32 v13, -v1, v12, v8
	v_fmac_f32_e32 v12, v13, v7
	v_fma_f32 v1, -v1, v12, v8
	v_div_fmas_f32 v1, v1, v7, v12
	v_div_fixup_f32 v11, v1, v3, v11
	v_div_scale_f32 v1, s[10:11], v3, v3, v10
	v_rcp_f32_e32 v7, v1
	v_fma_f32 v8, -v1, v7, 1.0
	v_fmac_f32_e32 v7, v8, v7
	v_div_scale_f32 v8, vcc, v10, v3, v10
	v_mul_f32_e32 v12, v8, v7
	v_fma_f32 v13, -v1, v12, v8
	v_fmac_f32_e32 v12, v13, v7
	v_fma_f32 v1, -v1, v12, v8
	v_div_fmas_f32 v1, v1, v7, v12
	v_div_fixup_f32 v10, v1, v3, v10
	v_accvgpr_read_b32 v1, a60
	ds_read_b32 v1, v1 offset:8448
	global_store_dwordx2 v[4:5], v[10:11], off
	v_cvt_f32_f16_sdwa v11, v9 dst_sel:DWORD dst_unused:UNUSED_PAD src0_sel:WORD_1
	v_cvt_f32_f16_e32 v10, v9
	v_pk_fma_f32 v[8:9], v[2:3], v[10:11], 0 op_sel_hi:[0,1,0]
	s_waitcnt lgkmcnt(0)
	v_cvt_f32_f16_sdwa v11, v1 dst_sel:DWORD dst_unused:UNUSED_PAD src0_sel:WORD_1
	v_cvt_f32_f16_e32 v10, v1
	v_pk_fma_f32 v[6:7], v[6:7], v[10:11], v[8:9] op_sel_hi:[0,1,1]
	v_div_scale_f32 v1, s[10:11], v3, v3, v7
	v_rcp_f32_e32 v2, v1
	v_fma_f32 v8, -v1, v2, 1.0
	v_fmac_f32_e32 v2, v8, v2
	v_div_scale_f32 v8, vcc, v7, v3, v7
	v_mul_f32_e32 v9, v8, v2
	v_fma_f32 v10, -v1, v9, v8
	v_fmac_f32_e32 v9, v10, v2
	v_fma_f32 v1, -v1, v9, v8
	v_div_fmas_f32 v1, v1, v2, v9
	v_div_fixup_f32 v7, v1, v3, v7
	v_div_scale_f32 v1, s[10:11], v3, v3, v6
	v_rcp_f32_e32 v2, v1
	v_fma_f32 v8, -v1, v2, 1.0
	v_fmac_f32_e32 v2, v8, v2
	v_div_scale_f32 v8, vcc, v6, v3, v6
	v_mul_f32_e32 v9, v8, v2
	v_fma_f32 v10, -v1, v9, v8
	v_fmac_f32_e32 v9, v10, v2
	v_fma_f32 v1, -v1, v9, v8
	v_div_fmas_f32 v1, v1, v2, v9
	v_div_fixup_f32 v6, v1, v3, v6
	v_mov_b32_e32 v1, 0
	global_store_dwordx2 v[4:5], v[6:7], off offset:512
.LBB29_235:                             ;   in Loop: Header=BB29_14 Depth=1
	s_or_b64 exec, exec, s[72:73]
	v_cmp_gt_i32_e32 vcc, s7, v1
	s_mov_b64 s[72:73], -1
	s_and_saveexec_b64 s[74:75], vcc
; %bb.236:                              ;   in Loop: Header=BB29_14 Depth=1
	v_cmp_eq_u32_e32 vcc, 0, v1
	s_orn2_b64 s[72:73], vcc, exec
; %bb.237:                              ;   in Loop: Header=BB29_14 Depth=1
	s_or_b64 exec, exec, s[74:75]
	s_and_b64 exec, exec, s[72:73]
	s_cbranch_execz .LBB29_12
; %bb.238:                              ;   in Loop: Header=BB29_14 Depth=1
	v_accvgpr_read_b32 v1, a61
	v_add_u32_e32 v4, s76, v1
	v_cmp_gt_i32_e32 vcc, s28, v4
	s_and_b64 s[10:11], vcc, s[8:9]
	v_mov_b32_e32 v1, 0x47
	s_and_saveexec_b64 s[72:73], s[10:11]
	s_cbranch_execz .LBB29_240
; %bb.239:                              ;   in Loop: Header=BB29_14 Depth=1
	v_accvgpr_read_b32 v1, a63
	v_add_u32_e32 v1, 0, v1
	ds_read2_b32 v[2:3], v1 offset0:128 offset1:129
	ds_read_b32 v6, v1 offset:8960
	v_accvgpr_read_b32 v1, a62
	ds_read2st64_b32 v[8:9], v1 offset1:1
	ds_read_b32 v1, v1 offset:8448
	v_mad_u64_u32 v[4:5], s[10:11], v4, s29, v[144:145]
	v_lshl_add_u32 v4, v4, 7, v232
	s_waitcnt lgkmcnt(1)
	v_cvt_f32_f16_sdwa v11, v8 dst_sel:DWORD dst_unused:UNUSED_PAD src0_sel:WORD_1
	v_cvt_f32_f16_e32 v10, v8
	s_waitcnt lgkmcnt(0)
	v_cvt_f32_f16_sdwa v13, v1 dst_sel:DWORD dst_unused:UNUSED_PAD src0_sel:WORD_1
	v_cvt_f32_f16_e32 v12, v1
	v_ashrrev_i32_e32 v5, 31, v4
	v_mov_b32_e32 v7, s87
	v_pk_fma_f32 v[10:11], v[2:3], v[10:11], 0 op_sel_hi:[0,1,0]
	v_lshlrev_b64 v[4:5], 3, v[4:5]
	v_pk_fma_f32 v[10:11], v[6:7], v[12:13], v[10:11] op_sel_hi:[0,1,1]
	v_add_co_u32_e32 v4, vcc, s6, v4
	v_div_scale_f32 v1, s[10:11], v3, v3, v11
	v_addc_co_u32_e32 v5, vcc, v7, v5, vcc
	v_rcp_f32_e32 v7, v1
	v_fma_f32 v8, -v1, v7, 1.0
	v_fmac_f32_e32 v7, v8, v7
	v_div_scale_f32 v8, vcc, v11, v3, v11
	v_mul_f32_e32 v12, v8, v7
	v_fma_f32 v13, -v1, v12, v8
	v_fmac_f32_e32 v12, v13, v7
	v_fma_f32 v1, -v1, v12, v8
	v_div_fmas_f32 v1, v1, v7, v12
	v_div_fixup_f32 v11, v1, v3, v11
	v_div_scale_f32 v1, s[10:11], v3, v3, v10
	v_rcp_f32_e32 v7, v1
	v_fma_f32 v8, -v1, v7, 1.0
	v_fmac_f32_e32 v7, v8, v7
	v_div_scale_f32 v8, vcc, v10, v3, v10
	v_mul_f32_e32 v12, v8, v7
	v_fma_f32 v13, -v1, v12, v8
	v_fmac_f32_e32 v12, v13, v7
	v_fma_f32 v1, -v1, v12, v8
	v_div_fmas_f32 v1, v1, v7, v12
	v_div_fixup_f32 v10, v1, v3, v10
	v_accvgpr_read_b32 v1, a64
	ds_read_b32 v1, v1 offset:8448
	global_store_dwordx2 v[4:5], v[10:11], off
	v_cvt_f32_f16_sdwa v11, v9 dst_sel:DWORD dst_unused:UNUSED_PAD src0_sel:WORD_1
	v_cvt_f32_f16_e32 v10, v9
	v_pk_fma_f32 v[8:9], v[2:3], v[10:11], 0 op_sel_hi:[0,1,0]
	s_waitcnt lgkmcnt(0)
	v_cvt_f32_f16_sdwa v11, v1 dst_sel:DWORD dst_unused:UNUSED_PAD src0_sel:WORD_1
	v_cvt_f32_f16_e32 v10, v1
	v_pk_fma_f32 v[6:7], v[6:7], v[10:11], v[8:9] op_sel_hi:[0,1,1]
	v_div_scale_f32 v1, s[10:11], v3, v3, v7
	v_rcp_f32_e32 v2, v1
	v_fma_f32 v8, -v1, v2, 1.0
	v_fmac_f32_e32 v2, v8, v2
	v_div_scale_f32 v8, vcc, v7, v3, v7
	v_mul_f32_e32 v9, v8, v2
	v_fma_f32 v10, -v1, v9, v8
	v_fmac_f32_e32 v9, v10, v2
	v_fma_f32 v1, -v1, v9, v8
	v_div_fmas_f32 v1, v1, v2, v9
	v_div_fixup_f32 v7, v1, v3, v7
	v_div_scale_f32 v1, s[10:11], v3, v3, v6
	v_rcp_f32_e32 v2, v1
	v_fma_f32 v8, -v1, v2, 1.0
	v_fmac_f32_e32 v2, v8, v2
	v_div_scale_f32 v8, vcc, v6, v3, v6
	v_mul_f32_e32 v9, v8, v2
	v_fma_f32 v10, -v1, v9, v8
	v_fmac_f32_e32 v9, v10, v2
	v_fma_f32 v1, -v1, v9, v8
	v_div_fmas_f32 v1, v1, v2, v9
	v_div_fixup_f32 v6, v1, v3, v6
	v_mov_b32_e32 v1, 0
	global_store_dwordx2 v[4:5], v[6:7], off offset:512
.LBB29_240:                             ;   in Loop: Header=BB29_14 Depth=1
	s_or_b64 exec, exec, s[72:73]
	v_cmp_gt_i32_e32 vcc, s7, v1
	s_mov_b64 s[72:73], -1
	s_and_saveexec_b64 s[74:75], vcc
; %bb.241:                              ;   in Loop: Header=BB29_14 Depth=1
	v_cmp_eq_u32_e32 vcc, 0, v1
	s_orn2_b64 s[72:73], vcc, exec
; %bb.242:                              ;   in Loop: Header=BB29_14 Depth=1
	s_or_b64 exec, exec, s[74:75]
	s_and_b64 exec, exec, s[72:73]
	s_cbranch_execz .LBB29_12
; %bb.243:                              ;   in Loop: Header=BB29_14 Depth=1
	v_accvgpr_read_b32 v1, a65
	v_add_u32_e32 v4, s76, v1
	v_cmp_gt_i32_e32 vcc, s28, v4
	s_and_b64 s[10:11], vcc, s[8:9]
	v_mov_b32_e32 v1, 0x47
	s_and_saveexec_b64 s[72:73], s[10:11]
	s_cbranch_execz .LBB29_245
; %bb.244:                              ;   in Loop: Header=BB29_14 Depth=1
	v_accvgpr_read_b32 v1, a67
	v_add_u32_e32 v1, 0, v1
	ds_read2_b32 v[2:3], v1 offset0:128 offset1:129
	ds_read_b32 v6, v1 offset:8960
	v_accvgpr_read_b32 v1, a66
	ds_read2st64_b32 v[8:9], v1 offset1:1
	ds_read_b32 v1, v1 offset:8448
	v_mad_u64_u32 v[4:5], s[10:11], v4, s29, v[144:145]
	v_lshl_add_u32 v4, v4, 7, v232
	s_waitcnt lgkmcnt(1)
	v_cvt_f32_f16_sdwa v11, v8 dst_sel:DWORD dst_unused:UNUSED_PAD src0_sel:WORD_1
	v_cvt_f32_f16_e32 v10, v8
	s_waitcnt lgkmcnt(0)
	v_cvt_f32_f16_sdwa v13, v1 dst_sel:DWORD dst_unused:UNUSED_PAD src0_sel:WORD_1
	v_cvt_f32_f16_e32 v12, v1
	v_ashrrev_i32_e32 v5, 31, v4
	v_mov_b32_e32 v7, s87
	v_pk_fma_f32 v[10:11], v[2:3], v[10:11], 0 op_sel_hi:[0,1,0]
	v_lshlrev_b64 v[4:5], 3, v[4:5]
	v_pk_fma_f32 v[10:11], v[6:7], v[12:13], v[10:11] op_sel_hi:[0,1,1]
	v_add_co_u32_e32 v4, vcc, s6, v4
	v_div_scale_f32 v1, s[10:11], v3, v3, v11
	v_addc_co_u32_e32 v5, vcc, v7, v5, vcc
	v_rcp_f32_e32 v7, v1
	v_fma_f32 v8, -v1, v7, 1.0
	v_fmac_f32_e32 v7, v8, v7
	v_div_scale_f32 v8, vcc, v11, v3, v11
	v_mul_f32_e32 v12, v8, v7
	v_fma_f32 v13, -v1, v12, v8
	v_fmac_f32_e32 v12, v13, v7
	v_fma_f32 v1, -v1, v12, v8
	v_div_fmas_f32 v1, v1, v7, v12
	v_div_fixup_f32 v11, v1, v3, v11
	v_div_scale_f32 v1, s[10:11], v3, v3, v10
	v_rcp_f32_e32 v7, v1
	v_fma_f32 v8, -v1, v7, 1.0
	v_fmac_f32_e32 v7, v8, v7
	v_div_scale_f32 v8, vcc, v10, v3, v10
	v_mul_f32_e32 v12, v8, v7
	v_fma_f32 v13, -v1, v12, v8
	v_fmac_f32_e32 v12, v13, v7
	v_fma_f32 v1, -v1, v12, v8
	v_div_fmas_f32 v1, v1, v7, v12
	v_div_fixup_f32 v10, v1, v3, v10
	v_accvgpr_read_b32 v1, a68
	ds_read_b32 v1, v1 offset:8448
	global_store_dwordx2 v[4:5], v[10:11], off
	v_cvt_f32_f16_sdwa v11, v9 dst_sel:DWORD dst_unused:UNUSED_PAD src0_sel:WORD_1
	v_cvt_f32_f16_e32 v10, v9
	v_pk_fma_f32 v[8:9], v[2:3], v[10:11], 0 op_sel_hi:[0,1,0]
	s_waitcnt lgkmcnt(0)
	v_cvt_f32_f16_sdwa v11, v1 dst_sel:DWORD dst_unused:UNUSED_PAD src0_sel:WORD_1
	v_cvt_f32_f16_e32 v10, v1
	v_pk_fma_f32 v[6:7], v[6:7], v[10:11], v[8:9] op_sel_hi:[0,1,1]
	v_div_scale_f32 v1, s[10:11], v3, v3, v7
	v_rcp_f32_e32 v2, v1
	v_fma_f32 v8, -v1, v2, 1.0
	v_fmac_f32_e32 v2, v8, v2
	v_div_scale_f32 v8, vcc, v7, v3, v7
	v_mul_f32_e32 v9, v8, v2
	v_fma_f32 v10, -v1, v9, v8
	v_fmac_f32_e32 v9, v10, v2
	v_fma_f32 v1, -v1, v9, v8
	v_div_fmas_f32 v1, v1, v2, v9
	v_div_fixup_f32 v7, v1, v3, v7
	v_div_scale_f32 v1, s[10:11], v3, v3, v6
	v_rcp_f32_e32 v2, v1
	v_fma_f32 v8, -v1, v2, 1.0
	v_fmac_f32_e32 v2, v8, v2
	v_div_scale_f32 v8, vcc, v6, v3, v6
	v_mul_f32_e32 v9, v8, v2
	v_fma_f32 v10, -v1, v9, v8
	v_fmac_f32_e32 v9, v10, v2
	v_fma_f32 v1, -v1, v9, v8
	v_div_fmas_f32 v1, v1, v2, v9
	v_div_fixup_f32 v6, v1, v3, v6
	v_mov_b32_e32 v1, 0
	global_store_dwordx2 v[4:5], v[6:7], off offset:512
.LBB29_245:                             ;   in Loop: Header=BB29_14 Depth=1
	s_or_b64 exec, exec, s[72:73]
	v_cmp_gt_i32_e32 vcc, s7, v1
	s_mov_b64 s[72:73], -1
	s_and_saveexec_b64 s[74:75], vcc
; %bb.246:                              ;   in Loop: Header=BB29_14 Depth=1
	v_cmp_eq_u32_e32 vcc, 0, v1
	s_orn2_b64 s[72:73], vcc, exec
; %bb.247:                              ;   in Loop: Header=BB29_14 Depth=1
	s_or_b64 exec, exec, s[74:75]
	s_and_b64 exec, exec, s[72:73]
	s_cbranch_execz .LBB29_12
; %bb.248:                              ;   in Loop: Header=BB29_14 Depth=1
	v_accvgpr_read_b32 v1, a69
	v_add_u32_e32 v4, s76, v1
	v_cmp_gt_i32_e32 vcc, s28, v4
	s_and_b64 s[10:11], vcc, s[8:9]
	v_mov_b32_e32 v1, 0x47
	s_and_saveexec_b64 s[72:73], s[10:11]
	s_cbranch_execz .LBB29_250
; %bb.249:                              ;   in Loop: Header=BB29_14 Depth=1
	v_accvgpr_read_b32 v1, a71
	v_add_u32_e32 v1, 0, v1
	ds_read2_b32 v[2:3], v1 offset0:128 offset1:129
	ds_read_b32 v6, v1 offset:8960
	v_accvgpr_read_b32 v1, a70
	ds_read2st64_b32 v[8:9], v1 offset1:1
	ds_read_b32 v1, v1 offset:8448
	v_mad_u64_u32 v[4:5], s[10:11], v4, s29, v[144:145]
	v_lshl_add_u32 v4, v4, 7, v232
	s_waitcnt lgkmcnt(1)
	v_cvt_f32_f16_sdwa v11, v8 dst_sel:DWORD dst_unused:UNUSED_PAD src0_sel:WORD_1
	v_cvt_f32_f16_e32 v10, v8
	s_waitcnt lgkmcnt(0)
	v_cvt_f32_f16_sdwa v13, v1 dst_sel:DWORD dst_unused:UNUSED_PAD src0_sel:WORD_1
	v_cvt_f32_f16_e32 v12, v1
	v_ashrrev_i32_e32 v5, 31, v4
	v_mov_b32_e32 v7, s87
	v_pk_fma_f32 v[10:11], v[2:3], v[10:11], 0 op_sel_hi:[0,1,0]
	v_lshlrev_b64 v[4:5], 3, v[4:5]
	v_pk_fma_f32 v[10:11], v[6:7], v[12:13], v[10:11] op_sel_hi:[0,1,1]
	v_add_co_u32_e32 v4, vcc, s6, v4
	v_div_scale_f32 v1, s[10:11], v3, v3, v11
	v_addc_co_u32_e32 v5, vcc, v7, v5, vcc
	v_rcp_f32_e32 v7, v1
	v_fma_f32 v8, -v1, v7, 1.0
	v_fmac_f32_e32 v7, v8, v7
	v_div_scale_f32 v8, vcc, v11, v3, v11
	v_mul_f32_e32 v12, v8, v7
	v_fma_f32 v13, -v1, v12, v8
	v_fmac_f32_e32 v12, v13, v7
	v_fma_f32 v1, -v1, v12, v8
	v_div_fmas_f32 v1, v1, v7, v12
	v_div_fixup_f32 v11, v1, v3, v11
	v_div_scale_f32 v1, s[10:11], v3, v3, v10
	v_rcp_f32_e32 v7, v1
	v_fma_f32 v8, -v1, v7, 1.0
	v_fmac_f32_e32 v7, v8, v7
	v_div_scale_f32 v8, vcc, v10, v3, v10
	v_mul_f32_e32 v12, v8, v7
	v_fma_f32 v13, -v1, v12, v8
	v_fmac_f32_e32 v12, v13, v7
	v_fma_f32 v1, -v1, v12, v8
	v_div_fmas_f32 v1, v1, v7, v12
	v_div_fixup_f32 v10, v1, v3, v10
	v_accvgpr_read_b32 v1, a72
	ds_read_b32 v1, v1 offset:8448
	global_store_dwordx2 v[4:5], v[10:11], off
	v_cvt_f32_f16_sdwa v11, v9 dst_sel:DWORD dst_unused:UNUSED_PAD src0_sel:WORD_1
	v_cvt_f32_f16_e32 v10, v9
	v_pk_fma_f32 v[8:9], v[2:3], v[10:11], 0 op_sel_hi:[0,1,0]
	s_waitcnt lgkmcnt(0)
	v_cvt_f32_f16_sdwa v11, v1 dst_sel:DWORD dst_unused:UNUSED_PAD src0_sel:WORD_1
	v_cvt_f32_f16_e32 v10, v1
	v_pk_fma_f32 v[6:7], v[6:7], v[10:11], v[8:9] op_sel_hi:[0,1,1]
	v_div_scale_f32 v1, s[10:11], v3, v3, v7
	v_rcp_f32_e32 v2, v1
	v_fma_f32 v8, -v1, v2, 1.0
	v_fmac_f32_e32 v2, v8, v2
	v_div_scale_f32 v8, vcc, v7, v3, v7
	v_mul_f32_e32 v9, v8, v2
	v_fma_f32 v10, -v1, v9, v8
	v_fmac_f32_e32 v9, v10, v2
	v_fma_f32 v1, -v1, v9, v8
	v_div_fmas_f32 v1, v1, v2, v9
	v_div_fixup_f32 v7, v1, v3, v7
	v_div_scale_f32 v1, s[10:11], v3, v3, v6
	v_rcp_f32_e32 v2, v1
	v_fma_f32 v8, -v1, v2, 1.0
	v_fmac_f32_e32 v2, v8, v2
	v_div_scale_f32 v8, vcc, v6, v3, v6
	v_mul_f32_e32 v9, v8, v2
	v_fma_f32 v10, -v1, v9, v8
	v_fmac_f32_e32 v9, v10, v2
	v_fma_f32 v1, -v1, v9, v8
	v_div_fmas_f32 v1, v1, v2, v9
	v_div_fixup_f32 v6, v1, v3, v6
	v_mov_b32_e32 v1, 0
	global_store_dwordx2 v[4:5], v[6:7], off offset:512
.LBB29_250:                             ;   in Loop: Header=BB29_14 Depth=1
	s_or_b64 exec, exec, s[72:73]
	v_cmp_gt_i32_e32 vcc, s7, v1
	s_mov_b64 s[72:73], -1
	s_and_saveexec_b64 s[74:75], vcc
; %bb.251:                              ;   in Loop: Header=BB29_14 Depth=1
	v_cmp_eq_u32_e32 vcc, 0, v1
	s_orn2_b64 s[72:73], vcc, exec
; %bb.252:                              ;   in Loop: Header=BB29_14 Depth=1
	s_or_b64 exec, exec, s[74:75]
	s_and_b64 exec, exec, s[72:73]
	s_cbranch_execz .LBB29_12
; %bb.253:                              ;   in Loop: Header=BB29_14 Depth=1
	v_accvgpr_read_b32 v1, a73
	v_add_u32_e32 v4, s76, v1
	v_cmp_gt_i32_e32 vcc, s28, v4
	s_and_b64 s[10:11], vcc, s[8:9]
	v_mov_b32_e32 v1, 0x47
	s_and_saveexec_b64 s[72:73], s[10:11]
	s_cbranch_execz .LBB29_255
; %bb.254:                              ;   in Loop: Header=BB29_14 Depth=1
	v_accvgpr_read_b32 v1, a75
	v_add_u32_e32 v1, 0, v1
	ds_read2_b32 v[2:3], v1 offset0:128 offset1:129
	ds_read_b32 v6, v1 offset:8960
	v_accvgpr_read_b32 v1, a74
	ds_read2st64_b32 v[8:9], v1 offset1:1
	ds_read_b32 v1, v1 offset:8448
	v_mad_u64_u32 v[4:5], s[10:11], v4, s29, v[144:145]
	v_lshl_add_u32 v4, v4, 7, v232
	s_waitcnt lgkmcnt(1)
	v_cvt_f32_f16_sdwa v11, v8 dst_sel:DWORD dst_unused:UNUSED_PAD src0_sel:WORD_1
	v_cvt_f32_f16_e32 v10, v8
	s_waitcnt lgkmcnt(0)
	v_cvt_f32_f16_sdwa v13, v1 dst_sel:DWORD dst_unused:UNUSED_PAD src0_sel:WORD_1
	v_cvt_f32_f16_e32 v12, v1
	v_ashrrev_i32_e32 v5, 31, v4
	v_mov_b32_e32 v7, s87
	v_pk_fma_f32 v[10:11], v[2:3], v[10:11], 0 op_sel_hi:[0,1,0]
	v_lshlrev_b64 v[4:5], 3, v[4:5]
	v_pk_fma_f32 v[10:11], v[6:7], v[12:13], v[10:11] op_sel_hi:[0,1,1]
	v_add_co_u32_e32 v4, vcc, s6, v4
	v_div_scale_f32 v1, s[10:11], v3, v3, v11
	v_addc_co_u32_e32 v5, vcc, v7, v5, vcc
	v_rcp_f32_e32 v7, v1
	v_fma_f32 v8, -v1, v7, 1.0
	v_fmac_f32_e32 v7, v8, v7
	v_div_scale_f32 v8, vcc, v11, v3, v11
	v_mul_f32_e32 v12, v8, v7
	v_fma_f32 v13, -v1, v12, v8
	v_fmac_f32_e32 v12, v13, v7
	v_fma_f32 v1, -v1, v12, v8
	v_div_fmas_f32 v1, v1, v7, v12
	v_div_fixup_f32 v11, v1, v3, v11
	v_div_scale_f32 v1, s[10:11], v3, v3, v10
	v_rcp_f32_e32 v7, v1
	v_fma_f32 v8, -v1, v7, 1.0
	v_fmac_f32_e32 v7, v8, v7
	v_div_scale_f32 v8, vcc, v10, v3, v10
	v_mul_f32_e32 v12, v8, v7
	v_fma_f32 v13, -v1, v12, v8
	v_fmac_f32_e32 v12, v13, v7
	v_fma_f32 v1, -v1, v12, v8
	v_div_fmas_f32 v1, v1, v7, v12
	v_div_fixup_f32 v10, v1, v3, v10
	v_accvgpr_read_b32 v1, a76
	ds_read_b32 v1, v1 offset:8448
	global_store_dwordx2 v[4:5], v[10:11], off
	v_cvt_f32_f16_sdwa v11, v9 dst_sel:DWORD dst_unused:UNUSED_PAD src0_sel:WORD_1
	v_cvt_f32_f16_e32 v10, v9
	v_pk_fma_f32 v[8:9], v[2:3], v[10:11], 0 op_sel_hi:[0,1,0]
	s_waitcnt lgkmcnt(0)
	v_cvt_f32_f16_sdwa v11, v1 dst_sel:DWORD dst_unused:UNUSED_PAD src0_sel:WORD_1
	v_cvt_f32_f16_e32 v10, v1
	v_pk_fma_f32 v[6:7], v[6:7], v[10:11], v[8:9] op_sel_hi:[0,1,1]
	v_div_scale_f32 v1, s[10:11], v3, v3, v7
	v_rcp_f32_e32 v2, v1
	v_fma_f32 v8, -v1, v2, 1.0
	v_fmac_f32_e32 v2, v8, v2
	v_div_scale_f32 v8, vcc, v7, v3, v7
	v_mul_f32_e32 v9, v8, v2
	v_fma_f32 v10, -v1, v9, v8
	v_fmac_f32_e32 v9, v10, v2
	v_fma_f32 v1, -v1, v9, v8
	v_div_fmas_f32 v1, v1, v2, v9
	v_div_fixup_f32 v7, v1, v3, v7
	v_div_scale_f32 v1, s[10:11], v3, v3, v6
	v_rcp_f32_e32 v2, v1
	v_fma_f32 v8, -v1, v2, 1.0
	v_fmac_f32_e32 v2, v8, v2
	v_div_scale_f32 v8, vcc, v6, v3, v6
	v_mul_f32_e32 v9, v8, v2
	v_fma_f32 v10, -v1, v9, v8
	v_fmac_f32_e32 v9, v10, v2
	v_fma_f32 v1, -v1, v9, v8
	v_div_fmas_f32 v1, v1, v2, v9
	v_div_fixup_f32 v6, v1, v3, v6
	v_mov_b32_e32 v1, 0
	global_store_dwordx2 v[4:5], v[6:7], off offset:512
.LBB29_255:                             ;   in Loop: Header=BB29_14 Depth=1
	s_or_b64 exec, exec, s[72:73]
	v_cmp_gt_i32_e32 vcc, s7, v1
	s_mov_b64 s[72:73], -1
	s_and_saveexec_b64 s[74:75], vcc
; %bb.256:                              ;   in Loop: Header=BB29_14 Depth=1
	v_cmp_eq_u32_e32 vcc, 0, v1
	s_orn2_b64 s[72:73], vcc, exec
; %bb.257:                              ;   in Loop: Header=BB29_14 Depth=1
	s_or_b64 exec, exec, s[74:75]
	s_and_b64 exec, exec, s[72:73]
	s_cbranch_execz .LBB29_12
; %bb.258:                              ;   in Loop: Header=BB29_14 Depth=1
	v_accvgpr_read_b32 v1, a77
	v_add_u32_e32 v4, s76, v1
	v_cmp_gt_i32_e32 vcc, s28, v4
	s_and_b64 s[10:11], vcc, s[8:9]
	v_mov_b32_e32 v1, 0x47
	s_and_saveexec_b64 s[72:73], s[10:11]
	s_cbranch_execz .LBB29_260
; %bb.259:                              ;   in Loop: Header=BB29_14 Depth=1
	v_accvgpr_read_b32 v1, a79
	v_add_u32_e32 v1, 0, v1
	ds_read2_b32 v[2:3], v1 offset0:128 offset1:129
	ds_read_b32 v6, v1 offset:8960
	v_accvgpr_read_b32 v1, a78
	ds_read2st64_b32 v[8:9], v1 offset1:1
	ds_read_b32 v1, v1 offset:8448
	v_mad_u64_u32 v[4:5], s[10:11], v4, s29, v[144:145]
	v_lshl_add_u32 v4, v4, 7, v232
	s_waitcnt lgkmcnt(1)
	v_cvt_f32_f16_sdwa v11, v8 dst_sel:DWORD dst_unused:UNUSED_PAD src0_sel:WORD_1
	v_cvt_f32_f16_e32 v10, v8
	s_waitcnt lgkmcnt(0)
	v_cvt_f32_f16_sdwa v13, v1 dst_sel:DWORD dst_unused:UNUSED_PAD src0_sel:WORD_1
	v_cvt_f32_f16_e32 v12, v1
	v_ashrrev_i32_e32 v5, 31, v4
	v_mov_b32_e32 v7, s87
	v_pk_fma_f32 v[10:11], v[2:3], v[10:11], 0 op_sel_hi:[0,1,0]
	v_lshlrev_b64 v[4:5], 3, v[4:5]
	v_pk_fma_f32 v[10:11], v[6:7], v[12:13], v[10:11] op_sel_hi:[0,1,1]
	v_add_co_u32_e32 v4, vcc, s6, v4
	v_div_scale_f32 v1, s[10:11], v3, v3, v11
	v_addc_co_u32_e32 v5, vcc, v7, v5, vcc
	v_rcp_f32_e32 v7, v1
	v_fma_f32 v8, -v1, v7, 1.0
	v_fmac_f32_e32 v7, v8, v7
	v_div_scale_f32 v8, vcc, v11, v3, v11
	v_mul_f32_e32 v12, v8, v7
	v_fma_f32 v13, -v1, v12, v8
	v_fmac_f32_e32 v12, v13, v7
	v_fma_f32 v1, -v1, v12, v8
	v_div_fmas_f32 v1, v1, v7, v12
	v_div_fixup_f32 v11, v1, v3, v11
	v_div_scale_f32 v1, s[10:11], v3, v3, v10
	v_rcp_f32_e32 v7, v1
	v_fma_f32 v8, -v1, v7, 1.0
	v_fmac_f32_e32 v7, v8, v7
	v_div_scale_f32 v8, vcc, v10, v3, v10
	v_mul_f32_e32 v12, v8, v7
	v_fma_f32 v13, -v1, v12, v8
	v_fmac_f32_e32 v12, v13, v7
	v_fma_f32 v1, -v1, v12, v8
	v_div_fmas_f32 v1, v1, v7, v12
	v_div_fixup_f32 v10, v1, v3, v10
	v_accvgpr_read_b32 v1, a80
	ds_read_b32 v1, v1 offset:8448
	global_store_dwordx2 v[4:5], v[10:11], off
	v_cvt_f32_f16_sdwa v11, v9 dst_sel:DWORD dst_unused:UNUSED_PAD src0_sel:WORD_1
	v_cvt_f32_f16_e32 v10, v9
	v_pk_fma_f32 v[8:9], v[2:3], v[10:11], 0 op_sel_hi:[0,1,0]
	s_waitcnt lgkmcnt(0)
	v_cvt_f32_f16_sdwa v11, v1 dst_sel:DWORD dst_unused:UNUSED_PAD src0_sel:WORD_1
	v_cvt_f32_f16_e32 v10, v1
	v_pk_fma_f32 v[6:7], v[6:7], v[10:11], v[8:9] op_sel_hi:[0,1,1]
	v_div_scale_f32 v1, s[10:11], v3, v3, v7
	v_rcp_f32_e32 v2, v1
	v_fma_f32 v8, -v1, v2, 1.0
	v_fmac_f32_e32 v2, v8, v2
	v_div_scale_f32 v8, vcc, v7, v3, v7
	v_mul_f32_e32 v9, v8, v2
	v_fma_f32 v10, -v1, v9, v8
	v_fmac_f32_e32 v9, v10, v2
	v_fma_f32 v1, -v1, v9, v8
	v_div_fmas_f32 v1, v1, v2, v9
	v_div_fixup_f32 v7, v1, v3, v7
	v_div_scale_f32 v1, s[10:11], v3, v3, v6
	v_rcp_f32_e32 v2, v1
	v_fma_f32 v8, -v1, v2, 1.0
	v_fmac_f32_e32 v2, v8, v2
	v_div_scale_f32 v8, vcc, v6, v3, v6
	v_mul_f32_e32 v9, v8, v2
	v_fma_f32 v10, -v1, v9, v8
	v_fmac_f32_e32 v9, v10, v2
	v_fma_f32 v1, -v1, v9, v8
	v_div_fmas_f32 v1, v1, v2, v9
	v_div_fixup_f32 v6, v1, v3, v6
	v_mov_b32_e32 v1, 0
	global_store_dwordx2 v[4:5], v[6:7], off offset:512
.LBB29_260:                             ;   in Loop: Header=BB29_14 Depth=1
	s_or_b64 exec, exec, s[72:73]
	v_cmp_gt_i32_e32 vcc, s7, v1
	s_mov_b64 s[72:73], -1
	s_and_saveexec_b64 s[74:75], vcc
; %bb.261:                              ;   in Loop: Header=BB29_14 Depth=1
	v_cmp_eq_u32_e32 vcc, 0, v1
	s_orn2_b64 s[72:73], vcc, exec
; %bb.262:                              ;   in Loop: Header=BB29_14 Depth=1
	s_or_b64 exec, exec, s[74:75]
	s_and_b64 exec, exec, s[72:73]
	s_cbranch_execz .LBB29_12
; %bb.263:                              ;   in Loop: Header=BB29_14 Depth=1
	v_accvgpr_read_b32 v1, a81
	v_add_u32_e32 v4, s76, v1
	v_cmp_gt_i32_e32 vcc, s28, v4
	s_and_b64 s[10:11], vcc, s[8:9]
	v_mov_b32_e32 v1, 0x47
	s_and_saveexec_b64 s[72:73], s[10:11]
	s_cbranch_execz .LBB29_265
; %bb.264:                              ;   in Loop: Header=BB29_14 Depth=1
	v_accvgpr_read_b32 v1, a83
	v_add_u32_e32 v1, 0, v1
	ds_read2_b32 v[2:3], v1 offset0:128 offset1:129
	ds_read_b32 v6, v1 offset:8960
	v_accvgpr_read_b32 v1, a82
	ds_read2st64_b32 v[8:9], v1 offset1:1
	ds_read_b32 v1, v1 offset:8448
	v_mad_u64_u32 v[4:5], s[10:11], v4, s29, v[144:145]
	v_lshl_add_u32 v4, v4, 7, v232
	s_waitcnt lgkmcnt(1)
	v_cvt_f32_f16_sdwa v11, v8 dst_sel:DWORD dst_unused:UNUSED_PAD src0_sel:WORD_1
	v_cvt_f32_f16_e32 v10, v8
	s_waitcnt lgkmcnt(0)
	v_cvt_f32_f16_sdwa v13, v1 dst_sel:DWORD dst_unused:UNUSED_PAD src0_sel:WORD_1
	v_cvt_f32_f16_e32 v12, v1
	v_ashrrev_i32_e32 v5, 31, v4
	v_mov_b32_e32 v7, s87
	v_pk_fma_f32 v[10:11], v[2:3], v[10:11], 0 op_sel_hi:[0,1,0]
	v_lshlrev_b64 v[4:5], 3, v[4:5]
	v_pk_fma_f32 v[10:11], v[6:7], v[12:13], v[10:11] op_sel_hi:[0,1,1]
	v_add_co_u32_e32 v4, vcc, s6, v4
	v_div_scale_f32 v1, s[10:11], v3, v3, v11
	v_addc_co_u32_e32 v5, vcc, v7, v5, vcc
	v_rcp_f32_e32 v7, v1
	v_fma_f32 v8, -v1, v7, 1.0
	v_fmac_f32_e32 v7, v8, v7
	v_div_scale_f32 v8, vcc, v11, v3, v11
	v_mul_f32_e32 v12, v8, v7
	v_fma_f32 v13, -v1, v12, v8
	v_fmac_f32_e32 v12, v13, v7
	v_fma_f32 v1, -v1, v12, v8
	v_div_fmas_f32 v1, v1, v7, v12
	v_div_fixup_f32 v11, v1, v3, v11
	v_div_scale_f32 v1, s[10:11], v3, v3, v10
	v_rcp_f32_e32 v7, v1
	v_fma_f32 v8, -v1, v7, 1.0
	v_fmac_f32_e32 v7, v8, v7
	v_div_scale_f32 v8, vcc, v10, v3, v10
	v_mul_f32_e32 v12, v8, v7
	v_fma_f32 v13, -v1, v12, v8
	v_fmac_f32_e32 v12, v13, v7
	v_fma_f32 v1, -v1, v12, v8
	v_div_fmas_f32 v1, v1, v7, v12
	v_div_fixup_f32 v10, v1, v3, v10
	v_accvgpr_read_b32 v1, a84
	ds_read_b32 v1, v1 offset:8448
	global_store_dwordx2 v[4:5], v[10:11], off
	v_cvt_f32_f16_sdwa v11, v9 dst_sel:DWORD dst_unused:UNUSED_PAD src0_sel:WORD_1
	v_cvt_f32_f16_e32 v10, v9
	v_pk_fma_f32 v[8:9], v[2:3], v[10:11], 0 op_sel_hi:[0,1,0]
	s_waitcnt lgkmcnt(0)
	v_cvt_f32_f16_sdwa v11, v1 dst_sel:DWORD dst_unused:UNUSED_PAD src0_sel:WORD_1
	v_cvt_f32_f16_e32 v10, v1
	v_pk_fma_f32 v[6:7], v[6:7], v[10:11], v[8:9] op_sel_hi:[0,1,1]
	v_div_scale_f32 v1, s[10:11], v3, v3, v7
	v_rcp_f32_e32 v2, v1
	v_fma_f32 v8, -v1, v2, 1.0
	v_fmac_f32_e32 v2, v8, v2
	v_div_scale_f32 v8, vcc, v7, v3, v7
	v_mul_f32_e32 v9, v8, v2
	v_fma_f32 v10, -v1, v9, v8
	v_fmac_f32_e32 v9, v10, v2
	v_fma_f32 v1, -v1, v9, v8
	v_div_fmas_f32 v1, v1, v2, v9
	v_div_fixup_f32 v7, v1, v3, v7
	v_div_scale_f32 v1, s[10:11], v3, v3, v6
	v_rcp_f32_e32 v2, v1
	v_fma_f32 v8, -v1, v2, 1.0
	v_fmac_f32_e32 v2, v8, v2
	v_div_scale_f32 v8, vcc, v6, v3, v6
	v_mul_f32_e32 v9, v8, v2
	v_fma_f32 v10, -v1, v9, v8
	v_fmac_f32_e32 v9, v10, v2
	v_fma_f32 v1, -v1, v9, v8
	v_div_fmas_f32 v1, v1, v2, v9
	v_div_fixup_f32 v6, v1, v3, v6
	v_mov_b32_e32 v1, 0
	global_store_dwordx2 v[4:5], v[6:7], off offset:512
.LBB29_265:                             ;   in Loop: Header=BB29_14 Depth=1
	s_or_b64 exec, exec, s[72:73]
	v_cmp_gt_i32_e32 vcc, s7, v1
	s_mov_b64 s[72:73], -1
	s_and_saveexec_b64 s[74:75], vcc
; %bb.266:                              ;   in Loop: Header=BB29_14 Depth=1
	v_cmp_eq_u32_e32 vcc, 0, v1
	s_orn2_b64 s[72:73], vcc, exec
; %bb.267:                              ;   in Loop: Header=BB29_14 Depth=1
	s_or_b64 exec, exec, s[74:75]
	s_and_b64 exec, exec, s[72:73]
	s_cbranch_execz .LBB29_12
; %bb.268:                              ;   in Loop: Header=BB29_14 Depth=1
	v_accvgpr_read_b32 v1, a85
	v_add_u32_e32 v4, s76, v1
	v_cmp_gt_i32_e32 vcc, s28, v4
	s_and_b64 s[10:11], vcc, s[8:9]
	v_mov_b32_e32 v1, 0x47
	s_and_saveexec_b64 s[72:73], s[10:11]
	s_cbranch_execz .LBB29_270
; %bb.269:                              ;   in Loop: Header=BB29_14 Depth=1
	v_accvgpr_read_b32 v1, a87
	v_add_u32_e32 v1, 0, v1
	ds_read2_b32 v[2:3], v1 offset0:128 offset1:129
	ds_read_b32 v6, v1 offset:8960
	v_accvgpr_read_b32 v1, a86
	ds_read2st64_b32 v[8:9], v1 offset1:1
	ds_read_b32 v1, v1 offset:8448
	v_mad_u64_u32 v[4:5], s[10:11], v4, s29, v[144:145]
	v_lshl_add_u32 v4, v4, 7, v232
	s_waitcnt lgkmcnt(1)
	v_cvt_f32_f16_sdwa v11, v8 dst_sel:DWORD dst_unused:UNUSED_PAD src0_sel:WORD_1
	v_cvt_f32_f16_e32 v10, v8
	s_waitcnt lgkmcnt(0)
	v_cvt_f32_f16_sdwa v13, v1 dst_sel:DWORD dst_unused:UNUSED_PAD src0_sel:WORD_1
	v_cvt_f32_f16_e32 v12, v1
	v_ashrrev_i32_e32 v5, 31, v4
	v_mov_b32_e32 v7, s87
	v_pk_fma_f32 v[10:11], v[2:3], v[10:11], 0 op_sel_hi:[0,1,0]
	v_lshlrev_b64 v[4:5], 3, v[4:5]
	v_pk_fma_f32 v[10:11], v[6:7], v[12:13], v[10:11] op_sel_hi:[0,1,1]
	v_add_co_u32_e32 v4, vcc, s6, v4
	v_div_scale_f32 v1, s[10:11], v3, v3, v11
	v_addc_co_u32_e32 v5, vcc, v7, v5, vcc
	v_rcp_f32_e32 v7, v1
	v_fma_f32 v8, -v1, v7, 1.0
	v_fmac_f32_e32 v7, v8, v7
	v_div_scale_f32 v8, vcc, v11, v3, v11
	v_mul_f32_e32 v12, v8, v7
	v_fma_f32 v13, -v1, v12, v8
	v_fmac_f32_e32 v12, v13, v7
	v_fma_f32 v1, -v1, v12, v8
	v_div_fmas_f32 v1, v1, v7, v12
	v_div_fixup_f32 v11, v1, v3, v11
	v_div_scale_f32 v1, s[10:11], v3, v3, v10
	v_rcp_f32_e32 v7, v1
	v_fma_f32 v8, -v1, v7, 1.0
	v_fmac_f32_e32 v7, v8, v7
	v_div_scale_f32 v8, vcc, v10, v3, v10
	v_mul_f32_e32 v12, v8, v7
	v_fma_f32 v13, -v1, v12, v8
	v_fmac_f32_e32 v12, v13, v7
	v_fma_f32 v1, -v1, v12, v8
	v_div_fmas_f32 v1, v1, v7, v12
	v_div_fixup_f32 v10, v1, v3, v10
	v_accvgpr_read_b32 v1, a88
	ds_read_b32 v1, v1 offset:8448
	global_store_dwordx2 v[4:5], v[10:11], off
	v_cvt_f32_f16_sdwa v11, v9 dst_sel:DWORD dst_unused:UNUSED_PAD src0_sel:WORD_1
	v_cvt_f32_f16_e32 v10, v9
	v_pk_fma_f32 v[8:9], v[2:3], v[10:11], 0 op_sel_hi:[0,1,0]
	s_waitcnt lgkmcnt(0)
	v_cvt_f32_f16_sdwa v11, v1 dst_sel:DWORD dst_unused:UNUSED_PAD src0_sel:WORD_1
	v_cvt_f32_f16_e32 v10, v1
	v_pk_fma_f32 v[6:7], v[6:7], v[10:11], v[8:9] op_sel_hi:[0,1,1]
	v_div_scale_f32 v1, s[10:11], v3, v3, v7
	v_rcp_f32_e32 v2, v1
	v_fma_f32 v8, -v1, v2, 1.0
	v_fmac_f32_e32 v2, v8, v2
	v_div_scale_f32 v8, vcc, v7, v3, v7
	v_mul_f32_e32 v9, v8, v2
	v_fma_f32 v10, -v1, v9, v8
	v_fmac_f32_e32 v9, v10, v2
	v_fma_f32 v1, -v1, v9, v8
	v_div_fmas_f32 v1, v1, v2, v9
	v_div_fixup_f32 v7, v1, v3, v7
	v_div_scale_f32 v1, s[10:11], v3, v3, v6
	v_rcp_f32_e32 v2, v1
	v_fma_f32 v8, -v1, v2, 1.0
	v_fmac_f32_e32 v2, v8, v2
	v_div_scale_f32 v8, vcc, v6, v3, v6
	v_mul_f32_e32 v9, v8, v2
	v_fma_f32 v10, -v1, v9, v8
	v_fmac_f32_e32 v9, v10, v2
	v_fma_f32 v1, -v1, v9, v8
	v_div_fmas_f32 v1, v1, v2, v9
	v_div_fixup_f32 v6, v1, v3, v6
	v_mov_b32_e32 v1, 0
	global_store_dwordx2 v[4:5], v[6:7], off offset:512
.LBB29_270:                             ;   in Loop: Header=BB29_14 Depth=1
	s_or_b64 exec, exec, s[72:73]
	v_cmp_gt_i32_e32 vcc, s7, v1
	s_mov_b64 s[72:73], -1
	s_and_saveexec_b64 s[74:75], vcc
; %bb.271:                              ;   in Loop: Header=BB29_14 Depth=1
	v_cmp_eq_u32_e32 vcc, 0, v1
	s_orn2_b64 s[72:73], vcc, exec
; %bb.272:                              ;   in Loop: Header=BB29_14 Depth=1
	s_or_b64 exec, exec, s[74:75]
	s_and_b64 exec, exec, s[72:73]
	s_cbranch_execz .LBB29_12
; %bb.273:                              ;   in Loop: Header=BB29_14 Depth=1
	v_accvgpr_read_b32 v1, a89
	v_add_u32_e32 v1, s76, v1
	v_cmp_gt_i32_e32 vcc, s28, v1
	s_and_b64 s[8:9], vcc, s[8:9]
	s_and_b64 exec, exec, s[8:9]
	s_cbranch_execz .LBB29_12
; %bb.274:                              ;   in Loop: Header=BB29_14 Depth=1
	v_accvgpr_read_b32 v2, a90
	v_add_u32_e32 v6, 0, v2
	v_mad_u64_u32 v[4:5], s[8:9], v1, s29, v[144:145]
	v_accvgpr_read_b32 v1, a91
	ds_read2_b32 v[2:3], v6 offset0:128 offset1:129
	ds_read_b32 v6, v6 offset:8960
	ds_read2st64_b32 v[8:9], v1 offset1:1
	ds_read_b32 v1, v1 offset:8448
	v_lshl_add_u32 v4, v4, 7, v232
	v_ashrrev_i32_e32 v5, 31, v4
	v_mov_b32_e32 v7, s87
	s_waitcnt lgkmcnt(1)
	v_cvt_f32_f16_sdwa v11, v8 dst_sel:DWORD dst_unused:UNUSED_PAD src0_sel:WORD_1
	v_cvt_f32_f16_e32 v10, v8
	s_waitcnt lgkmcnt(0)
	v_cvt_f32_f16_sdwa v13, v1 dst_sel:DWORD dst_unused:UNUSED_PAD src0_sel:WORD_1
	v_cvt_f32_f16_e32 v12, v1
	v_lshlrev_b64 v[4:5], 3, v[4:5]
	v_pk_fma_f32 v[10:11], v[2:3], v[10:11], 0 op_sel_hi:[0,1,0]
	v_add_co_u32_e32 v4, vcc, s6, v4
	v_pk_fma_f32 v[10:11], v[6:7], v[12:13], v[10:11] op_sel_hi:[0,1,1]
	v_div_scale_f32 v1, s[6:7], v3, v3, v11
	v_addc_co_u32_e32 v5, vcc, v7, v5, vcc
	v_rcp_f32_e32 v7, v1
	v_fma_f32 v8, -v1, v7, 1.0
	v_fmac_f32_e32 v7, v8, v7
	v_div_scale_f32 v8, vcc, v11, v3, v11
	v_mul_f32_e32 v12, v8, v7
	v_fma_f32 v13, -v1, v12, v8
	v_fmac_f32_e32 v12, v13, v7
	v_fma_f32 v1, -v1, v12, v8
	v_div_fmas_f32 v1, v1, v7, v12
	v_div_fixup_f32 v11, v1, v3, v11
	v_div_scale_f32 v1, s[6:7], v3, v3, v10
	v_rcp_f32_e32 v7, v1
	v_fma_f32 v8, -v1, v7, 1.0
	v_fmac_f32_e32 v7, v8, v7
	v_div_scale_f32 v8, vcc, v10, v3, v10
	v_mul_f32_e32 v12, v8, v7
	v_fma_f32 v13, -v1, v12, v8
	v_fmac_f32_e32 v12, v13, v7
	v_fma_f32 v1, -v1, v12, v8
	v_div_fmas_f32 v1, v1, v7, v12
	v_div_fixup_f32 v10, v1, v3, v10
	v_accvgpr_read_b32 v1, a92
	ds_read_b32 v1, v1 offset:8448
	global_store_dwordx2 v[4:5], v[10:11], off
	v_cvt_f32_f16_sdwa v11, v9 dst_sel:DWORD dst_unused:UNUSED_PAD src0_sel:WORD_1
	v_cvt_f32_f16_e32 v10, v9
	v_pk_fma_f32 v[8:9], v[2:3], v[10:11], 0 op_sel_hi:[0,1,0]
	s_waitcnt lgkmcnt(0)
	v_cvt_f32_f16_sdwa v11, v1 dst_sel:DWORD dst_unused:UNUSED_PAD src0_sel:WORD_1
	v_cvt_f32_f16_e32 v10, v1
	v_pk_fma_f32 v[6:7], v[6:7], v[10:11], v[8:9] op_sel_hi:[0,1,1]
	v_div_scale_f32 v1, s[6:7], v3, v3, v7
	v_rcp_f32_e32 v2, v1
	v_fma_f32 v8, -v1, v2, 1.0
	v_fmac_f32_e32 v2, v8, v2
	v_div_scale_f32 v8, vcc, v7, v3, v7
	v_mul_f32_e32 v9, v8, v2
	v_fma_f32 v10, -v1, v9, v8
	v_fmac_f32_e32 v9, v10, v2
	v_fma_f32 v1, -v1, v9, v8
	v_div_fmas_f32 v1, v1, v2, v9
	v_div_fixup_f32 v7, v1, v3, v7
	v_div_scale_f32 v1, s[6:7], v3, v3, v6
	v_rcp_f32_e32 v2, v1
	v_fma_f32 v8, -v1, v2, 1.0
	v_fmac_f32_e32 v2, v8, v2
	v_div_scale_f32 v8, vcc, v6, v3, v6
	v_mul_f32_e32 v9, v8, v2
	v_fma_f32 v10, -v1, v9, v8
	v_fmac_f32_e32 v9, v10, v2
	v_fma_f32 v1, -v1, v9, v8
	v_div_fmas_f32 v1, v1, v2, v9
	v_div_fixup_f32 v6, v1, v3, v6
	global_store_dwordx2 v[4:5], v[6:7], off offset:512
	s_branch .LBB29_12
.LBB29_275:
	v_readlane_b32 s49, v255, 11
	v_readlane_b32 s35, v255, 6
	s_mov_b32 s60, s50
	v_readlane_b32 s10, v255, 12
	v_accvgpr_read_b32 v111, a7
	v_accvgpr_read_b32 v112, a8
	;; [unrolled: 1-line block ×10, first 2 shown]
	v_readlane_b32 s11, v255, 13
	s_andn2_b64 vcc, exec, s[8:9]
	s_cbranch_vccnz .LBB29_10
.LBB29_276:
	v_readlane_b32 s6, v255, 3
	s_abs_i32 s0, s6
	v_cvt_f32_u32_e32 v0, s0
	s_sub_i32 s3, 0, s0
	s_abs_i32 s2, s52
	s_xor_b32 s1, s52, s6
	v_rcp_iflag_f32_e32 v0, v0
	s_ashr_i32 s1, s1, 31
	v_readlane_b32 s8, v255, 2
	v_readlane_b32 s9, v255, 1
	v_mul_f32_e32 v0, 0x4f7ffffe, v0
	v_cvt_u32_f32_e32 v0, v0
	v_mov_b32_e32 v32, s80
	v_readfirstlane_b32 s4, v0
	s_mul_i32 s3, s3, s4
	s_mul_hi_u32 s3, s4, s3
	s_add_i32 s4, s4, s3
	s_mul_hi_u32 s3, s2, s4
	s_mul_i32 s4, s3, s0
	s_sub_i32 s2, s2, s4
	s_add_i32 s5, s3, 1
	s_sub_i32 s4, s2, s0
	s_cmp_ge_u32 s2, s0
	s_cselect_b32 s3, s5, s3
	s_cselect_b32 s2, s4, s2
	s_add_i32 s4, s3, 1
	s_cmp_ge_u32 s2, s0
	s_cselect_b32 s0, s4, s3
	s_abs_i32 s2, s8
	v_cvt_f32_u32_e32 v0, s2
	s_xor_b32 s0, s0, s1
	s_sub_i32 s4, s0, s1
	s_sub_i32 s3, 0, s2
	v_rcp_iflag_f32_e32 v0, v0
	s_mul_i32 s0, s4, s6
	s_sub_i32 s0, s52, s0
	s_abs_i32 s5, s0
	v_mul_f32_e32 v0, 0x4f7ffffe, v0
	v_cvt_u32_f32_e32 v0, v0
	s_xor_b32 s1, s0, s8
	s_ashr_i32 s1, s1, 31
	v_readfirstlane_b32 s6, v0
	s_mul_i32 s3, s3, s6
	s_mul_hi_u32 s3, s6, s3
	s_add_i32 s6, s6, s3
	s_mul_hi_u32 s3, s5, s6
	s_mul_i32 s6, s3, s2
	s_sub_i32 s5, s5, s6
	s_add_i32 s7, s3, 1
	s_sub_i32 s6, s5, s2
	s_cmp_ge_u32 s5, s2
	s_cselect_b32 s3, s7, s3
	s_cselect_b32 s5, s6, s5
	s_add_i32 s6, s3, 1
	s_cmp_ge_u32 s5, s2
	s_cselect_b32 s2, s6, s3
	s_abs_i32 s3, s9
	v_cvt_f32_u32_e32 v0, s3
	s_xor_b32 s2, s2, s1
	s_sub_i32 s6, 0, s3
	s_sub_i32 s5, s2, s1
	v_rcp_iflag_f32_e32 v0, v0
	s_mul_i32 s1, s5, s8
	s_sub_i32 s1, s0, s1
	s_abs_i32 s2, s1
	v_mul_f32_e32 v0, 0x4f7ffffe, v0
	v_cvt_u32_f32_e32 v0, v0
	s_xor_b32 s0, s1, s9
	s_ashr_i32 s0, s0, 31
	v_readfirstlane_b32 s7, v0
	s_mul_i32 s6, s6, s7
	s_mul_hi_u32 s6, s7, s6
	s_add_i32 s7, s7, s6
	s_mul_hi_u32 s6, s2, s7
	s_mul_i32 s7, s6, s3
	s_sub_i32 s2, s2, s7
	s_add_i32 s8, s6, 1
	s_sub_i32 s7, s2, s3
	s_cmp_ge_u32 s2, s3
	s_cselect_b32 s6, s8, s6
	s_cselect_b32 s2, s7, s2
	s_add_i32 s7, s6, 1
	s_cmp_ge_u32 s2, s3
	s_cselect_b32 s2, s7, s6
	s_xor_b32 s2, s2, s0
	s_sub_i32 s0, s2, s0
	s_mul_i32 s2, s0, s9
	s_sub_i32 s1, s1, s2
	s_ashr_i32 s2, s1, 31
	s_abs_i32 s1, s1
	s_mul_hi_u32 s3, s1, s48
	s_mul_i32 s6, s3, s57
	s_sub_i32 s1, s1, s6
	s_xor_b32 s2, s2, s38
	s_add_i32 s6, s3, 1
	s_sub_i32 s7, s1, s57
	s_cmp_ge_u32 s1, s57
	s_cselect_b32 s3, s6, s3
	s_cselect_b32 s1, s7, s1
	s_add_i32 s6, s3, 1
	s_cmp_ge_u32 s1, s57
	s_cselect_b32 s1, s6, s3
	s_abs_i32 s6, s10
	v_cvt_f32_u32_e32 v0, s6
	s_xor_b32 s1, s1, s2
	s_sub_i32 s1, s1, s2
	s_cmp_eq_u64 s[22:23], 0
	v_rcp_iflag_f32_e32 v0, v0
	v_mul_f32_e32 v0, 0x4f7ffffe, v0
	v_cvt_u32_f32_e32 v0, v0
	v_readfirstlane_b32 s9, v0
	s_cbranch_scc1 .LBB29_278
; %bb.277:
	v_readlane_b32 s2, v255, 0
	s_mul_i32 s2, s4, s2
	s_add_i32 s2, s1, s2
	s_ashr_i32 s3, s2, 31
	s_lshl_b64 s[2:3], s[2:3], 2
	s_add_u32 s2, s22, s2
	s_addc_u32 s3, s23, s3
	v_mov_b32_e32 v0, 0
	global_load_dword v0, v0, s[2:3]
	s_waitcnt vmcnt(0)
	v_ashrrev_i32_e32 v1, 31, v0
	v_lshrrev_b32_e32 v1, 26, v1
	v_add_u32_e32 v0, v0, v1
	v_ashrrev_i32_e32 v0, 6, v0
	v_min_i32_e32 v32, s80, v0
.LBB29_278:
	v_readlane_b32 s10, v255, 4
	v_readlane_b32 s11, v255, 5
	s_mul_i32 s2, s5, s78
	s_lshl_b32 s0, s0, 1
	s_mul_i32 s3, s4, s11
	s_add_i32 s2, s0, s2
	s_ashr_i32 s7, s3, 31
	s_add_u32 s3, s12, s3
	s_mul_i32 s2, s2, s10
	s_addc_u32 s8, s13, s7
	s_ashr_i32 s10, s2, 31
	s_add_u32 s7, s3, s2
	s_addc_u32 s8, s8, s10
	s_lshl_b32 s12, s1, 4
	v_or_b32_e32 v1, s0, v149
	v_add_u32_e32 v0, s12, v148
	v_cmp_gt_i32_e64 s[0:1], s78, v1
	v_cmp_le_i32_e32 vcc, s28, v0
	s_xor_b64 s[0:1], s[0:1], -1
	v_and_b32_e32 v71, 0x3ff, v4
	s_or_b64 s[2:3], vcc, s[0:1]
	s_and_saveexec_b64 s[10:11], s[2:3]
	s_xor_b64 s[2:3], exec, s[10:11]
	s_cbranch_execz .LBB29_280
; %bb.279:
	s_movk_i32 s10, 0x84
	v_mad_u32_u24 v0, v111, s10, v71
	v_lshl_add_u32 v0, v0, 2, 0
	v_mov_b32_e32 v1, 0
	ds_write2st64_b32 v0, v1, v1 offset1:1
                                        ; implicit-def: $vgpr0
.LBB29_280:
	s_andn2_saveexec_b64 s[2:3], s[2:3]
	s_cbranch_execz .LBB29_282
; %bb.281:
	v_mul_lo_u32 v0, v0, s33
	v_mul_lo_u32 v1, v149, s60
	v_add3_u32 v0, v0, v1, v71
	v_ashrrev_i32_e32 v1, 31, v0
	v_lshlrev_b64 v[0:1], 3, v[0:1]
	v_mov_b32_e32 v2, s8
	v_add_co_u32_e32 v0, vcc, s7, v0
	v_addc_co_u32_e32 v1, vcc, v2, v1, vcc
	global_load_dwordx2 v[2:3], v[0:1], off
	global_load_dwordx2 v[4:5], v[0:1], off offset:512
	s_movk_i32 s10, 0x84
	s_waitcnt vmcnt(1)
	v_cvt_f16_f32_e32 v0, v2
	v_cvt_f16_f32_e32 v1, v3
	s_waitcnt vmcnt(0)
	v_cvt_f16_f32_e32 v2, v4
	v_cvt_f16_f32_e32 v3, v5
	v_mad_u32_u24 v4, v111, s10, v71
	v_pack_b32_f16 v0, v0, v1
	v_lshl_add_u32 v4, v4, 2, 0
	v_pack_b32_f16 v1, v2, v3
	v_pk_mul_f16 v0, v231, v0
	v_pk_mul_f16 v1, v231, v1
	ds_write2st64_b32 v4, v0, v1 offset1:1
.LBB29_282:
	s_or_b64 exec, exec, s[2:3]
	v_lshrrev_b32_e32 v0, 1, v75
	v_add_u32_e32 v0, s12, v0
	v_cmp_le_i32_e32 vcc, s28, v0
	s_or_b64 s[2:3], vcc, s[0:1]
	s_and_saveexec_b64 s[10:11], s[2:3]
	s_xor_b64 s[2:3], exec, s[10:11]
	s_cbranch_execz .LBB29_284
; %bb.283:
	s_movk_i32 s10, 0x84
	v_mad_u32_u24 v0, v75, s10, v71
	v_lshl_add_u32 v0, v0, 2, 0
	v_mov_b32_e32 v1, 0
	ds_write2st64_b32 v0, v1, v1 offset1:1
                                        ; implicit-def: $vgpr0
                                        ; implicit-def: $vgpr75
.LBB29_284:
	s_andn2_saveexec_b64 s[2:3], s[2:3]
	s_cbranch_execz .LBB29_286
; %bb.285:
	v_mul_lo_u32 v0, v0, s33
	v_mul_lo_u32 v1, v149, s60
	v_add3_u32 v0, v0, v1, v71
	v_ashrrev_i32_e32 v1, 31, v0
	v_lshlrev_b64 v[0:1], 3, v[0:1]
	v_mov_b32_e32 v2, s8
	v_add_co_u32_e32 v0, vcc, s7, v0
	v_addc_co_u32_e32 v1, vcc, v2, v1, vcc
	global_load_dwordx2 v[2:3], v[0:1], off
	global_load_dwordx2 v[4:5], v[0:1], off offset:512
	s_movk_i32 s10, 0x84
	s_waitcnt vmcnt(1)
	v_cvt_f16_f32_e32 v0, v2
	v_cvt_f16_f32_e32 v1, v3
	s_waitcnt vmcnt(0)
	v_cvt_f16_f32_e32 v2, v4
	v_cvt_f16_f32_e32 v3, v5
	v_mad_u32_u24 v4, v75, s10, v71
	v_pack_b32_f16 v0, v0, v1
	v_lshl_add_u32 v4, v4, 2, 0
	v_pack_b32_f16 v1, v2, v3
	v_pk_mul_f16 v0, v231, v0
	v_pk_mul_f16 v1, v231, v1
	ds_write2st64_b32 v4, v0, v1 offset1:1
.LBB29_286:
	s_or_b64 exec, exec, s[2:3]
	v_lshrrev_b32_e32 v0, 1, v74
	v_add_u32_e32 v0, s12, v0
	v_cmp_le_i32_e32 vcc, s28, v0
	s_or_b64 s[2:3], vcc, s[0:1]
	s_and_saveexec_b64 s[10:11], s[2:3]
	s_xor_b64 s[2:3], exec, s[10:11]
	s_cbranch_execz .LBB29_288
; %bb.287:
	s_movk_i32 s10, 0x84
	v_mad_u32_u24 v0, v74, s10, v71
	v_lshl_add_u32 v0, v0, 2, 0
	v_mov_b32_e32 v1, 0
	ds_write2st64_b32 v0, v1, v1 offset1:1
                                        ; implicit-def: $vgpr0
                                        ; implicit-def: $vgpr74
.LBB29_288:
	s_andn2_saveexec_b64 s[2:3], s[2:3]
	s_cbranch_execz .LBB29_290
; %bb.289:
	v_mul_lo_u32 v0, v0, s33
	v_mul_lo_u32 v1, v149, s60
	v_add3_u32 v0, v0, v1, v71
	v_ashrrev_i32_e32 v1, 31, v0
	v_lshlrev_b64 v[0:1], 3, v[0:1]
	v_mov_b32_e32 v2, s8
	v_add_co_u32_e32 v0, vcc, s7, v0
	v_addc_co_u32_e32 v1, vcc, v2, v1, vcc
	global_load_dwordx2 v[2:3], v[0:1], off
	global_load_dwordx2 v[4:5], v[0:1], off offset:512
	s_movk_i32 s10, 0x84
	s_waitcnt vmcnt(1)
	v_cvt_f16_f32_e32 v0, v2
	v_cvt_f16_f32_e32 v1, v3
	s_waitcnt vmcnt(0)
	v_cvt_f16_f32_e32 v2, v4
	v_cvt_f16_f32_e32 v3, v5
	v_mad_u32_u24 v4, v74, s10, v71
	v_pack_b32_f16 v0, v0, v1
	v_lshl_add_u32 v4, v4, 2, 0
	v_pack_b32_f16 v1, v2, v3
	v_pk_mul_f16 v0, v231, v0
	v_pk_mul_f16 v1, v231, v1
	ds_write2st64_b32 v4, v0, v1 offset1:1
.LBB29_290:
	s_or_b64 exec, exec, s[2:3]
	v_lshrrev_b32_e32 v0, 1, v73
	v_add_u32_e32 v0, s12, v0
	v_cmp_le_i32_e32 vcc, s28, v0
	s_or_b64 s[2:3], vcc, s[0:1]
	s_and_saveexec_b64 s[10:11], s[2:3]
	s_xor_b64 s[2:3], exec, s[10:11]
	s_cbranch_execz .LBB29_292
; %bb.291:
	s_movk_i32 s10, 0x84
	v_mad_u32_u24 v0, v73, s10, v71
	v_lshl_add_u32 v0, v0, 2, 0
	v_mov_b32_e32 v1, 0
	ds_write2st64_b32 v0, v1, v1 offset1:1
                                        ; implicit-def: $vgpr0
                                        ; implicit-def: $vgpr73
.LBB29_292:
	s_andn2_saveexec_b64 s[2:3], s[2:3]
	s_cbranch_execz .LBB29_294
; %bb.293:
	v_mul_lo_u32 v0, v0, s33
	v_mul_lo_u32 v1, v149, s60
	v_add3_u32 v0, v0, v1, v71
	v_ashrrev_i32_e32 v1, 31, v0
	v_lshlrev_b64 v[0:1], 3, v[0:1]
	v_mov_b32_e32 v2, s8
	v_add_co_u32_e32 v0, vcc, s7, v0
	v_addc_co_u32_e32 v1, vcc, v2, v1, vcc
	global_load_dwordx2 v[2:3], v[0:1], off
	global_load_dwordx2 v[4:5], v[0:1], off offset:512
	s_movk_i32 s10, 0x84
	s_waitcnt vmcnt(1)
	v_cvt_f16_f32_e32 v0, v2
	v_cvt_f16_f32_e32 v1, v3
	s_waitcnt vmcnt(0)
	v_cvt_f16_f32_e32 v2, v4
	v_cvt_f16_f32_e32 v3, v5
	v_mad_u32_u24 v4, v73, s10, v71
	v_pack_b32_f16 v0, v0, v1
	v_lshl_add_u32 v4, v4, 2, 0
	v_pack_b32_f16 v1, v2, v3
	v_pk_mul_f16 v0, v231, v0
	v_pk_mul_f16 v1, v231, v1
	ds_write2st64_b32 v4, v0, v1 offset1:1
.LBB29_294:
	s_or_b64 exec, exec, s[2:3]
	v_lshrrev_b32_e32 v0, 1, v72
	v_add_u32_e32 v0, s12, v0
	v_cmp_le_i32_e32 vcc, s28, v0
	s_or_b64 s[2:3], vcc, s[0:1]
	s_and_saveexec_b64 s[10:11], s[2:3]
	s_xor_b64 s[2:3], exec, s[10:11]
	s_cbranch_execz .LBB29_296
; %bb.295:
	s_movk_i32 s10, 0x84
	v_mad_u32_u24 v0, v72, s10, v71
	v_lshl_add_u32 v0, v0, 2, 0
	v_mov_b32_e32 v1, 0
	ds_write2st64_b32 v0, v1, v1 offset1:1
                                        ; implicit-def: $vgpr0
                                        ; implicit-def: $vgpr72
.LBB29_296:
	s_andn2_saveexec_b64 s[2:3], s[2:3]
	s_cbranch_execz .LBB29_298
; %bb.297:
	v_mul_lo_u32 v0, v0, s33
	v_mul_lo_u32 v1, v149, s60
	v_add3_u32 v0, v0, v1, v71
	v_ashrrev_i32_e32 v1, 31, v0
	v_lshlrev_b64 v[0:1], 3, v[0:1]
	v_mov_b32_e32 v2, s8
	v_add_co_u32_e32 v0, vcc, s7, v0
	v_addc_co_u32_e32 v1, vcc, v2, v1, vcc
	global_load_dwordx2 v[2:3], v[0:1], off
	global_load_dwordx2 v[4:5], v[0:1], off offset:512
	s_movk_i32 s10, 0x84
	s_waitcnt vmcnt(1)
	v_cvt_f16_f32_e32 v0, v2
	v_cvt_f16_f32_e32 v1, v3
	s_waitcnt vmcnt(0)
	v_cvt_f16_f32_e32 v2, v4
	v_cvt_f16_f32_e32 v3, v5
	v_mad_u32_u24 v4, v72, s10, v71
	v_pack_b32_f16 v0, v0, v1
	v_lshl_add_u32 v4, v4, 2, 0
	v_pack_b32_f16 v1, v2, v3
	v_pk_mul_f16 v0, v231, v0
	v_pk_mul_f16 v1, v231, v1
	ds_write2st64_b32 v4, v0, v1 offset1:1
.LBB29_298:
	s_or_b64 exec, exec, s[2:3]
	v_lshrrev_b32_e32 v0, 1, v70
	v_add_u32_e32 v0, s12, v0
	v_cmp_le_i32_e32 vcc, s28, v0
	s_sub_i32 s10, 0, s6
	s_or_b64 s[2:3], vcc, s[0:1]
	s_and_saveexec_b64 s[20:21], s[2:3]
	s_xor_b64 s[2:3], exec, s[20:21]
	s_cbranch_execz .LBB29_300
; %bb.299:
	s_movk_i32 s11, 0x84
	v_mad_u32_u24 v0, v70, s11, v71
	v_lshl_add_u32 v0, v0, 2, 0
	v_mov_b32_e32 v1, 0
	ds_write2st64_b32 v0, v1, v1 offset1:1
                                        ; implicit-def: $vgpr0
                                        ; implicit-def: $vgpr70
.LBB29_300:
	s_or_saveexec_b64 s[2:3], s[2:3]
	s_mul_i32 s10, s10, s9
	s_xor_b64 exec, exec, s[2:3]
	s_cbranch_execz .LBB29_302
; %bb.301:
	v_mul_lo_u32 v0, v0, s33
	v_mul_lo_u32 v1, v149, s60
	v_add3_u32 v0, v0, v1, v71
	v_ashrrev_i32_e32 v1, 31, v0
	v_lshlrev_b64 v[0:1], 3, v[0:1]
	v_mov_b32_e32 v2, s8
	v_add_co_u32_e32 v0, vcc, s7, v0
	v_addc_co_u32_e32 v1, vcc, v2, v1, vcc
	global_load_dwordx2 v[2:3], v[0:1], off
	global_load_dwordx2 v[4:5], v[0:1], off offset:512
	s_movk_i32 s11, 0x84
	s_waitcnt vmcnt(1)
	v_cvt_f16_f32_e32 v0, v2
	v_cvt_f16_f32_e32 v1, v3
	s_waitcnt vmcnt(0)
	v_cvt_f16_f32_e32 v2, v4
	v_cvt_f16_f32_e32 v3, v5
	v_mad_u32_u24 v4, v70, s11, v71
	v_pack_b32_f16 v0, v0, v1
	v_lshl_add_u32 v4, v4, 2, 0
	v_pack_b32_f16 v1, v2, v3
	v_pk_mul_f16 v0, v231, v0
	v_pk_mul_f16 v1, v231, v1
	ds_write2st64_b32 v4, v0, v1 offset1:1
.LBB29_302:
	s_or_b64 exec, exec, s[2:3]
	v_lshrrev_b32_e32 v0, 1, v69
	v_add_u32_e32 v0, s12, v0
	v_cmp_le_i32_e32 vcc, s28, v0
	s_mul_hi_u32 s11, s9, s10
	s_or_b64 s[2:3], vcc, s[0:1]
	s_and_saveexec_b64 s[20:21], s[2:3]
	s_xor_b64 s[2:3], exec, s[20:21]
	s_cbranch_execz .LBB29_304
; %bb.303:
	s_movk_i32 s10, 0x84
	v_mad_u32_u24 v0, v69, s10, v71
	v_lshl_add_u32 v0, v0, 2, 0
	v_mov_b32_e32 v1, 0
	ds_write2st64_b32 v0, v1, v1 offset1:1
                                        ; implicit-def: $vgpr0
                                        ; implicit-def: $vgpr69
.LBB29_304:
	s_or_saveexec_b64 s[2:3], s[2:3]
	s_abs_i32 s10, s4
	s_add_i32 s9, s9, s11
	s_xor_b64 exec, exec, s[2:3]
	s_cbranch_execz .LBB29_306
; %bb.305:
	v_mul_lo_u32 v0, v0, s33
	v_mul_lo_u32 v1, v149, s60
	v_add3_u32 v0, v0, v1, v71
	v_ashrrev_i32_e32 v1, 31, v0
	v_lshlrev_b64 v[0:1], 3, v[0:1]
	v_mov_b32_e32 v2, s8
	v_add_co_u32_e32 v0, vcc, s7, v0
	v_addc_co_u32_e32 v1, vcc, v2, v1, vcc
	global_load_dwordx2 v[2:3], v[0:1], off
	global_load_dwordx2 v[4:5], v[0:1], off offset:512
	s_movk_i32 s11, 0x84
	s_waitcnt vmcnt(1)
	v_cvt_f16_f32_e32 v0, v2
	v_cvt_f16_f32_e32 v1, v3
	s_waitcnt vmcnt(0)
	v_cvt_f16_f32_e32 v2, v4
	v_cvt_f16_f32_e32 v3, v5
	v_mad_u32_u24 v4, v69, s11, v71
	v_pack_b32_f16 v0, v0, v1
	v_lshl_add_u32 v4, v4, 2, 0
	v_pack_b32_f16 v1, v2, v3
	v_pk_mul_f16 v0, v231, v0
	v_pk_mul_f16 v1, v231, v1
	ds_write2st64_b32 v4, v0, v1 offset1:1
.LBB29_306:
	s_or_b64 exec, exec, s[2:3]
	v_lshrrev_b32_e32 v0, 1, v68
	v_add_u32_e32 v0, s12, v0
	v_cmp_le_i32_e32 vcc, s28, v0
	s_mul_hi_u32 s2, s10, s9
	s_or_b64 s[0:1], vcc, s[0:1]
	s_and_saveexec_b64 s[20:21], s[0:1]
	s_xor_b64 s[0:1], exec, s[20:21]
	s_cbranch_execz .LBB29_308
; %bb.307:
	s_movk_i32 s3, 0x84
	v_mad_u32_u24 v0, v68, s3, v71
	v_lshl_add_u32 v0, v0, 2, 0
	v_mov_b32_e32 v1, 0
	ds_write2st64_b32 v0, v1, v1 offset1:1
                                        ; implicit-def: $vgpr0
                                        ; implicit-def: $vgpr231
                                        ; implicit-def: $vgpr68
.LBB29_308:
	s_or_saveexec_b64 s[0:1], s[0:1]
	s_ashr_i32 s3, s4, 31
	s_xor_b64 exec, exec, s[0:1]
	s_cbranch_execz .LBB29_310
; %bb.309:
	v_mul_lo_u32 v0, v0, s33
	v_mul_lo_u32 v1, v149, s60
	v_add3_u32 v0, v0, v1, v71
	v_ashrrev_i32_e32 v1, 31, v0
	v_lshlrev_b64 v[0:1], 3, v[0:1]
	v_mov_b32_e32 v2, s8
	v_add_co_u32_e32 v0, vcc, s7, v0
	v_addc_co_u32_e32 v1, vcc, v2, v1, vcc
	global_load_dwordx2 v[2:3], v[0:1], off
	global_load_dwordx2 v[4:5], v[0:1], off offset:512
	s_movk_i32 s7, 0x84
	s_waitcnt vmcnt(1)
	v_cvt_f16_f32_e32 v0, v2
	v_cvt_f16_f32_e32 v1, v3
	s_waitcnt vmcnt(0)
	v_cvt_f16_f32_e32 v2, v4
	v_cvt_f16_f32_e32 v3, v5
	v_mad_u32_u24 v4, v68, s7, v71
	v_pack_b32_f16 v0, v0, v1
	v_lshl_add_u32 v4, v4, 2, 0
	v_pack_b32_f16 v1, v2, v3
	v_pk_mul_f16 v0, v231, v0
	v_pk_mul_f16 v1, v231, v1
	ds_write2st64_b32 v4, v0, v1 offset1:1
.LBB29_310:
	s_or_b64 exec, exec, s[0:1]
	s_mul_i32 s0, s4, s37
	s_mul_hi_u32 s1, s4, s36
	s_add_i32 s0, s1, s0
	s_mul_i32 s1, s3, s36
	s_add_i32 s0, s0, s1
	s_mul_i32 s1, s4, s36
	s_add_u32 s1, s14, s1
	s_mul_i32 s7, s5, s51
	s_addc_u32 s0, s15, s0
	s_ashr_i32 s9, s7, 31
	s_add_u32 s8, s1, s7
	s_mul_i32 s2, s2, s6
	s_addc_u32 s9, s0, s9
	s_sub_i32 s0, s10, s2
	s_sub_i32 s1, s0, s6
	s_cmp_ge_u32 s0, s6
	s_cselect_b32 s0, s1, s0
	s_sub_i32 s1, s0, s6
	s_cmp_ge_u32 s0, s6
	s_cselect_b32 s0, s1, s0
	s_xor_b32 s0, s0, s3
	s_sub_i32 s0, s0, s3
	s_ashr_i32 s1, s0, 31
	s_mul_i32 s2, s0, s47
	s_mul_hi_u32 s6, s0, s46
	s_add_i32 s2, s6, s2
	s_mul_i32 s1, s1, s46
	s_add_i32 s2, s2, s1
	s_mul_i32 s0, s0, s46
	s_add_u32 s10, s18, s0
	s_mul_i32 s0, s4, s45
	s_mul_hi_u32 s1, s4, s44
	s_addc_u32 s11, s19, s2
	s_add_i32 s0, s1, s0
	s_mul_i32 s3, s3, s44
	s_add_i32 s0, s0, s3
	s_mul_i32 s4, s4, s44
	s_add_u32 s1, s16, s4
	s_mul_i32 s5, s5, s39
	s_addc_u32 s0, s17, s0
	s_ashr_i32 s2, s5, 31
	s_add_u32 s6, s1, s5
	v_lshrrev_b32_e32 v1, 3, v71
	s_addc_u32 s7, s0, s2
	v_and_b32_e32 v74, 0x1ff0, v112
	s_movk_i32 s0, 0x210
	v_and_b32_e32 v116, 15, v71
	v_and_b32_e32 v146, 0x7e, v1
	v_mad_u32_u24 v0, v74, s0, 0
	v_mul_u32_u24_e32 v101, 0x210, v116
	v_lshlrev_b32_e32 v103, 2, v146
	v_add3_u32 v0, v0, v101, v103
	s_waitcnt lgkmcnt(0)
	s_barrier
	ds_read2_b64 v[28:31], v0 offset1:4
	ds_read2_b64 v[24:27], v0 offset0:8 offset1:12
	ds_read2_b64 v[20:23], v0 offset0:16 offset1:20
	;; [unrolled: 1-line block ×7, first 2 shown]
	v_add_u32_e32 v128, -1, v32
	v_cmp_lt_i32_e32 vcc, s74, v128
	v_lshlrev_b32_e32 v32, 1, v71
	s_mov_b32 s13, 0
	v_and_b32_e32 v72, 62, v32
	v_mov_b32_e32 v49, 0
	s_waitcnt lgkmcnt(0)
	s_barrier
	s_cbranch_vccnz .LBB29_313
; %bb.311:
	v_lshrrev_b32_e32 v32, 5, v71
	v_lshl_add_u32 v32, v111, 1, v32
	v_add_u32_e32 v33, s12, v32
	v_mul_hi_u32 v34, s40, v33
	v_add_u32_e32 v34, v33, v34
	v_lshrrev_b32_e32 v34, s41, v34
	v_mul_lo_u32 v34, v34, s28
	v_sub_u32_e32 v34, v33, v34
	v_add_u32_e32 v33, 8, v33
	v_mad_i64_i32 v[50:51], s[2:3], v34, s42, 0
	v_mul_hi_u32 v34, s40, v33
	v_add_u32_e32 v34, v33, v34
	v_lshrrev_b32_e32 v34, s41, v34
	v_mul_lo_u32 v34, v34, s28
	v_sub_u32_e32 v33, v33, v34
	v_mad_i64_i32 v[52:53], s[2:3], v33, s42, 0
	v_lshlrev_b32_e32 v33, 2, v71
	v_and_b32_e32 v48, 0x7c, v33
	v_mov_b32_e32 v33, 0x1080
	v_mad_u32_u24 v106, v32, s0, v33
	v_mov_b32_e32 v33, 0x2100
	v_mad_u32_u24 v107, v32, s0, v33
	;; [unrolled: 2-line block ×5, first 2 shown]
	v_mov_b32_e32 v33, 0x7380
	v_lshlrev_b32_e32 v94, 4, v111
	v_lshrrev_b32_e32 v73, 2, v71
	s_movk_i32 s1, 0x90
	v_mov_b32_e32 v34, 0x480
	v_mad_u32_u24 v125, v32, s0, v33
	v_and_b32_e32 v33, 16, v94
	v_and_b32_e32 v75, 0xfc, v73
	v_mad_u32_u24 v104, v32, s1, v34
	v_mov_b32_e32 v70, 0x4200
	v_mul_u32_u24_e32 v127, 0x210, v33
	v_add_u32_e32 v34, v75, v33
	v_add_u16_e32 v33, v75, v33
	v_mul_u32_u24_e32 v105, 0x90, v32
	v_mul_u32_u24_e32 v98, 0x210, v32
	v_mul_lo_u32 v54, s34, v32
	s_lshl_b32 s1, s34, 3
	v_mad_u32_u24 v110, v32, s0, v70
	v_lshrrev_b16_e32 v121, 1, v33
	v_add_u32_e32 v33, 32, v34
	v_mul_lo_u32 v32, s30, v32
	s_lshl_b32 s0, s30, 3
	v_add_u32_e32 v56, s1, v54
	v_lshrrev_b32_e32 v123, 1, v33
	v_add_u32_e32 v33, 34, v34
	v_add_u32_e32 v34, s0, v32
	;; [unrolled: 1-line block ×9, first 2 shown]
	v_lshrrev_b32_e32 v126, 1, v33
	v_mbcnt_lo_u32_b32 v33, -1, 0
	v_add_u32_e32 v42, s0, v40
	v_add_u32_e32 v66, s1, v64
	v_and_or_b32 v35, v71, 14, v74
	v_mbcnt_hi_u32_b32 v114, -1, v33
	v_add_u32_e32 v44, s0, v42
	v_mul_u32_u24_e32 v77, 0x108, v75
	v_add_u32_e32 v68, s1, v66
	v_lshrrev_b32_e32 v35, 1, v35
	v_and_b32_e32 v33, 64, v114
	v_add_u32_e32 v46, s0, v44
	v_and_b32_e32 v76, 8, v112
	v_or_b32_e32 v100, v77, v116
	v_or_b32_e32 v73, 3, v73
	s_movk_i32 s0, 0x420
	s_ashr_i32 s3, s34, 31
	v_ashrrev_i32_e32 v55, 31, v54
	v_ashrrev_i32_e32 v57, 31, v56
	;; [unrolled: 1-line block ×8, first 2 shown]
	v_mul_u32_u24_e32 v120, 0x90, v35
	v_or_b32_e32 v122, 1, v121
	v_add_u32_e32 v115, 64, v33
	v_xor_b32_e32 v124, 32, v114
	v_xor_b32_e32 v117, 16, v114
	s_ashr_i32 s1, s30, 31
	v_ashrrev_i32_e32 v33, 31, v32
	v_ashrrev_i32_e32 v35, 31, v34
	;; [unrolled: 1-line block ×8, first 2 shown]
	v_mul_u32_u24_e32 v96, 0x210, v75
	v_add_u32_e32 v93, 0x210, v100
	v_mul_u32_u24_e32 v97, 0x210, v73
	v_mul_u32_u24_e32 v102, 0x420, v76
	v_mad_u32_u24 v92, v76, s0, v70
	s_mov_b64 s[4:5], 0
	s_mov_b32 s14, 0xfeffffff
	s_branch .LBB29_314
.LBB29_312:
                                        ; implicit-def: $sgpr56_sgpr57
	s_load_dwordx2 s[40:41], s[4:5], 0x5c
	s_branch .LBB29_7
.LBB29_313:
	s_mov_b64 s[4:5], -1
                                        ; implicit-def: $sgpr13
                                        ; implicit-def: $sgpr14
                                        ; implicit-def: $vgpr105
                                        ; implicit-def: $vgpr50_vgpr51
                                        ; implicit-def: $vgpr104
                                        ; implicit-def: $vgpr52_vgpr53
                                        ; implicit-def: $vgpr98
                                        ; implicit-def: $vgpr48
                                        ; implicit-def: $vgpr54_vgpr55
                                        ; implicit-def: $vgpr106
                                        ; implicit-def: $vgpr56_vgpr57
                                        ; implicit-def: $vgpr107
                                        ; implicit-def: $vgpr58_vgpr59
                                        ; implicit-def: $vgpr108
                                        ; implicit-def: $vgpr60_vgpr61
                                        ; implicit-def: $vgpr110
                                        ; implicit-def: $vgpr62_vgpr63
                                        ; implicit-def: $vgpr118
                                        ; implicit-def: $vgpr64_vgpr65
                                        ; implicit-def: $vgpr119
                                        ; implicit-def: $vgpr66_vgpr67
                                        ; implicit-def: $vgpr125
                                        ; implicit-def: $vgpr68_vgpr69
                                        ; implicit-def: $vgpr94
                                        ; implicit-def: $vgpr127
                                        ; implicit-def: $vgpr120
                                        ; implicit-def: $vgpr121
                                        ; implicit-def: $vgpr122
                                        ; implicit-def: $vgpr123
                                        ; implicit-def: $vgpr126
                                        ; implicit-def: $vgpr114
                                        ; implicit-def: $vgpr115
                                        ; implicit-def: $vgpr124
                                        ; implicit-def: $vgpr117
                                        ; implicit-def: $vgpr32_vgpr33
                                        ; implicit-def: $vgpr34_vgpr35
                                        ; implicit-def: $vgpr36_vgpr37
                                        ; implicit-def: $vgpr38_vgpr39
                                        ; implicit-def: $vgpr40_vgpr41
                                        ; implicit-def: $vgpr42_vgpr43
                                        ; implicit-def: $vgpr44_vgpr45
                                        ; implicit-def: $vgpr46_vgpr47
                                        ; implicit-def: $vgpr100
                                        ; implicit-def: $vgpr96
                                        ; implicit-def: $vgpr93
                                        ; implicit-def: $vgpr97
                                        ; implicit-def: $vgpr102
                                        ; implicit-def: $vgpr92
                                        ; implicit-def: $sgpr2_sgpr3
                                        ; implicit-def: $sgpr0_sgpr1
.LBB29_314:
	s_andn2_b64 vcc, exec, s[4:5]
	v_mov_b32_e32 v80, s13
	v_mov_b32_e32 v99, s13
	;; [unrolled: 1-line block ×3, first 2 shown]
	v_lshlrev_b32_e32 v129, 1, v72
	v_lshlrev_b32_e32 v95, 1, v116
	v_mov_b32_e32 v82, s13
	v_mov_b32_e32 v76, s13
	;; [unrolled: 1-line block ×31, first 2 shown]
	s_cbranch_vccnz .LBB29_318
; %bb.315:
	v_mov_b32_e32 v32, s11
	v_add_co_u32_e32 v130, vcc, s10, v129
	v_addc_co_u32_e32 v131, vcc, 0, v32, vcc
	v_lshrrev_b32_e32 v32, 5, v71
	v_lshl_add_u32 v32, v111, 1, v32
	v_add_u32_e32 v33, s12, v32
	v_mul_hi_u32 v34, s40, v33
	v_add_u32_e32 v34, v33, v34
	v_lshrrev_b32_e32 v34, s41, v34
	v_mul_lo_u32 v34, v34, s28
	v_sub_u32_e32 v34, v33, v34
	v_add_u32_e32 v33, 8, v33
	v_mad_i64_i32 v[50:51], s[0:1], v34, s42, 0
	v_mul_hi_u32 v34, s40, v33
	v_add_u32_e32 v34, v33, v34
	v_lshrrev_b32_e32 v34, s41, v34
	v_mul_lo_u32 v34, v34, s28
	v_sub_u32_e32 v33, v33, v34
	v_mad_i64_i32 v[52:53], s[0:1], v33, s42, 0
	v_lshlrev_b32_e32 v33, 2, v71
	v_and_b32_e32 v48, 0x7c, v33
	v_mul_u32_u24_e32 v98, 0x210, v32
	v_lshlrev_b32_e32 v33, 2, v48
	s_movk_i32 s0, 0x210
	v_add3_u32 v132, 0, v98, v33
	v_mov_b32_e32 v33, 0x1080
	v_mad_u32_u24 v33, v32, s0, v33
	v_accvgpr_write_b32 a17, v33
	v_mov_b32_e32 v33, 0x2100
	v_mad_u32_u24 v33, v32, s0, v33
	v_accvgpr_write_b32 a18, v33
	v_mov_b32_e32 v33, 0x3180
	v_mad_u32_u24 v33, v32, s0, v33
	v_mov_b32_e32 v70, 0x4200
	v_accvgpr_write_b32 a19, v33
	v_mad_u32_u24 v33, v32, s0, v70
	v_accvgpr_write_b32 a20, v33
	v_mov_b32_e32 v33, 0x5280
	v_mad_u32_u24 v118, v32, s0, v33
	v_mov_b32_e32 v33, 0x6300
	s_movk_i32 s4, 0x90
	v_mov_b32_e32 v34, 0x480
	v_mad_u32_u24 v119, v32, s0, v33
	v_mov_b32_e32 v33, 0x7380
	v_lshlrev_b32_e32 v94, 4, v111
	v_lshrrev_b32_e32 v75, 2, v71
	v_mad_u32_u24 v34, v32, s4, v34
	v_mad_u32_u24 v125, v32, s0, v33
	v_and_b32_e32 v33, 16, v94
	v_and_b32_e32 v76, 0xfc, v75
	v_and_or_b32 v35, v71, 14, v74
	v_accvgpr_write_b32 a16, v34
	v_mul_u32_u24_e32 v127, 0x210, v33
	v_add_u32_e32 v34, v76, v33
	v_lshrrev_b32_e32 v35, 1, v35
	v_add_u16_e32 v33, v76, v33
	v_mul_u32_u24_e32 v105, 0x90, v32
	v_mul_lo_u32 v54, s34, v32
	v_mul_u32_u24_e32 v120, 0x90, v35
	v_mad_u32_u24 v35, v35, s4, 0
	v_lshrrev_b16_e32 v121, 1, v33
	v_add_u32_e32 v33, 32, v34
	v_mul_lo_u32 v32, s30, v32
	s_lshl_b32 s4, s30, 3
	v_lshrrev_b32_e32 v123, 1, v33
	v_lshl_add_u32 v140, v33, 1, v35
	v_add_u32_e32 v33, 34, v34
	v_add_u32_e32 v34, s4, v32
	;; [unrolled: 1-line block ×7, first 2 shown]
	v_mul_u32_u24_e32 v78, 0x108, v76
	v_add_u32_e32 v46, s4, v44
	v_and_b32_e32 v77, 8, v112
	v_or_b32_e32 v100, v78, v116
	s_movk_i32 s4, 0x420
	v_add_u32_e32 v78, 0x210, v100
	v_or_b32_e32 v75, 3, v75
	v_mul_u32_u24_e32 v102, 0x420, v77
	v_mad_u32_u24 v70, v77, s4, v70
	v_mul_u32_u24_e32 v96, 0x210, v76
	v_accvgpr_write_b32 a13, v78
	v_mul_u32_u24_e32 v97, 0x210, v75
	v_mad_u32_u24 v75, v77, s4, 0
	v_lshlrev_b32_e32 v78, 1, v100
	v_accvgpr_write_b32 a12, v70
	v_add3_u32 v70, 0, 32, v102
	v_accvgpr_write_b32 a11, v146
	s_movk_i32 s2, 0x4200
	v_add_u32_e32 v144, v75, v78
	v_add3_u32 v145, v75, v96, v95
	v_add3_u32 v146, v75, v97, v95
	v_add_u32_e32 v149, v70, v78
	v_mad_u32_u24 v75, v76, s0, v70
	v_add3_u32 v152, v70, v97, v95
	v_add3_u32 v70, 0, 64, v102
	s_add_i32 s5, 0, 0x60
	v_add3_u32 v150, v75, v95, s2
	v_add_u32_e32 v154, v70, v78
	v_mad_u32_u24 v75, v76, s0, v70
	v_add3_u32 v157, v70, v97, v95
	v_mov_b32_e32 v70, s5
	v_mad_u32_u24 v70, v77, s4, v70
	s_add_i32 s5, 0, 0x80
	v_add3_u32 v155, v75, v95, s2
	v_add_u32_e32 v159, v70, v78
	v_mad_u32_u24 v75, v76, s0, v70
	v_add3_u32 v162, v70, v97, v95
	v_mov_b32_e32 v70, s5
	v_mad_u32_u24 v70, v77, s4, v70
	;; [unrolled: 7-line block ×9, first 2 shown]
	s_add_i32 s5, 0, 0x180
	v_add3_u32 v195, v75, v95, s2
	v_add_u32_e32 v199, v70, v78
	v_mad_u32_u24 v75, v76, s0, v70
	v_add3_u32 v202, v70, v97, v95
	v_mov_b32_e32 v70, s5
	s_lshl_b32 s1, s34, 3
	v_mad_u32_u24 v70, v77, s4, v70
	s_add_i32 s5, 0, 0x1a0
	v_add_u32_e32 v56, s1, v54
	v_lshrrev_b32_e32 v126, 1, v33
	v_lshl_add_u32 v141, v33, 1, v35
	v_mbcnt_lo_u32_b32 v33, -1, 0
	v_add3_u32 v200, v75, v95, s2
	v_add_u32_e32 v204, v70, v78
	v_mad_u32_u24 v75, v76, s0, v70
	v_add3_u32 v207, v70, v97, v95
	v_mov_b32_e32 v70, s5
	v_add_u32_e32 v58, s1, v56
	v_mbcnt_hi_u32_b32 v114, -1, v33
	v_mad_u32_u24 v70, v77, s4, v70
	s_add_i32 s5, 0, 0x1c0
	v_add_u32_e32 v60, s1, v58
	v_and_b32_e32 v33, 64, v114
	v_add3_u32 v205, v75, v95, s2
	v_add_u32_e32 v209, v70, v78
	v_mad_u32_u24 v75, v76, s0, v70
	v_add3_u32 v212, v70, v97, v95
	v_mov_b32_e32 v70, s5
	v_add_u32_e32 v62, s1, v60
	v_add_u32_e32 v115, 64, v33
	v_xor_b32_e32 v124, 32, v114
	v_mad_u32_u24 v70, v77, s4, v70
	s_add_i32 s5, 0, 0x1e0
	v_add_u32_e32 v64, s1, v62
	v_cmp_lt_i32_e32 vcc, v124, v115
	v_xor_b32_e32 v117, 16, v114
	v_add3_u32 v210, v75, v95, s2
	v_add_u32_e32 v214, v70, v78
	v_mad_u32_u24 v75, v76, s0, v70
	v_add3_u32 v217, v70, v97, v95
	v_mov_b32_e32 v70, s5
	v_add_u32_e32 v66, s1, v64
	v_cndmask_b32_e32 v33, v114, v124, vcc
	v_cmp_lt_i32_e32 vcc, v117, v115
	v_mad_u32_u24 v70, v77, s4, v70
	v_add_u32_e32 v72, 0, v129
	v_mov_b32_e32 v49, 0
	v_add_u32_e32 v68, s1, v66
	v_add3_u32 v73, 0, v101, v103
	v_lshl_add_u32 v74, v121, 2, v35
	v_lshlrev_b32_e32 v142, 2, v33
	v_cndmask_b32_e32 v33, v114, v117, vcc
	v_add3_u32 v215, v75, v95, s2
	v_add_u32_e32 v219, v70, v78
	v_mad_u32_u24 v75, v76, s0, v70
	s_ashr_i32 s3, s34, 31
	v_ashrrev_i32_e32 v55, 31, v54
	v_add_u32_e32 v133, 0x1080, v132
	v_ashrrev_i32_e32 v57, 31, v56
	v_add_u32_e32 v134, 0x2100, v132
	;; [unrolled: 2-line block ×7, first 2 shown]
	v_ashrrev_i32_e32 v69, 31, v68
	v_accvgpr_write_b32 a7, v111
	v_accvgpr_write_b32 a14, v101
	v_accvgpr_write_b32 a15, v103
	v_or_b32_e32 v122, 1, v121
	v_lshlrev_b32_e32 v143, 2, v33
	s_ashr_i32 s1, s30, 31
	v_ashrrev_i32_e32 v33, 31, v32
	v_ashrrev_i32_e32 v35, 31, v34
	;; [unrolled: 1-line block ×8, first 2 shown]
	v_accvgpr_write_b32 a8, v112
	v_accvgpr_write_b32 a10, v116
	v_add_u32_e32 v147, 0x4200, v145
	v_add_u32_e32 v148, 32, v145
	;; [unrolled: 1-line block ×30, first 2 shown]
	v_add3_u32 v220, v75, v95, s2
	v_add_u32_e32 v221, 0x4200, v219
	v_add3_u32 v222, v70, v97, v95
	s_lshl_b32 s4, s74, 6
	v_mov_b32_e32 v70, 0xfeffffff
	v_add_u32_e32 v223, v72, v105
	v_lshlrev_b32_e32 v224, 2, v48
	v_add_u32_e32 v225, v73, v127
	v_add_u32_e32 v226, 0x8400, v74
	s_mov_b32 s0, 0x3fb8aa3b
	s_mov_b32 s2, 0xc2ce8ed0
	;; [unrolled: 1-line block ×5, first 2 shown]
	v_mov_b32_e32 v227, 0x7f800000
	v_mov_b32_e32 v99, v49
	;; [unrolled: 1-line block ×34, first 2 shown]
.LBB29_316:                             ; =>This Inner Loop Header: Depth=1
	s_ashr_i32 s5, s4, 31
	s_lshl_b64 s[16:17], s[4:5], 1
	v_mov_b32_e32 v75, v70
	v_add_co_u32_e32 v70, vcc, s16, v130
	v_mov_b32_e32 v93, s17
	v_addc_co_u32_e32 v93, vcc, v131, v93, vcc
	v_lshlrev_b64 v[110:111], 1, v[50:51]
	v_add_co_u32_e32 v110, vcc, v70, v110
	v_addc_co_u32_e32 v111, vcc, v93, v111, vcc
	v_mov_b32_e32 v74, v99
	global_load_dword v99, v[110:111], off
	v_lshlrev_b64 v[110:111], 1, v[52:53]
	v_add_co_u32_e32 v110, vcc, v70, v110
	v_addc_co_u32_e32 v111, vcc, v93, v111, vcc
	global_load_dword v70, v[110:111], off
	s_mul_hi_i32 s17, s4, s34
	s_mul_i32 s16, s4, s34
	s_lshl_b64 s[16:17], s[16:17], 2
	s_add_u32 s5, s8, s16
	s_addc_u32 s15, s9, s17
	v_lshlrev_b64 v[110:111], 2, v[54:55]
	v_mov_b32_e32 v93, s15
	s_mul_hi_i32 s17, s4, s30
	s_mul_i32 s16, s4, s30
	s_lshl_b64 s[16:17], s[16:17], 2
	s_waitcnt vmcnt(1)
	ds_write_b32 v223, v99 offset:33792
	s_waitcnt vmcnt(0)
	ds_write_b32 v223, v70 offset:34944
	v_add_co_u32_e32 v70, vcc, s5, v110
	v_addc_co_u32_e32 v93, vcc, v93, v111, vcc
	v_add_co_u32_e32 v110, vcc, v70, v224
	v_addc_co_u32_e32 v111, vcc, 0, v93, vcc
	global_load_dwordx4 v[240:243], v[110:111], off
	v_lshlrev_b64 v[110:111], 2, v[56:57]
	v_add_co_u32_e32 v70, vcc, s5, v110
	v_mov_b32_e32 v93, s15
	v_addc_co_u32_e32 v93, vcc, v93, v111, vcc
	v_add_co_u32_e32 v110, vcc, v70, v224
	v_addc_co_u32_e32 v111, vcc, 0, v93, vcc
	v_mov_b32_e32 v93, s15
	s_waitcnt vmcnt(0)
	ds_write_b128 v132, v[240:243]
	global_load_dwordx4 v[240:243], v[110:111], off
	v_lshlrev_b64 v[110:111], 2, v[58:59]
	v_add_co_u32_e32 v70, vcc, s5, v110
	v_addc_co_u32_e32 v93, vcc, v93, v111, vcc
	v_add_co_u32_e32 v110, vcc, v70, v224
	v_addc_co_u32_e32 v111, vcc, 0, v93, vcc
	v_mov_b32_e32 v93, s15
	s_waitcnt vmcnt(0)
	ds_write_b128 v133, v[240:243]
	global_load_dwordx4 v[240:243], v[110:111], off
	v_lshlrev_b64 v[110:111], 2, v[60:61]
	v_add_co_u32_e32 v70, vcc, s5, v110
	;; [unrolled: 9-line block ×5, first 2 shown]
	v_addc_co_u32_e32 v93, vcc, v93, v111, vcc
	v_add_co_u32_e32 v110, vcc, v70, v224
	v_addc_co_u32_e32 v111, vcc, 0, v93, vcc
	v_mov_b32_e32 v93, s15
	s_add_u32 s15, s6, s16
	s_waitcnt vmcnt(0)
	ds_write_b128 v137, v[240:243]
	global_load_dwordx4 v[240:243], v[110:111], off
	v_lshlrev_b64 v[110:111], 2, v[68:69]
	v_add_co_u32_e32 v70, vcc, s5, v110
	v_addc_co_u32_e32 v93, vcc, v93, v111, vcc
	v_add_co_u32_e32 v110, vcc, v70, v224
	v_addc_co_u32_e32 v111, vcc, 0, v93, vcc
	v_add_u32_e32 v70, 0x4000, v225
	s_addc_u32 s5, s7, s17
	s_add_i32 s74, s74, 1
	s_add_i32 s4, s4, 64
	s_waitcnt vmcnt(0)
	ds_write_b128 v138, v[240:243]
	global_load_dwordx4 v[240:243], v[110:111], off
	s_waitcnt vmcnt(0)
	ds_write_b128 v139, v[240:243]
	s_waitcnt lgkmcnt(0)
	s_barrier
	ds_read2_b64 v[240:243], v225 offset1:4
	s_waitcnt lgkmcnt(0)
	v_mfma_f32_16x16x16f16 a[0:3], v[240:241], v[28:29], 0
	v_mfma_f32_16x16x16f16 a[0:3], v[242:243], v[30:31], a[0:3]
	ds_read2_b64 v[240:243], v225 offset0:8 offset1:12
	s_waitcnt lgkmcnt(0)
	v_mfma_f32_16x16x16f16 a[0:3], v[240:241], v[24:25], a[0:3]
	v_mfma_f32_16x16x16f16 a[0:3], v[242:243], v[26:27], a[0:3]
	ds_read2_b64 v[240:243], v225 offset0:16 offset1:20
	;; [unrolled: 4-line block ×8, first 2 shown]
	s_nop 7
	s_nop 1
	v_accvgpr_read_b32 v111, a3
	v_accvgpr_read_b32 v110, a2
	s_waitcnt lgkmcnt(0)
	v_mfma_f32_16x16x16f16 a[2:5], v[240:241], v[28:29], 0
	v_accvgpr_read_b32 v247, a1
	v_accvgpr_read_b32 v246, a0
	v_mfma_f32_16x16x16f16 a[2:5], v[242:243], v[30:31], a[2:5]
	ds_read2_b64 v[240:243], v70 offset0:72 offset1:76
	s_waitcnt lgkmcnt(0)
	v_mfma_f32_16x16x16f16 a[2:5], v[240:241], v[24:25], a[2:5]
	v_mfma_f32_16x16x16f16 a[2:5], v[242:243], v[26:27], a[2:5]
	ds_read2_b64 v[240:243], v70 offset0:80 offset1:84
	s_waitcnt lgkmcnt(0)
	v_mfma_f32_16x16x16f16 a[2:5], v[240:241], v[20:21], a[2:5]
	;; [unrolled: 4-line block ×6, first 2 shown]
	v_mfma_f32_16x16x16f16 a[2:5], v[242:243], v[6:7], a[2:5]
	ds_read2_b64 v[240:243], v70 offset0:120 offset1:124
	s_waitcnt lgkmcnt(0)
	s_barrier
	v_mfma_f32_16x16x16f16 a[2:5], v[240:241], v[0:1], a[2:5]
	v_mfma_f32_16x16x16f16 a[2:5], v[242:243], v[2:3], a[2:5]
	ds_read2_b32 v[242:243], v226 offset1:1
	ds_read_b32 v70, v140 offset:33792
	ds_read_b32 v93, v141 offset:33792
	s_waitcnt lgkmcnt(2)
	v_cvt_f32_f16_e32 v244, v242
	v_cvt_f32_f16_sdwa v245, v242 dst_sel:DWORD dst_unused:UNUSED_PAD src0_sel:WORD_1
	v_cvt_f32_f16_e32 v242, v243
	v_cvt_f32_f16_sdwa v243, v243 dst_sel:DWORD dst_unused:UNUSED_PAD src0_sel:WORD_1
	v_pk_add_f32 v[244:245], v[246:247], v[244:245]
	s_waitcnt lgkmcnt(0)
	v_cvt_f32_f16_sdwa v247, v93 dst_sel:DWORD dst_unused:UNUSED_PAD src0_sel:WORD_1
	v_cvt_f32_f16_e32 v246, v93
	v_accvgpr_read_b32 v241, a5
	v_accvgpr_read_b32 v240, a4
	;; [unrolled: 1-line block ×3, first 2 shown]
	v_pk_add_f32 v[240:241], v[240:241], v[246:247]
	v_cvt_f32_f16_sdwa v247, v70 dst_sel:DWORD dst_unused:UNUSED_PAD src0_sel:WORD_1
	v_cvt_f32_f16_e32 v246, v70
	v_add_f32_e32 v99, 0x40051340, v244
	v_add_f32_e32 v103, 0x40051340, v245
	v_accvgpr_read_b32 v248, a2
	v_pk_add_f32 v[110:111], v[110:111], v[242:243]
	v_max3_f32 v99, v75, v99, v103
	v_pk_add_f32 v[246:247], v[248:249], v[246:247]
	v_add_f32_e32 v107, 0x40051340, v110
	v_add_f32_e32 v108, 0x40051340, v111
	v_add_f32_e32 v70, 0x40051340, v246
	v_add_f32_e32 v104, 0x40051340, v247
	v_max3_f32 v99, v99, v107, v108
	v_add_f32_e32 v93, 0x40051340, v240
	v_add_f32_e32 v103, 0x40051340, v241
	v_max3_f32 v70, v99, v70, v104
	v_max3_f32 v70, v70, v93, v103
	ds_bpermute_b32 v93, v142, v70
	s_waitcnt lgkmcnt(0)
	v_max_f32_e32 v93, v93, v93
	v_max_f32_e32 v70, v70, v93
	ds_bpermute_b32 v93, v143, v70
	s_waitcnt lgkmcnt(0)
	v_max_f32_e32 v93, v93, v93
	v_max_f32_e32 v70, v70, v93
	v_pk_add_f32 v[242:243], v[244:245], v[70:71] op_sel_hi:[1,0] neg_lo:[0,1] neg_hi:[0,1]
	v_mul_f32_e32 v93, 0x3fb8aa3b, v243
	v_fma_f32 v99, v243, s0, -v93
	v_rndne_f32_e32 v103, v93
	v_fmac_f32_e32 v99, 0x32a5705f, v243
	v_sub_f32_e32 v93, v93, v103
	v_add_f32_e32 v93, v93, v99
	v_exp_f32_e32 v93, v93
	v_cvt_i32_f32_e32 v99, v103
	v_cmp_ngt_f32_e32 vcc, s2, v243
	v_pk_add_f32 v[110:111], v[110:111], v[70:71] op_sel_hi:[1,0] neg_lo:[0,1] neg_hi:[0,1]
	v_sub_f32_e32 v75, v75, v70
	v_ldexp_f32 v93, v93, v99
	v_cndmask_b32_e32 v93, 0, v93, vcc
	v_cmp_nlt_f32_e32 vcc, s12, v243
	v_cndmask_b32_e32 v108, v227, v93, vcc
	v_mul_f32_e32 v93, 0x3fb8aa3b, v242
	v_fma_f32 v99, v242, s0, -v93
	v_rndne_f32_e32 v103, v93
	v_fmac_f32_e32 v99, 0x32a5705f, v242
	v_sub_f32_e32 v93, v93, v103
	v_add_f32_e32 v93, v93, v99
	v_exp_f32_e32 v93, v93
	v_cvt_i32_f32_e32 v99, v103
	v_cmp_ngt_f32_e32 vcc, s2, v242
	v_ldexp_f32 v93, v93, v99
	v_cndmask_b32_e32 v93, 0, v93, vcc
	v_cmp_nlt_f32_e32 vcc, s12, v242
	v_cndmask_b32_e32 v106, v227, v93, vcc
	v_mul_f32_e32 v93, 0x3fb8aa3b, v111
	v_fma_f32 v99, v111, s0, -v93
	v_rndne_f32_e32 v103, v93
	v_fmac_f32_e32 v99, 0x32a5705f, v111
	v_sub_f32_e32 v93, v93, v103
	v_add_f32_e32 v93, v93, v99
	v_exp_f32_e32 v93, v93
	v_cvt_i32_f32_e32 v99, v103
	v_cmp_ngt_f32_e32 vcc, s2, v111
	;; [unrolled: 13-line block ×3, first 2 shown]
	v_ldexp_f32 v93, v93, v99
	v_cndmask_b32_e32 v93, 0, v93, vcc
	v_cmp_nlt_f32_e32 vcc, s12, v110
	v_pk_add_f32 v[110:111], v[246:247], v[70:71] op_sel_hi:[1,0] neg_lo:[0,1] neg_hi:[0,1]
	v_cndmask_b32_e32 v92, v227, v93, vcc
	v_mul_f32_e32 v93, 0x3fb8aa3b, v111
	v_fma_f32 v99, v111, s0, -v93
	v_rndne_f32_e32 v103, v93
	v_fmac_f32_e32 v99, 0x32a5705f, v111
	v_sub_f32_e32 v93, v93, v103
	v_add_f32_e32 v93, v93, v99
	v_exp_f32_e32 v93, v93
	v_cvt_i32_f32_e32 v99, v103
	v_cmp_ngt_f32_e32 vcc, s2, v111
	v_ldexp_f32 v93, v93, v99
	v_cndmask_b32_e32 v93, 0, v93, vcc
	v_cmp_nlt_f32_e32 vcc, s12, v111
	v_cndmask_b32_e32 v112, v227, v93, vcc
	v_mul_f32_e32 v93, 0x3fb8aa3b, v110
	v_fma_f32 v99, v110, s0, -v93
	v_rndne_f32_e32 v103, v93
	v_fmac_f32_e32 v99, 0x32a5705f, v110
	v_sub_f32_e32 v93, v93, v103
	v_add_f32_e32 v93, v93, v99
	v_exp_f32_e32 v93, v93
	v_cvt_i32_f32_e32 v99, v103
	v_cmp_ngt_f32_e32 vcc, s2, v110
	v_ldexp_f32 v93, v93, v99
	v_cndmask_b32_e32 v93, 0, v93, vcc
	v_cmp_nlt_f32_e32 vcc, s12, v110
	v_pk_add_f32 v[110:111], v[240:241], v[70:71] op_sel_hi:[1,0] neg_lo:[0,1] neg_hi:[0,1]
	v_cndmask_b32_e32 v116, v227, v93, vcc
	v_mul_f32_e32 v93, 0x3fb8aa3b, v111
	v_fma_f32 v99, v111, s0, -v93
	v_rndne_f32_e32 v103, v93
	v_fmac_f32_e32 v99, 0x32a5705f, v111
	v_sub_f32_e32 v93, v93, v103
	v_add_f32_e32 v93, v93, v99
	v_exp_f32_e32 v93, v93
	v_cvt_i32_f32_e32 v99, v103
	v_cmp_ngt_f32_e32 vcc, s2, v111
	v_ldexp_f32 v93, v93, v99
	v_cndmask_b32_e32 v93, 0, v93, vcc
	v_cmp_nlt_f32_e32 vcc, s12, v111
	v_cndmask_b32_e32 v111, v227, v93, vcc
	v_mul_f32_e32 v93, 0x3fb8aa3b, v110
	v_fma_f32 v99, v110, s0, -v93
	v_rndne_f32_e32 v103, v93
	v_fmac_f32_e32 v99, 0x32a5705f, v110
	v_sub_f32_e32 v93, v93, v103
	v_add_f32_e32 v93, v93, v99
	v_exp_f32_e32 v93, v93
	v_cvt_i32_f32_e32 v99, v103
	v_cmp_ngt_f32_e32 vcc, s2, v110
	v_ldexp_f32 v93, v93, v99
	v_cndmask_b32_e32 v93, 0, v93, vcc
	v_cmp_nlt_f32_e32 vcc, s12, v110
	v_cndmask_b32_e32 v110, v227, v93, vcc
	v_add_f32_e32 v93, v106, v108
	v_add_f32_e32 v93, v92, v93
	v_add_f32_e32 v93, v101, v93
	v_add_f32_e32 v93, v116, v93
	v_add_f32_e32 v93, v112, v93
	v_add_f32_e32 v93, v110, v93
	v_add_f32_e32 v99, v111, v93
	v_mul_f32_e32 v93, 0x3fb8aa3b, v75
	v_fma_f32 v103, v75, s0, -v93
	v_rndne_f32_e32 v104, v93
	v_fmac_f32_e32 v103, 0x32a5705f, v75
	v_sub_f32_e32 v93, v93, v104
	v_add_f32_e32 v93, v93, v103
	v_exp_f32_e32 v93, v93
	v_cvt_i32_f32_e32 v103, v104
	v_cmp_ngt_f32_e32 vcc, s2, v75
	v_ldexp_f32 v93, v93, v103
	v_cndmask_b32_e32 v93, 0, v93, vcc
	v_cmp_nlt_f32_e32 vcc, s12, v75
	v_cndmask_b32_e32 v93, v227, v93, vcc
	v_cmp_le_f32_e32 vcc, s13, v75
	v_cndmask_b32_e32 v75, 0, v93, vcc
	v_fmac_f32_e32 v99, v74, v75
	v_cvt_f16_f32_e32 v74, v75
	v_pk_mul_f16 v241, v74, v73 op_sel_hi:[0,1]
	v_pk_mul_f16 v240, v74, v72 op_sel_hi:[0,1]
	v_cvt_f16_f32_e32 v72, v106
	v_cvt_f16_f32_e32 v73, v108
	v_pk_mul_f16 v104, v74, v82 op_sel_hi:[0,1]
	v_pk_mul_f16 v103, v74, v80 op_sel_hi:[0,1]
	;; [unrolled: 1-line block ×30, first 2 shown]
	v_pack_b32_f16 v74, v72, v73
	v_cvt_f16_f32_e32 v72, v101
	v_cvt_f16_f32_e32 v73, v92
	;; [unrolled: 1-line block ×3, first 2 shown]
	v_mov_b32_e32 v78, s5
	v_mov_b32_e32 v80, s5
	v_pack_b32_f16 v75, v73, v72
	v_cvt_f16_f32_e32 v72, v112
	v_cvt_f16_f32_e32 v73, v116
	v_mov_b32_e32 v82, s5
	v_mov_b32_e32 v84, s5
	;; [unrolled: 1-line block ×3, first 2 shown]
	v_pack_b32_f16 v72, v73, v72
	v_cvt_f16_f32_e32 v73, v111
	v_mov_b32_e32 v88, s5
	v_mov_b32_e32 v90, s5
	;; [unrolled: 1-line block ×3, first 2 shown]
	v_pack_b32_f16 v73, v76, v73
	v_lshlrev_b64 v[76:77], 2, v[32:33]
	v_add_co_u32_e32 v76, vcc, s15, v76
	v_addc_co_u32_e32 v77, vcc, v78, v77, vcc
	v_add_co_u32_e32 v76, vcc, v76, v224
	v_addc_co_u32_e32 v77, vcc, 0, v77, vcc
	v_lshlrev_b64 v[78:79], 2, v[34:35]
	v_add_co_u32_e32 v78, vcc, s15, v78
	v_addc_co_u32_e32 v79, vcc, v80, v79, vcc
	v_add_co_u32_e32 v78, vcc, v78, v224
	v_addc_co_u32_e32 v79, vcc, 0, v79, vcc
	global_load_dwordx4 v[108:111], v[76:77], off
	v_lshlrev_b64 v[80:81], 2, v[36:37]
	global_load_dwordx4 v[76:79], v[78:79], off
	v_add_co_u32_e32 v80, vcc, s15, v80
	v_addc_co_u32_e32 v81, vcc, v82, v81, vcc
	v_add_co_u32_e32 v80, vcc, v80, v224
	v_addc_co_u32_e32 v81, vcc, 0, v81, vcc
	v_lshlrev_b64 v[82:83], 2, v[38:39]
	v_add_co_u32_e32 v82, vcc, s15, v82
	v_addc_co_u32_e32 v83, vcc, v84, v83, vcc
	v_add_co_u32_e32 v82, vcc, v82, v224
	v_addc_co_u32_e32 v83, vcc, 0, v83, vcc
	v_lshlrev_b64 v[84:85], 2, v[40:41]
	v_add_co_u32_e32 v84, vcc, s15, v84
	v_addc_co_u32_e32 v85, vcc, v86, v85, vcc
	v_add_co_u32_e32 v84, vcc, v84, v224
	v_addc_co_u32_e32 v85, vcc, 0, v85, vcc
	v_lshlrev_b64 v[86:87], 2, v[42:43]
	v_add_co_u32_e32 v86, vcc, s15, v86
	v_addc_co_u32_e32 v87, vcc, v88, v87, vcc
	v_add_co_u32_e32 v86, vcc, v86, v224
	v_addc_co_u32_e32 v87, vcc, 0, v87, vcc
	v_lshlrev_b64 v[88:89], 2, v[44:45]
	v_add_co_u32_e32 v88, vcc, s15, v88
	v_addc_co_u32_e32 v89, vcc, v90, v89, vcc
	v_add_co_u32_e32 v88, vcc, v88, v224
	v_addc_co_u32_e32 v89, vcc, 0, v89, vcc
	v_lshlrev_b64 v[90:91], 2, v[46:47]
	v_add_co_u32_e32 v90, vcc, s15, v90
	v_addc_co_u32_e32 v91, vcc, v92, v91, vcc
	v_add_co_u32_e32 v90, vcc, v90, v224
	v_addc_co_u32_e32 v91, vcc, 0, v91, vcc
	v_cmp_lt_i32_e32 vcc, s74, v128
	s_and_b64 vcc, exec, vcc
	s_waitcnt vmcnt(1)
	ds_write_b128 v132, v[108:111]
	v_cvt_f32_f16_e32 v110, v242
	s_waitcnt vmcnt(0)
	ds_write_b128 v133, v[76:79]
	global_load_dwordx4 v[76:79], v[80:81], off
	v_cvt_f32_f16_sdwa v111, v242 dst_sel:DWORD dst_unused:UNUSED_PAD src0_sel:WORD_1
	s_waitcnt vmcnt(0)
	ds_write_b128 v134, v[76:79]
	global_load_dwordx4 v[76:79], v[82:83], off
	s_waitcnt vmcnt(0)
	ds_write_b128 v135, v[76:79]
	global_load_dwordx4 v[76:79], v[84:85], off
	;; [unrolled: 3-line block ×3, first 2 shown]
	v_cvt_f32_f16_e32 v86, v252
	v_cvt_f32_f16_sdwa v87, v252 dst_sel:DWORD dst_unused:UNUSED_PAD src0_sel:WORD_1
	s_waitcnt vmcnt(0)
	ds_write_b128 v137, v[76:79]
	global_load_dwordx4 v[76:79], v[88:89], off
	s_waitcnt vmcnt(0)
	ds_write_b128 v138, v[76:79]
	global_load_dwordx4 v[76:79], v[90:91], off
	s_waitcnt vmcnt(0)
	ds_write_b128 v139, v[76:79]
	s_waitcnt lgkmcnt(0)
	s_barrier
	ds_read_u16 v80, v145 offset:528
	ds_read_u16 v81, v145 offset:1056
	ds_read_u16 v82, v146
	ds_read_u16 v83, v146 offset:32
	v_cvt_f32_f16_e32 v76, v104
	v_cvt_f32_f16_sdwa v77, v104 dst_sel:DWORD dst_unused:UNUSED_PAD src0_sel:WORD_1
	v_cvt_f32_f16_e32 v78, v103
	s_waitcnt lgkmcnt(1)
	v_perm_b32 v81, v82, v81, s14
	ds_read_u16 v82, v144
	ds_read_u16 v84, v144 offset:32
	v_cvt_f32_f16_sdwa v79, v103 dst_sel:DWORD dst_unused:UNUSED_PAD src0_sel:WORD_1
	v_accvgpr_write_b32 a0, v76
	v_accvgpr_write_b32 a1, v77
	s_waitcnt lgkmcnt(1)
	v_perm_b32 v80, v80, v82, s14
	v_accvgpr_write_b32 a2, v78
	v_accvgpr_write_b32 a3, v79
	s_nop 1
	v_mfma_f32_16x16x16f16 a[0:3], v[80:81], v[74:75], a[0:3]
	ds_read_u16 v80, v144 offset:16896
	ds_read_u16 v82, v147 offset:528
	;; [unrolled: 1-line block ×4, first 2 shown]
	s_waitcnt lgkmcnt(2)
	v_perm_b32 v80, v82, v80, s14
	s_waitcnt lgkmcnt(0)
	v_perm_b32 v81, v85, v81, s14
	s_nop 2
	v_accvgpr_read_b32 v76, a0
	v_cvt_f16_f32_e32 v76, v76
	v_accvgpr_read_b32 v77, a1
	v_accvgpr_read_b32 v78, a2
	;; [unrolled: 1-line block ×3, first 2 shown]
	v_cvt_f16_f32_e32 v77, v77
	v_cvt_f16_f32_e32 v78, v78
	;; [unrolled: 1-line block ×3, first 2 shown]
	v_cvt_f32_f16_e32 v76, v76
	v_cvt_f32_f16_e32 v77, v77
	;; [unrolled: 1-line block ×4, first 2 shown]
	v_accvgpr_write_b32 a0, v76
	v_accvgpr_write_b32 a1, v77
	;; [unrolled: 1-line block ×4, first 2 shown]
	s_nop 1
	v_mfma_f32_16x16x16f16 a[0:3], v[80:81], v[72:73], a[0:3]
	ds_read_u16 v81, v148 offset:528
	ds_read_u16 v85, v148 offset:1056
	s_waitcnt lgkmcnt(1)
	v_perm_b32 v84, v81, v84, s14
	s_waitcnt lgkmcnt(0)
	v_perm_b32 v85, v83, v85, s14
	s_nop 4
	v_accvgpr_read_b32 v76, a0
	v_accvgpr_read_b32 v77, a1
	v_cvt_f16_f32_e32 v76, v76
	v_cvt_f16_f32_e32 v77, v77
	v_accvgpr_read_b32 v78, a2
	v_accvgpr_read_b32 v79, a3
	v_cvt_f16_f32_e32 v78, v78
	v_cvt_f16_f32_e32 v79, v79
	v_pack_b32_f16 v82, v76, v77
	v_cvt_f32_f16_e32 v76, v93
	v_cvt_f32_f16_sdwa v77, v93 dst_sel:DWORD dst_unused:UNUSED_PAD src0_sel:WORD_1
	v_pack_b32_f16 v80, v78, v79
	v_cvt_f32_f16_e32 v78, v254
	v_cvt_f32_f16_sdwa v79, v254 dst_sel:DWORD dst_unused:UNUSED_PAD src0_sel:WORD_1
	v_accvgpr_write_b32 a0, v76
	v_accvgpr_write_b32 a1, v77
	;; [unrolled: 1-line block ×4, first 2 shown]
	s_nop 1
	v_mfma_f32_16x16x16f16 a[0:3], v[84:85], v[74:75], a[0:3]
	ds_read_u16 v81, v149 offset:16896
	ds_read_u16 v83, v150 offset:528
	;; [unrolled: 1-line block ×4, first 2 shown]
	s_waitcnt lgkmcnt(0)
	v_perm_b32 v85, v85, v84, s14
	v_perm_b32 v84, v83, v81, s14
	s_nop 3
	v_accvgpr_read_b32 v76, a0
	v_cvt_f16_f32_e32 v76, v76
	v_accvgpr_read_b32 v77, a1
	v_accvgpr_read_b32 v78, a2
	;; [unrolled: 1-line block ×3, first 2 shown]
	v_cvt_f16_f32_e32 v77, v77
	v_cvt_f16_f32_e32 v78, v78
	;; [unrolled: 1-line block ×3, first 2 shown]
	v_cvt_f32_f16_e32 v76, v76
	v_cvt_f32_f16_e32 v77, v77
	;; [unrolled: 1-line block ×4, first 2 shown]
	v_accvgpr_write_b32 a0, v76
	v_accvgpr_write_b32 a1, v77
	;; [unrolled: 1-line block ×4, first 2 shown]
	s_nop 1
	v_mfma_f32_16x16x16f16 a[0:3], v[84:85], v[72:73], a[0:3]
	v_cvt_f32_f16_e32 v84, v253
	v_cvt_f32_f16_sdwa v85, v253 dst_sel:DWORD dst_unused:UNUSED_PAD src0_sel:WORD_1
	s_nop 7
	s_nop 0
	v_accvgpr_read_b32 v76, a0
	v_accvgpr_read_b32 v77, a1
	;; [unrolled: 1-line block ×4, first 2 shown]
	v_cvt_f16_f32_e32 v76, v76
	v_cvt_f16_f32_e32 v77, v77
	;; [unrolled: 1-line block ×4, first 2 shown]
	v_accvgpr_write_b32 a0, v84
	v_pack_b32_f16 v83, v76, v77
	v_accvgpr_write_b32 a1, v85
	v_pack_b32_f16 v76, v78, v79
	ds_read_u16 v77, v144 offset:64
	ds_read_u16 v78, v153 offset:528
	;; [unrolled: 1-line block ×4, first 2 shown]
	v_accvgpr_write_b32 a2, v86
	v_accvgpr_write_b32 a3, v87
	s_waitcnt lgkmcnt(2)
	v_perm_b32 v78, v78, v77, s14
	ds_read_u16 v88, v154 offset:16896
	ds_read_u16 v89, v155 offset:528
	;; [unrolled: 1-line block ×4, first 2 shown]
	s_waitcnt lgkmcnt(4)
	v_perm_b32 v79, v81, v79, s14
	s_nop 1
	v_mfma_f32_16x16x16f16 a[0:3], v[78:79], v[74:75], a[0:3]
	s_nop 7
	s_nop 2
	v_accvgpr_read_b32 v77, a0
	v_cvt_f16_f32_e32 v77, v77
	v_accvgpr_read_b32 v78, a1
	v_accvgpr_read_b32 v79, a2
	;; [unrolled: 1-line block ×3, first 2 shown]
	v_cvt_f16_f32_e32 v78, v78
	v_cvt_f16_f32_e32 v79, v79
	;; [unrolled: 1-line block ×3, first 2 shown]
	v_cvt_f32_f16_e32 v84, v77
	v_cvt_f32_f16_e32 v85, v78
	;; [unrolled: 1-line block ×4, first 2 shown]
	s_waitcnt lgkmcnt(0)
	v_perm_b32 v79, v91, v90, s14
	v_perm_b32 v78, v89, v88, s14
	v_accvgpr_write_b32 a0, v84
	v_accvgpr_write_b32 a1, v85
	;; [unrolled: 1-line block ×4, first 2 shown]
	v_cvt_f32_f16_e32 v84, v251
	v_cvt_f32_f16_sdwa v85, v251 dst_sel:DWORD dst_unused:UNUSED_PAD src0_sel:WORD_1
	v_mfma_f32_16x16x16f16 a[0:3], v[78:79], v[72:73], a[0:3]
	v_cvt_f32_f16_e32 v86, v250
	v_cvt_f32_f16_sdwa v87, v250 dst_sel:DWORD dst_unused:UNUSED_PAD src0_sel:WORD_1
	s_nop 7
	s_nop 0
	v_accvgpr_read_b32 v77, a0
	v_accvgpr_read_b32 v78, a1
	;; [unrolled: 1-line block ×4, first 2 shown]
	v_cvt_f16_f32_e32 v77, v77
	v_cvt_f16_f32_e32 v78, v78
	;; [unrolled: 1-line block ×4, first 2 shown]
	v_accvgpr_write_b32 a0, v84
	v_pack_b32_f16 v78, v77, v78
	v_accvgpr_write_b32 a1, v85
	v_pack_b32_f16 v77, v79, v81
	ds_read_u16 v79, v144 offset:96
	ds_read_u16 v81, v158 offset:528
	;; [unrolled: 1-line block ×4, first 2 shown]
	v_accvgpr_write_b32 a2, v86
	v_accvgpr_write_b32 a3, v87
	s_waitcnt lgkmcnt(0)
	v_perm_b32 v89, v89, v88, s14
	v_perm_b32 v88, v81, v79, s14
	s_nop 1
	v_mfma_f32_16x16x16f16 a[0:3], v[88:89], v[74:75], a[0:3]
	ds_read_u16 v88, v159 offset:16896
	ds_read_u16 v90, v160 offset:528
	;; [unrolled: 1-line block ×4, first 2 shown]
	s_waitcnt lgkmcnt(2)
	v_perm_b32 v88, v90, v88, s14
	s_waitcnt lgkmcnt(0)
	v_perm_b32 v89, v91, v89, s14
	s_nop 2
	v_accvgpr_read_b32 v79, a0
	v_accvgpr_read_b32 v84, a2
	v_cvt_f16_f32_e32 v79, v79
	v_accvgpr_read_b32 v81, a1
	v_cvt_f16_f32_e32 v86, v84
	;; [unrolled: 2-line block ×3, first 2 shown]
	v_cvt_f16_f32_e32 v87, v84
	v_cvt_f32_f16_e32 v84, v79
	v_cvt_f32_f16_e32 v86, v86
	v_cvt_f32_f16_e32 v85, v81
	v_cvt_f32_f16_e32 v87, v87
	v_accvgpr_write_b32 a0, v84
	v_accvgpr_write_b32 a2, v86
	;; [unrolled: 1-line block ×4, first 2 shown]
	v_cvt_f32_f16_e32 v86, v248
	v_cvt_f32_f16_sdwa v87, v248 dst_sel:DWORD dst_unused:UNUSED_PAD src0_sel:WORD_1
	v_mfma_f32_16x16x16f16 a[0:3], v[88:89], v[72:73], a[0:3]
	ds_read_u16 v88, v144 offset:128
	ds_read_u16 v90, v163 offset:528
	;; [unrolled: 1-line block ×4, first 2 shown]
	s_waitcnt lgkmcnt(2)
	v_perm_b32 v88, v90, v88, s14
	s_waitcnt lgkmcnt(0)
	v_perm_b32 v89, v91, v89, s14
	s_nop 2
	v_accvgpr_read_b32 v79, a0
	v_accvgpr_read_b32 v81, a1
	;; [unrolled: 1-line block ×4, first 2 shown]
	v_cvt_f16_f32_e32 v79, v79
	v_cvt_f16_f32_e32 v81, v81
	;; [unrolled: 1-line block ×4, first 2 shown]
	v_pack_b32_f16 v81, v79, v81
	v_pack_b32_f16 v79, v84, v85
	v_cvt_f32_f16_e32 v84, v249
	v_cvt_f32_f16_sdwa v85, v249 dst_sel:DWORD dst_unused:UNUSED_PAD src0_sel:WORD_1
	v_accvgpr_write_b32 a0, v84
	v_accvgpr_write_b32 a1, v85
	;; [unrolled: 1-line block ×4, first 2 shown]
	s_nop 1
	v_mfma_f32_16x16x16f16 a[0:3], v[88:89], v[74:75], a[0:3]
	ds_read_u16 v88, v164 offset:16896
	ds_read_u16 v90, v165 offset:528
	;; [unrolled: 1-line block ×4, first 2 shown]
	s_waitcnt lgkmcnt(2)
	v_perm_b32 v88, v90, v88, s14
	s_waitcnt lgkmcnt(0)
	v_perm_b32 v89, v91, v89, s14
	ds_read_u16 v90, v144 offset:160
	ds_read_u16 v92, v168 offset:528
	;; [unrolled: 1-line block ×4, first 2 shown]
	v_accvgpr_read_b32 v84, a0
	v_cvt_f16_f32_e32 v84, v84
	v_accvgpr_read_b32 v85, a1
	v_accvgpr_read_b32 v86, a2
	;; [unrolled: 1-line block ×3, first 2 shown]
	v_cvt_f16_f32_e32 v85, v85
	v_cvt_f16_f32_e32 v86, v86
	v_cvt_f16_f32_e32 v87, v87
	v_cvt_f32_f16_e32 v84, v84
	v_cvt_f32_f16_e32 v85, v85
	;; [unrolled: 1-line block ×4, first 2 shown]
	v_accvgpr_write_b32 a0, v84
	v_accvgpr_write_b32 a1, v85
	;; [unrolled: 1-line block ×4, first 2 shown]
	s_waitcnt lgkmcnt(0)
	v_perm_b32 v91, v93, v91, s14
	v_perm_b32 v90, v92, v90, s14
	v_mfma_f32_16x16x16f16 a[0:3], v[88:89], v[72:73], a[0:3]
	v_cvt_f32_f16_e32 v88, v246
	v_cvt_f32_f16_sdwa v89, v246 dst_sel:DWORD dst_unused:UNUSED_PAD src0_sel:WORD_1
	s_nop 7
	s_nop 0
	v_accvgpr_read_b32 v84, a0
	v_accvgpr_read_b32 v85, a1
	;; [unrolled: 1-line block ×4, first 2 shown]
	v_cvt_f16_f32_e32 v84, v84
	v_cvt_f16_f32_e32 v85, v85
	;; [unrolled: 1-line block ×4, first 2 shown]
	v_pack_b32_f16 v85, v84, v85
	v_pack_b32_f16 v84, v86, v87
	v_cvt_f32_f16_e32 v86, v247
	v_cvt_f32_f16_sdwa v87, v247 dst_sel:DWORD dst_unused:UNUSED_PAD src0_sel:WORD_1
	v_accvgpr_write_b32 a0, v86
	v_accvgpr_write_b32 a1, v87
	;; [unrolled: 1-line block ×4, first 2 shown]
	s_nop 1
	v_mfma_f32_16x16x16f16 a[0:3], v[90:91], v[74:75], a[0:3]
	ds_read_u16 v90, v169 offset:16896
	ds_read_u16 v92, v170 offset:528
	;; [unrolled: 1-line block ×4, first 2 shown]
	s_waitcnt lgkmcnt(2)
	v_perm_b32 v90, v92, v90, s14
	s_waitcnt lgkmcnt(0)
	v_perm_b32 v91, v93, v91, s14
	ds_read_u16 v92, v144 offset:192
	ds_read_u16 v93, v173 offset:528
	;; [unrolled: 1-line block ×4, first 2 shown]
	v_accvgpr_read_b32 v86, a0
	v_cvt_f16_f32_e32 v86, v86
	v_accvgpr_read_b32 v87, a1
	v_accvgpr_read_b32 v88, a2
	;; [unrolled: 1-line block ×3, first 2 shown]
	v_cvt_f16_f32_e32 v87, v87
	v_cvt_f16_f32_e32 v88, v88
	;; [unrolled: 1-line block ×3, first 2 shown]
	v_cvt_f32_f16_e32 v86, v86
	v_cvt_f32_f16_e32 v87, v87
	;; [unrolled: 1-line block ×4, first 2 shown]
	v_accvgpr_write_b32 a0, v86
	v_accvgpr_write_b32 a1, v87
	;; [unrolled: 1-line block ×4, first 2 shown]
	s_waitcnt lgkmcnt(0)
	v_perm_b32 v109, v103, v101, s14
	v_perm_b32 v108, v93, v92, s14
	v_mfma_f32_16x16x16f16 a[0:3], v[90:91], v[72:73], a[0:3]
	v_cvt_f32_f16_e32 v90, v228
	v_cvt_f32_f16_sdwa v91, v228 dst_sel:DWORD dst_unused:UNUSED_PAD src0_sel:WORD_1
	ds_read_u16 v92, v174 offset:16896
	ds_read_u16 v93, v175 offset:528
	;; [unrolled: 1-line block ×4, first 2 shown]
	s_nop 4
	v_accvgpr_read_b32 v86, a0
	v_accvgpr_read_b32 v87, a1
	;; [unrolled: 1-line block ×4, first 2 shown]
	v_cvt_f16_f32_e32 v86, v86
	v_cvt_f16_f32_e32 v87, v87
	;; [unrolled: 1-line block ×4, first 2 shown]
	v_pack_b32_f16 v87, v86, v87
	v_pack_b32_f16 v86, v88, v89
	v_cvt_f32_f16_e32 v88, v229
	v_cvt_f32_f16_sdwa v89, v229 dst_sel:DWORD dst_unused:UNUSED_PAD src0_sel:WORD_1
	v_accvgpr_write_b32 a0, v88
	v_accvgpr_write_b32 a1, v89
	v_accvgpr_write_b32 a2, v90
	v_accvgpr_write_b32 a3, v91
	s_nop 1
	v_mfma_f32_16x16x16f16 a[0:3], v[108:109], v[74:75], a[0:3]
	s_waitcnt lgkmcnt(0)
	v_perm_b32 v109, v103, v101, s14
	v_perm_b32 v108, v93, v92, s14
	ds_read_u16 v92, v144 offset:224
	ds_read_u16 v93, v178 offset:528
	ds_read_u16 v101, v178 offset:1056
	ds_read_u16 v103, v146 offset:224
	s_nop 3
	v_accvgpr_read_b32 v88, a0
	v_cvt_f16_f32_e32 v88, v88
	v_accvgpr_read_b32 v89, a1
	v_accvgpr_read_b32 v90, a2
	v_accvgpr_read_b32 v91, a3
	v_cvt_f16_f32_e32 v89, v89
	v_cvt_f16_f32_e32 v90, v90
	v_cvt_f16_f32_e32 v91, v91
	v_cvt_f32_f16_e32 v88, v88
	v_cvt_f32_f16_e32 v89, v89
	v_cvt_f32_f16_e32 v90, v90
	v_cvt_f32_f16_e32 v91, v91
	v_accvgpr_write_b32 a0, v88
	v_accvgpr_write_b32 a1, v89
	v_accvgpr_write_b32 a2, v90
	v_accvgpr_write_b32 a3, v91
	s_nop 1
	v_mfma_f32_16x16x16f16 a[0:3], v[108:109], v[72:73], a[0:3]
	s_waitcnt lgkmcnt(0)
	v_perm_b32 v109, v103, v101, s14
	v_perm_b32 v108, v93, v92, s14
	ds_read_u16 v92, v179 offset:16896
	ds_read_u16 v93, v180 offset:528
	ds_read_u16 v101, v181 offset:1056
	ds_read_u16 v103, v182 offset:16896
	s_nop 3
	v_accvgpr_read_b32 v88, a0
	v_accvgpr_read_b32 v89, a1
	v_cvt_f16_f32_e32 v88, v88
	v_cvt_f16_f32_e32 v89, v89
	v_accvgpr_read_b32 v90, a2
	v_accvgpr_read_b32 v91, a3
	v_cvt_f16_f32_e32 v90, v90
	v_cvt_f16_f32_e32 v91, v91
	v_pack_b32_f16 v229, v88, v89
	v_cvt_f32_f16_e32 v88, v235
	v_cvt_f32_f16_sdwa v89, v235 dst_sel:DWORD dst_unused:UNUSED_PAD src0_sel:WORD_1
	v_pack_b32_f16 v228, v90, v91
	v_cvt_f32_f16_e32 v90, v234
	v_cvt_f32_f16_sdwa v91, v234 dst_sel:DWORD dst_unused:UNUSED_PAD src0_sel:WORD_1
	v_accvgpr_write_b32 a0, v88
	v_accvgpr_write_b32 a1, v89
	v_accvgpr_write_b32 a2, v90
	v_accvgpr_write_b32 a3, v91
	s_nop 1
	v_mfma_f32_16x16x16f16 a[0:3], v[108:109], v[74:75], a[0:3]
	s_waitcnt lgkmcnt(0)
	v_perm_b32 v109, v103, v101, s14
	v_perm_b32 v108, v93, v92, s14
	ds_read_u16 v92, v144 offset:256
	ds_read_u16 v93, v183 offset:528
	ds_read_u16 v101, v183 offset:1056
	ds_read_u16 v103, v146 offset:256
	s_nop 3
	v_accvgpr_read_b32 v88, a0
	v_cvt_f16_f32_e32 v88, v88
	v_accvgpr_read_b32 v89, a1
	v_accvgpr_read_b32 v90, a2
	v_accvgpr_read_b32 v91, a3
	v_cvt_f16_f32_e32 v89, v89
	v_cvt_f16_f32_e32 v90, v90
	v_cvt_f16_f32_e32 v91, v91
	v_cvt_f32_f16_e32 v88, v88
	v_cvt_f32_f16_e32 v89, v89
	v_cvt_f32_f16_e32 v90, v90
	v_cvt_f32_f16_e32 v91, v91
	v_accvgpr_write_b32 a0, v88
	v_accvgpr_write_b32 a1, v89
	v_accvgpr_write_b32 a2, v90
	v_accvgpr_write_b32 a3, v91
	s_nop 1
	v_mfma_f32_16x16x16f16 a[0:3], v[108:109], v[72:73], a[0:3]
	s_waitcnt lgkmcnt(0)
	v_perm_b32 v109, v103, v101, s14
	v_perm_b32 v108, v93, v92, s14
	ds_read_u16 v92, v184 offset:16896
	ds_read_u16 v93, v185 offset:528
	ds_read_u16 v101, v186 offset:1056
	ds_read_u16 v103, v187 offset:16896
	s_nop 3
	v_accvgpr_read_b32 v88, a0
	v_accvgpr_read_b32 v89, a1
	v_cvt_f16_f32_e32 v88, v88
	v_cvt_f16_f32_e32 v89, v89
	v_accvgpr_read_b32 v90, a2
	v_accvgpr_read_b32 v91, a3
	v_cvt_f16_f32_e32 v90, v90
	v_cvt_f16_f32_e32 v91, v91
	v_pack_b32_f16 v235, v88, v89
	v_cvt_f32_f16_e32 v88, v237
	v_cvt_f32_f16_sdwa v89, v237 dst_sel:DWORD dst_unused:UNUSED_PAD src0_sel:WORD_1
	v_pack_b32_f16 v234, v90, v91
	v_cvt_f32_f16_e32 v90, v236
	v_cvt_f32_f16_sdwa v91, v236 dst_sel:DWORD dst_unused:UNUSED_PAD src0_sel:WORD_1
	v_accvgpr_write_b32 a0, v88
	v_accvgpr_write_b32 a1, v89
	v_accvgpr_write_b32 a2, v90
	v_accvgpr_write_b32 a3, v91
	s_nop 1
	v_mfma_f32_16x16x16f16 a[0:3], v[108:109], v[74:75], a[0:3]
	s_waitcnt lgkmcnt(0)
	v_perm_b32 v109, v103, v101, s14
	v_perm_b32 v108, v93, v92, s14
	ds_read_u16 v92, v144 offset:288
	ds_read_u16 v93, v188 offset:528
	ds_read_u16 v101, v188 offset:1056
	ds_read_u16 v103, v146 offset:288
	s_nop 3
	v_accvgpr_read_b32 v88, a0
	v_cvt_f16_f32_e32 v88, v88
	v_accvgpr_read_b32 v89, a1
	v_accvgpr_read_b32 v90, a2
	v_accvgpr_read_b32 v91, a3
	v_cvt_f16_f32_e32 v89, v89
	v_cvt_f16_f32_e32 v90, v90
	v_cvt_f16_f32_e32 v91, v91
	v_cvt_f32_f16_e32 v88, v88
	v_cvt_f32_f16_e32 v89, v89
	v_cvt_f32_f16_e32 v90, v90
	v_cvt_f32_f16_e32 v91, v91
	v_accvgpr_write_b32 a0, v88
	v_accvgpr_write_b32 a1, v89
	v_accvgpr_write_b32 a2, v90
	v_accvgpr_write_b32 a3, v91
	s_nop 1
	v_mfma_f32_16x16x16f16 a[0:3], v[108:109], v[72:73], a[0:3]
	s_waitcnt lgkmcnt(0)
	v_perm_b32 v109, v103, v101, s14
	v_perm_b32 v108, v93, v92, s14
	ds_read_u16 v92, v189 offset:16896
	ds_read_u16 v93, v190 offset:528
	ds_read_u16 v101, v191 offset:1056
	ds_read_u16 v103, v192 offset:16896
	s_nop 3
	v_accvgpr_read_b32 v88, a0
	v_accvgpr_read_b32 v89, a1
	v_cvt_f16_f32_e32 v88, v88
	v_cvt_f16_f32_e32 v89, v89
	v_accvgpr_read_b32 v90, a2
	v_accvgpr_read_b32 v91, a3
	v_cvt_f16_f32_e32 v90, v90
	v_cvt_f16_f32_e32 v91, v91
	v_pack_b32_f16 v237, v88, v89
	v_cvt_f32_f16_e32 v88, v245
	v_cvt_f32_f16_sdwa v89, v245 dst_sel:DWORD dst_unused:UNUSED_PAD src0_sel:WORD_1
	v_pack_b32_f16 v236, v90, v91
	v_cvt_f32_f16_e32 v90, v244
	v_cvt_f32_f16_sdwa v91, v244 dst_sel:DWORD dst_unused:UNUSED_PAD src0_sel:WORD_1
	v_accvgpr_write_b32 a0, v88
	v_accvgpr_write_b32 a1, v89
	;; [unrolled: 1-line block ×4, first 2 shown]
	v_cvt_f32_f16_e32 v244, v113
	v_cvt_f32_f16_sdwa v245, v113 dst_sel:DWORD dst_unused:UNUSED_PAD src0_sel:WORD_1
	v_mfma_f32_16x16x16f16 a[0:3], v[108:109], v[74:75], a[0:3]
	s_waitcnt lgkmcnt(0)
	v_perm_b32 v109, v103, v101, s14
	v_perm_b32 v108, v93, v92, s14
	s_nop 7
	v_accvgpr_read_b32 v88, a0
	v_cvt_f16_f32_e32 v88, v88
	v_accvgpr_read_b32 v89, a1
	v_accvgpr_read_b32 v90, a2
	;; [unrolled: 1-line block ×3, first 2 shown]
	v_cvt_f16_f32_e32 v89, v89
	v_cvt_f16_f32_e32 v90, v90
	;; [unrolled: 1-line block ×3, first 2 shown]
	v_cvt_f32_f16_e32 v88, v88
	v_cvt_f32_f16_e32 v89, v89
	v_cvt_f32_f16_e32 v90, v90
	v_cvt_f32_f16_e32 v91, v91
	v_accvgpr_write_b32 a0, v88
	v_accvgpr_write_b32 a1, v89
	;; [unrolled: 1-line block ×4, first 2 shown]
	s_nop 1
	v_mfma_f32_16x16x16f16 a[0:3], v[108:109], v[72:73], a[0:3]
	v_cvt_f32_f16_e32 v108, v243
	v_cvt_f32_f16_sdwa v109, v243 dst_sel:DWORD dst_unused:UNUSED_PAD src0_sel:WORD_1
	s_nop 7
	s_nop 0
	v_accvgpr_read_b32 v88, a0
	v_accvgpr_read_b32 v89, a1
	;; [unrolled: 1-line block ×4, first 2 shown]
	v_cvt_f16_f32_e32 v88, v88
	v_cvt_f16_f32_e32 v89, v89
	;; [unrolled: 1-line block ×4, first 2 shown]
	v_accvgpr_write_b32 a0, v108
	v_pack_b32_f16 v89, v88, v89
	v_accvgpr_write_b32 a1, v109
	v_pack_b32_f16 v88, v90, v91
	ds_read_u16 v90, v144 offset:320
	ds_read_u16 v92, v193 offset:528
	;; [unrolled: 1-line block ×4, first 2 shown]
	v_accvgpr_write_b32 a2, v110
	v_accvgpr_write_b32 a3, v111
	s_waitcnt lgkmcnt(2)
	v_perm_b32 v90, v92, v90, s14
	ds_read_u16 v101, v194 offset:16896
	ds_read_u16 v103, v195 offset:528
	;; [unrolled: 1-line block ×4, first 2 shown]
	s_waitcnt lgkmcnt(4)
	v_perm_b32 v91, v93, v91, s14
	s_nop 1
	v_mfma_f32_16x16x16f16 a[0:3], v[90:91], v[74:75], a[0:3]
	s_nop 7
	s_nop 2
	v_accvgpr_read_b32 v90, a0
	v_cvt_f16_f32_e32 v90, v90
	v_accvgpr_read_b32 v91, a1
	v_accvgpr_read_b32 v92, a2
	;; [unrolled: 1-line block ×3, first 2 shown]
	v_cvt_f16_f32_e32 v91, v91
	v_cvt_f16_f32_e32 v92, v92
	;; [unrolled: 1-line block ×3, first 2 shown]
	v_cvt_f32_f16_e32 v108, v90
	v_cvt_f32_f16_e32 v109, v91
	;; [unrolled: 1-line block ×4, first 2 shown]
	s_waitcnt lgkmcnt(0)
	v_perm_b32 v91, v106, v104, s14
	v_perm_b32 v90, v103, v101, s14
	v_accvgpr_write_b32 a0, v108
	v_accvgpr_write_b32 a1, v109
	v_accvgpr_write_b32 a2, v110
	v_accvgpr_write_b32 a3, v111
	v_cvt_f32_f16_e32 v108, v231
	v_cvt_f32_f16_sdwa v109, v231 dst_sel:DWORD dst_unused:UNUSED_PAD src0_sel:WORD_1
	v_mfma_f32_16x16x16f16 a[0:3], v[90:91], v[72:73], a[0:3]
	v_cvt_f32_f16_e32 v110, v230
	v_cvt_f32_f16_sdwa v111, v230 dst_sel:DWORD dst_unused:UNUSED_PAD src0_sel:WORD_1
	s_nop 7
	s_nop 0
	v_accvgpr_read_b32 v90, a0
	v_accvgpr_read_b32 v91, a1
	;; [unrolled: 1-line block ×4, first 2 shown]
	v_cvt_f16_f32_e32 v90, v90
	v_cvt_f16_f32_e32 v91, v91
	;; [unrolled: 1-line block ×4, first 2 shown]
	v_accvgpr_write_b32 a0, v108
	v_pack_b32_f16 v91, v90, v91
	v_accvgpr_write_b32 a1, v109
	v_pack_b32_f16 v90, v92, v93
	ds_read_u16 v92, v144 offset:352
	ds_read_u16 v93, v198 offset:528
	;; [unrolled: 1-line block ×4, first 2 shown]
	v_accvgpr_write_b32 a2, v110
	v_accvgpr_write_b32 a3, v111
	s_waitcnt lgkmcnt(2)
	v_perm_b32 v230, v93, v92, s14
	ds_read_u16 v104, v199 offset:16896
	ds_read_u16 v106, v200 offset:528
	;; [unrolled: 1-line block ×4, first 2 shown]
	s_waitcnt lgkmcnt(4)
	v_perm_b32 v231, v103, v101, s14
	s_nop 1
	v_mfma_f32_16x16x16f16 a[0:3], v[230:231], v[74:75], a[0:3]
	s_waitcnt lgkmcnt(0)
	v_perm_b32 v231, v116, v112, s14
	v_perm_b32 v230, v106, v104, s14
	s_nop 7
	v_accvgpr_read_b32 v92, a0
	v_cvt_f16_f32_e32 v92, v92
	v_accvgpr_read_b32 v93, a1
	v_accvgpr_read_b32 v101, a2
	;; [unrolled: 1-line block ×3, first 2 shown]
	v_cvt_f16_f32_e32 v93, v93
	v_cvt_f16_f32_e32 v101, v101
	;; [unrolled: 1-line block ×3, first 2 shown]
	v_cvt_f32_f16_e32 v108, v92
	v_cvt_f32_f16_e32 v109, v93
	;; [unrolled: 1-line block ×4, first 2 shown]
	v_accvgpr_write_b32 a0, v108
	v_accvgpr_write_b32 a1, v109
	;; [unrolled: 1-line block ×4, first 2 shown]
	v_cvt_f32_f16_e32 v108, v233
	v_cvt_f32_f16_sdwa v109, v233 dst_sel:DWORD dst_unused:UNUSED_PAD src0_sel:WORD_1
	v_mfma_f32_16x16x16f16 a[0:3], v[230:231], v[72:73], a[0:3]
	v_cvt_f32_f16_e32 v110, v232
	v_cvt_f32_f16_sdwa v111, v232 dst_sel:DWORD dst_unused:UNUSED_PAD src0_sel:WORD_1
	s_nop 7
	s_nop 0
	v_accvgpr_read_b32 v92, a0
	v_accvgpr_read_b32 v93, a1
	;; [unrolled: 1-line block ×4, first 2 shown]
	v_cvt_f16_f32_e32 v92, v92
	v_cvt_f16_f32_e32 v93, v93
	;; [unrolled: 1-line block ×4, first 2 shown]
	v_accvgpr_write_b32 a0, v108
	v_pack_b32_f16 v231, v92, v93
	v_accvgpr_write_b32 a1, v109
	v_pack_b32_f16 v230, v101, v103
	ds_read_u16 v92, v144 offset:384
	ds_read_u16 v93, v203 offset:528
	;; [unrolled: 1-line block ×4, first 2 shown]
	v_accvgpr_write_b32 a2, v110
	v_accvgpr_write_b32 a3, v111
	s_waitcnt lgkmcnt(2)
	v_perm_b32 v232, v93, v92, s14
	ds_read_u16 v104, v204 offset:16896
	ds_read_u16 v106, v205 offset:528
	;; [unrolled: 1-line block ×4, first 2 shown]
	s_waitcnt lgkmcnt(4)
	v_perm_b32 v233, v103, v101, s14
	s_nop 1
	v_mfma_f32_16x16x16f16 a[0:3], v[232:233], v[74:75], a[0:3]
	s_waitcnt lgkmcnt(0)
	v_perm_b32 v233, v116, v112, s14
	v_perm_b32 v232, v106, v104, s14
	s_nop 7
	v_accvgpr_read_b32 v92, a0
	v_cvt_f16_f32_e32 v92, v92
	v_accvgpr_read_b32 v93, a1
	v_accvgpr_read_b32 v101, a2
	;; [unrolled: 1-line block ×3, first 2 shown]
	v_cvt_f16_f32_e32 v93, v93
	v_cvt_f16_f32_e32 v101, v101
	;; [unrolled: 1-line block ×3, first 2 shown]
	v_cvt_f32_f16_e32 v108, v92
	v_cvt_f32_f16_e32 v109, v93
	;; [unrolled: 1-line block ×4, first 2 shown]
	v_accvgpr_write_b32 a0, v108
	v_accvgpr_write_b32 a1, v109
	;; [unrolled: 1-line block ×4, first 2 shown]
	v_cvt_f32_f16_e32 v108, v238
	v_cvt_f32_f16_sdwa v109, v238 dst_sel:DWORD dst_unused:UNUSED_PAD src0_sel:WORD_1
	v_mfma_f32_16x16x16f16 a[0:3], v[232:233], v[72:73], a[0:3]
	v_cvt_f32_f16_e32 v110, v107
	v_cvt_f32_f16_sdwa v111, v107 dst_sel:DWORD dst_unused:UNUSED_PAD src0_sel:WORD_1
	s_nop 7
	s_nop 0
	v_accvgpr_read_b32 v92, a0
	v_accvgpr_read_b32 v93, a1
	;; [unrolled: 1-line block ×4, first 2 shown]
	v_cvt_f16_f32_e32 v92, v92
	v_cvt_f16_f32_e32 v93, v93
	;; [unrolled: 1-line block ×4, first 2 shown]
	v_accvgpr_write_b32 a0, v108
	v_pack_b32_f16 v233, v92, v93
	v_accvgpr_write_b32 a1, v109
	v_pack_b32_f16 v232, v101, v103
	ds_read_u16 v93, v144 offset:416
	ds_read_u16 v103, v208 offset:528
	;; [unrolled: 1-line block ×4, first 2 shown]
	v_accvgpr_write_b32 a2, v110
	v_accvgpr_write_b32 a3, v111
	s_waitcnt lgkmcnt(2)
	v_perm_b32 v242, v103, v93, s14
	s_waitcnt lgkmcnt(0)
	v_perm_b32 v243, v92, v104, s14
	ds_read_u16 v104, v209 offset:16896
	ds_read_u16 v106, v210 offset:528
	;; [unrolled: 1-line block ×4, first 2 shown]
	v_mfma_f32_16x16x16f16 a[0:3], v[242:243], v[74:75], a[0:3]
	s_waitcnt lgkmcnt(0)
	v_perm_b32 v243, v112, v107, s14
	v_perm_b32 v242, v106, v104, s14
	s_nop 7
	v_accvgpr_read_b32 v92, a0
	v_cvt_f16_f32_e32 v92, v92
	v_accvgpr_read_b32 v93, a1
	v_accvgpr_read_b32 v101, a2
	;; [unrolled: 1-line block ×3, first 2 shown]
	v_cvt_f16_f32_e32 v93, v93
	v_cvt_f16_f32_e32 v101, v101
	;; [unrolled: 1-line block ×3, first 2 shown]
	v_cvt_f32_f16_e32 v108, v92
	v_cvt_f32_f16_e32 v109, v93
	;; [unrolled: 1-line block ×4, first 2 shown]
	v_accvgpr_write_b32 a0, v108
	v_accvgpr_write_b32 a1, v109
	;; [unrolled: 1-line block ×4, first 2 shown]
	s_nop 1
	v_mfma_f32_16x16x16f16 a[0:3], v[242:243], v[72:73], a[0:3]
	v_cvt_f32_f16_e32 v242, v239
	v_cvt_f32_f16_sdwa v243, v239 dst_sel:DWORD dst_unused:UNUSED_PAD src0_sel:WORD_1
	s_nop 7
	s_nop 0
	v_accvgpr_read_b32 v92, a0
	v_accvgpr_read_b32 v93, a1
	;; [unrolled: 1-line block ×4, first 2 shown]
	v_cvt_f16_f32_e32 v92, v92
	v_cvt_f16_f32_e32 v93, v93
	;; [unrolled: 1-line block ×4, first 2 shown]
	v_accvgpr_write_b32 a0, v242
	v_pack_b32_f16 v238, v92, v93
	v_accvgpr_write_b32 a1, v243
	v_pack_b32_f16 v109, v101, v103
	ds_read_u16 v92, v144 offset:448
	ds_read_u16 v93, v213 offset:528
	ds_read_u16 v101, v213 offset:1056
	ds_read_u16 v103, v146 offset:448
	v_accvgpr_write_b32 a2, v244
	v_accvgpr_write_b32 a3, v245
	s_waitcnt lgkmcnt(2)
	v_perm_b32 v110, v93, v92, s14
	ds_read_u16 v104, v214 offset:16896
	ds_read_u16 v106, v215 offset:528
	;; [unrolled: 1-line block ×4, first 2 shown]
	s_waitcnt lgkmcnt(4)
	v_perm_b32 v111, v103, v101, s14
	s_nop 1
	v_mfma_f32_16x16x16f16 a[0:3], v[110:111], v[74:75], a[0:3]
	s_waitcnt lgkmcnt(0)
	v_perm_b32 v111, v108, v107, s14
	v_perm_b32 v110, v106, v104, s14
	s_nop 7
	v_accvgpr_read_b32 v92, a0
	v_cvt_f16_f32_e32 v92, v92
	v_accvgpr_read_b32 v93, a1
	v_accvgpr_read_b32 v101, a2
	;; [unrolled: 1-line block ×3, first 2 shown]
	v_cvt_f16_f32_e32 v93, v93
	v_cvt_f16_f32_e32 v101, v101
	;; [unrolled: 1-line block ×3, first 2 shown]
	v_cvt_f32_f16_e32 v242, v92
	v_cvt_f32_f16_e32 v243, v93
	v_cvt_f32_f16_e32 v244, v101
	v_cvt_f32_f16_e32 v245, v103
	v_accvgpr_write_b32 a0, v242
	v_accvgpr_write_b32 a1, v243
	;; [unrolled: 1-line block ×4, first 2 shown]
	v_cvt_f32_f16_e32 v242, v241
	v_cvt_f32_f16_sdwa v243, v241 dst_sel:DWORD dst_unused:UNUSED_PAD src0_sel:WORD_1
	v_mfma_f32_16x16x16f16 a[0:3], v[110:111], v[72:73], a[0:3]
	v_cvt_f32_f16_e32 v244, v240
	v_cvt_f32_f16_sdwa v245, v240 dst_sel:DWORD dst_unused:UNUSED_PAD src0_sel:WORD_1
	s_nop 7
	s_nop 0
	v_accvgpr_read_b32 v92, a0
	v_accvgpr_read_b32 v93, a1
	v_accvgpr_read_b32 v101, a2
	v_accvgpr_read_b32 v103, a3
	v_cvt_f16_f32_e32 v92, v92
	v_cvt_f16_f32_e32 v93, v93
	;; [unrolled: 1-line block ×4, first 2 shown]
	v_accvgpr_write_b32 a0, v242
	v_pack_b32_f16 v239, v92, v93
	v_accvgpr_write_b32 a1, v243
	v_pack_b32_f16 v113, v101, v103
	ds_read_u16 v92, v144 offset:480
	ds_read_u16 v93, v218 offset:528
	;; [unrolled: 1-line block ×4, first 2 shown]
	v_accvgpr_write_b32 a2, v244
	v_accvgpr_write_b32 a3, v245
	s_waitcnt lgkmcnt(2)
	v_perm_b32 v110, v93, v92, s14
	s_waitcnt lgkmcnt(0)
	v_perm_b32 v111, v103, v101, s14
	ds_read_u16 v101, v219 offset:16896
	ds_read_u16 v103, v220 offset:528
	;; [unrolled: 1-line block ×4, first 2 shown]
	v_mfma_f32_16x16x16f16 a[0:3], v[110:111], v[74:75], a[0:3]
	s_waitcnt lgkmcnt(0)
	s_barrier
	s_nop 7
	s_nop 0
	v_accvgpr_read_b32 v74, a0
	v_cvt_f16_f32_e32 v74, v74
	v_accvgpr_read_b32 v75, a1
	v_accvgpr_read_b32 v92, a2
	;; [unrolled: 1-line block ×3, first 2 shown]
	v_cvt_f16_f32_e32 v75, v75
	v_cvt_f16_f32_e32 v92, v92
	;; [unrolled: 1-line block ×3, first 2 shown]
	v_cvt_f32_f16_e32 v240, v74
	v_cvt_f32_f16_e32 v241, v75
	;; [unrolled: 1-line block ×4, first 2 shown]
	v_perm_b32 v75, v106, v104, s14
	v_perm_b32 v74, v103, v101, s14
	v_accvgpr_write_b32 a0, v240
	v_accvgpr_write_b32 a1, v241
	;; [unrolled: 1-line block ×4, first 2 shown]
	s_nop 1
	v_mfma_f32_16x16x16f16 a[0:3], v[74:75], v[72:73], a[0:3]
	s_nop 7
	s_nop 2
	v_accvgpr_read_b32 v72, a0
	v_accvgpr_read_b32 v73, a1
	;; [unrolled: 1-line block ×4, first 2 shown]
	v_cvt_f16_f32_e32 v72, v72
	v_cvt_f16_f32_e32 v73, v73
	;; [unrolled: 1-line block ×4, first 2 shown]
	v_pack_b32_f16 v73, v72, v73
	v_pack_b32_f16 v72, v74, v75
	s_cbranch_vccnz .LBB29_316
; %bb.317:
	v_accvgpr_read_b32 v148, a6
	v_accvgpr_read_b32 v111, a7
	;; [unrolled: 1-line block ×15, first 2 shown]
.LBB29_318:
	s_lshl_b32 s4, s74, 6
	s_ashr_i32 s5, s4, 31
	s_lshl_b64 s[12:13], s[4:5], 1
	s_add_u32 s0, s10, s12
	s_addc_u32 s2, s11, s13
	v_mov_b32_e32 v74, s2
	v_add_co_u32_e32 v75, vcc, s0, v129
	s_mul_i32 s0, s34, s5
	s_mul_hi_u32 s2, s34, s4
	v_addc_co_u32_e32 v74, vcc, 0, v74, vcc
	v_lshlrev_b64 v[50:51], 1, v[50:51]
	s_add_i32 s0, s2, s0
	s_mul_i32 s2, s3, s4
	v_add_co_u32_e32 v50, vcc, v75, v50
	s_add_i32 s3, s0, s2
	s_mul_i32 s2, s34, s4
	v_addc_co_u32_e32 v51, vcc, v74, v51, vcc
	v_lshlrev_b64 v[52:53], 1, v[52:53]
	s_lshl_b64 s[2:3], s[2:3], 2
	v_add_co_u32_e32 v52, vcc, v75, v52
	s_add_u32 s0, s8, s2
	v_addc_co_u32_e32 v53, vcc, v74, v53, vcc
	global_load_dword v74, v[50:51], off
	global_load_dword v75, v[52:53], off
	s_addc_u32 s2, s9, s3
	v_lshlrev_b64 v[50:51], 2, v[54:55]
	v_mov_b32_e32 v52, s2
	v_add_co_u32_e32 v53, vcc, s0, v50
	v_addc_co_u32_e32 v54, vcc, v52, v51, vcc
	v_lshlrev_b64 v[50:51], 2, v[48:49]
	v_add_co_u32_e32 v52, vcc, v53, v50
	v_addc_co_u32_e32 v53, vcc, v54, v51, vcc
	v_lshlrev_b64 v[54:55], 2, v[56:57]
	v_mov_b32_e32 v49, s2
	v_add_co_u32_e32 v54, vcc, s0, v54
	v_addc_co_u32_e32 v49, vcc, v49, v55, vcc
	v_add_co_u32_e32 v56, vcc, v54, v50
	v_addc_co_u32_e32 v57, vcc, v49, v51, vcc
	global_load_dwordx4 v[52:55], v[52:53], off
	s_nop 0
	global_load_dwordx4 v[130:133], v[56:57], off
	v_lshlrev_b64 v[56:57], 2, v[58:59]
	v_mov_b32_e32 v49, s2
	v_add_co_u32_e32 v56, vcc, s0, v56
	v_addc_co_u32_e32 v49, vcc, v49, v57, vcc
	v_add_co_u32_e32 v56, vcc, v56, v50
	v_addc_co_u32_e32 v57, vcc, v49, v51, vcc
	v_lshlrev_b64 v[58:59], 2, v[60:61]
	v_mov_b32_e32 v49, s2
	v_add_co_u32_e32 v58, vcc, s0, v58
	v_addc_co_u32_e32 v49, vcc, v49, v59, vcc
	v_add_co_u32_e32 v60, vcc, v58, v50
	v_addc_co_u32_e32 v61, vcc, v49, v51, vcc
	global_load_dwordx4 v[56:59], v[56:57], off
	s_nop 0
	global_load_dwordx4 v[134:137], v[60:61], off
	v_lshlrev_b64 v[60:61], 2, v[62:63]
	v_mov_b32_e32 v49, s2
	v_add_co_u32_e32 v60, vcc, s0, v60
	v_addc_co_u32_e32 v49, vcc, v49, v61, vcc
	;; [unrolled: 15-line block ×3, first 2 shown]
	v_add_co_u32_e32 v64, vcc, v64, v50
	v_addc_co_u32_e32 v65, vcc, v49, v51, vcc
	v_lshlrev_b64 v[68:69], 2, v[68:69]
	v_mov_b32_e32 v49, s2
	v_add_co_u32_e32 v68, vcc, s0, v68
	v_addc_co_u32_e32 v49, vcc, v49, v69, vcc
	v_add_co_u32_e32 v68, vcc, v68, v50
	v_addc_co_u32_e32 v69, vcc, v49, v51, vcc
	global_load_dwordx4 v[64:67], v[64:65], off
	v_add_u32_e32 v49, 0, v129
	global_load_dwordx4 v[142:145], v[68:69], off
	v_add_u32_e32 v68, v49, v105
	s_waitcnt vmcnt(9)
	ds_write_b32 v68, v74 offset:33792
	v_lshlrev_b32_e32 v68, 2, v48
	v_add_u32_e32 v49, v49, v104
	v_add3_u32 v48, 0, v98, v68
	s_waitcnt vmcnt(8)
	ds_write_b32 v49, v75 offset:33792
	v_add3_u32 v49, 0, v106, v68
	v_cmp_lt_i32_e32 vcc, v124, v115
	s_mov_b32 s3, 0x3fb8aa3b
	s_mov_b32 s0, 0xc2ce8ed0
	;; [unrolled: 1-line block ×3, first 2 shown]
	v_mov_b32_e32 v74, 0x7f800000
	s_mul_i32 s5, s30, s5
	s_waitcnt vmcnt(7)
	ds_write_b128 v48, v[52:55]
	v_add3_u32 v52, 0, v107, v68
	s_waitcnt vmcnt(6)
	ds_write_b128 v49, v[130:133]
	v_add3_u32 v53, 0, v108, v68
	v_add3_u32 v54, 0, v110, v68
	;; [unrolled: 1-line block ×3, first 2 shown]
	s_mul_hi_u32 s8, s30, s4
	s_add_i32 s5, s8, s5
	s_mul_i32 s1, s1, s4
	s_add_i32 s5, s5, s1
	s_mul_i32 s4, s30, s4
	s_lshl_b64 s[4:5], s[4:5], 2
	s_add_u32 s1, s6, s4
	s_addc_u32 s4, s7, s5
	s_waitcnt vmcnt(5)
	ds_write_b128 v52, v[56:59]
	v_add_u32_e32 v58, 0, v101
	s_waitcnt vmcnt(4)
	ds_write_b128 v53, v[134:137]
	v_add3_u32 v56, 0, v119, v68
	v_add3_u32 v57, 0, v125, v68
	s_waitcnt vmcnt(3)
	ds_write_b128 v54, v[60:63]
	v_add3_u32 v62, v58, v103, v127
	s_waitcnt vmcnt(2)
	ds_write_b128 v55, v[138:141]
	v_add_u32_e32 v63, 0x4000, v62
	s_waitcnt vmcnt(1)
	ds_write_b128 v56, v[64:67]
	s_waitcnt vmcnt(0)
	ds_write_b128 v57, v[142:145]
	s_waitcnt lgkmcnt(0)
	s_barrier
	ds_read2_b64 v[58:61], v62 offset1:4
	s_waitcnt lgkmcnt(0)
	v_mfma_f32_16x16x16f16 a[0:3], v[58:59], v[28:29], 0
	v_mfma_f32_16x16x16f16 a[0:3], v[60:61], v[30:31], a[0:3]
	ds_read2_b64 v[58:61], v62 offset0:8 offset1:12
	s_waitcnt lgkmcnt(0)
	v_mfma_f32_16x16x16f16 a[0:3], v[58:59], v[24:25], a[0:3]
	v_mfma_f32_16x16x16f16 a[0:3], v[60:61], v[26:27], a[0:3]
	ds_read2_b64 v[58:61], v62 offset0:16 offset1:20
	;; [unrolled: 4-line block ×5, first 2 shown]
	ds_read2_b64 v[28:31], v62 offset0:32 offset1:36
	s_waitcnt lgkmcnt(1)
	v_mfma_f32_16x16x16f16 a[4:7], v[58:59], v[24:25], a[4:7]
	v_mfma_f32_16x16x16f16 a[4:7], v[60:61], v[26:27], a[4:7]
	ds_read2_b64 v[24:27], v63 offset0:80 offset1:84
	s_waitcnt lgkmcnt(0)
	v_mfma_f32_16x16x16f16 a[4:7], v[24:25], v[20:21], a[4:7]
	v_mov_b32_e32 v24, s4
	v_mfma_f32_16x16x16f16 a[4:7], v[26:27], v[22:23], a[4:7]
	ds_read2_b64 v[20:23], v63 offset0:88 offset1:92
	s_waitcnt lgkmcnt(0)
	v_mfma_f32_16x16x16f16 a[4:7], v[20:21], v[16:17], a[4:7]
	v_mov_b32_e32 v20, s4
	v_mfma_f32_16x16x16f16 a[4:7], v[22:23], v[18:19], a[4:7]
	ds_read2_b64 v[16:19], v63 offset0:96 offset1:100
	v_mov_b32_e32 v22, s4
	v_mfma_f32_16x16x16f16 a[0:3], v[28:29], v[12:13], a[0:3]
	s_waitcnt lgkmcnt(0)
	v_mfma_f32_16x16x16f16 a[4:7], v[16:17], v[12:13], a[4:7]
	v_mfma_f32_16x16x16f16 a[0:3], v[30:31], v[14:15], a[0:3]
	;; [unrolled: 1-line block ×3, first 2 shown]
	ds_read2_b64 v[12:15], v62 offset0:40 offset1:44
	ds_read2_b64 v[16:19], v63 offset0:104 offset1:108
	s_waitcnt lgkmcnt(1)
	v_mfma_f32_16x16x16f16 a[0:3], v[12:13], v[8:9], a[0:3]
	v_mfma_f32_16x16x16f16 a[0:3], v[14:15], v[10:11], a[0:3]
	ds_read2_b64 v[12:15], v62 offset0:48 offset1:52
	s_waitcnt lgkmcnt(0)
	v_mfma_f32_16x16x16f16 a[0:3], v[12:13], v[4:5], a[0:3]
	v_mfma_f32_16x16x16f16 a[4:7], v[16:17], v[8:9], a[4:7]
	;; [unrolled: 1-line block ×3, first 2 shown]
	ds_read2_b64 v[12:15], v62 offset0:56 offset1:60
	v_mfma_f32_16x16x16f16 a[4:7], v[18:19], v[10:11], a[4:7]
	ds_read2_b64 v[8:11], v63 offset0:112 offset1:116
	v_mov_b32_e32 v18, s4
	s_waitcnt lgkmcnt(1)
	v_mfma_f32_16x16x16f16 a[0:3], v[12:13], v[0:1], a[0:3]
	s_waitcnt lgkmcnt(0)
	v_mfma_f32_16x16x16f16 a[4:7], v[8:9], v[4:5], a[4:7]
	v_mfma_f32_16x16x16f16 a[0:3], v[14:15], v[2:3], a[0:3]
	ds_read2_b64 v[12:15], v63 offset0:120 offset1:124
	s_waitcnt lgkmcnt(0)
	s_barrier
	v_mfma_f32_16x16x16f16 a[4:7], v[10:11], v[6:7], a[4:7]
	v_add_u32_e32 v6, 0, v120
	v_lshl_add_u32 v7, v121, 2, v6
	s_nop 4
	v_accvgpr_read_b32 v5, a3
	v_accvgpr_read_b32 v4, a2
	v_mfma_f32_16x16x16f16 a[2:5], v[12:13], v[0:1], a[4:7]
	v_lshl_add_u32 v0, v122, 2, v6
	v_lshl_add_u32 v1, v123, 2, v6
	;; [unrolled: 1-line block ×3, first 2 shown]
	ds_read_b32 v11, v7 offset:33792
	ds_read_b32 v9, v0 offset:33792
	;; [unrolled: 1-line block ×4, first 2 shown]
	s_waitcnt lgkmcnt(2)
	v_cvt_f32_f16_e32 v8, v9
	v_mfma_f32_16x16x16f16 a[2:5], v[14:15], v[2:3], a[2:5]
	s_waitcnt lgkmcnt(0)
	v_cvt_f32_f16_e32 v2, v6
	v_cvt_f32_f16_sdwa v3, v6 dst_sel:DWORD dst_unused:UNUSED_PAD src0_sel:WORD_1
	v_cvt_f32_f16_sdwa v9, v9 dst_sel:DWORD dst_unused:UNUSED_PAD src0_sel:WORD_1
	v_cndmask_b32_e32 v6, v114, v124, vcc
	v_lshlrev_b32_e32 v10, 2, v6
	v_cmp_lt_i32_e32 vcc, v117, v115
	s_nop 3
	v_accvgpr_read_b32 v1, a5
	v_accvgpr_read_b32 v0, a4
	v_pk_add_f32 v[0:1], v[0:1], v[2:3]
	v_cvt_f32_f16_e32 v2, v7
	v_cvt_f32_f16_sdwa v3, v7 dst_sel:DWORD dst_unused:UNUSED_PAD src0_sel:WORD_1
	v_accvgpr_read_b32 v7, a3
	v_accvgpr_read_b32 v6, a2
	v_add_f32_e32 v12, 0x40051340, v0
	v_pk_add_f32 v[2:3], v[6:7], v[2:3]
	v_pk_add_f32 v[6:7], v[4:5], v[8:9]
	v_cvt_f32_f16_e32 v4, v11
	v_cvt_f32_f16_sdwa v5, v11 dst_sel:DWORD dst_unused:UNUSED_PAD src0_sel:WORD_1
	v_accvgpr_read_b32 v9, a1
	v_accvgpr_read_b32 v8, a0
	v_add_f32_e32 v11, 0x40051340, v6
	v_pk_add_f32 v[8:9], v[8:9], v[4:5]
	v_add_f32_e32 v4, 0x40051340, v8
	v_add_f32_e32 v5, 0x40051340, v9
	;; [unrolled: 1-line block ×3, first 2 shown]
	v_max3_f32 v4, v70, v4, v5
	v_add_f32_e32 v14, 0x40051340, v2
	v_add_f32_e32 v15, 0x40051340, v3
	v_max3_f32 v4, v4, v11, v16
	v_add_f32_e32 v13, 0x40051340, v1
	v_max3_f32 v4, v4, v14, v15
	v_max3_f32 v4, v4, v12, v13
	ds_bpermute_b32 v11, v10, v4
	v_cndmask_b32_e32 v5, v114, v117, vcc
	v_lshlrev_b32_e32 v5, 2, v5
	v_mov_b32_e32 v16, s4
	s_waitcnt lgkmcnt(0)
	v_max_f32_e32 v11, v11, v11
	v_max_f32_e32 v4, v4, v11
	ds_bpermute_b32 v11, v5, v4
	s_waitcnt lgkmcnt(0)
	v_max_f32_e32 v11, v11, v11
	v_max_f32_e32 v4, v4, v11
	v_pk_add_f32 v[8:9], v[8:9], v[4:5] op_sel_hi:[1,0] neg_lo:[0,1] neg_hi:[0,1]
	v_mul_f32_e32 v11, 0x3fb8aa3b, v9
	v_fma_f32 v12, v9, s3, -v11
	v_rndne_f32_e32 v13, v11
	v_fmac_f32_e32 v12, 0x32a5705f, v9
	v_sub_f32_e32 v11, v11, v13
	v_add_f32_e32 v11, v11, v12
	v_exp_f32_e32 v11, v11
	v_cvt_i32_f32_e32 v12, v13
	v_cmp_ngt_f32_e32 vcc, s0, v9
	v_pk_add_f32 v[6:7], v[6:7], v[4:5] op_sel_hi:[1,0] neg_lo:[0,1] neg_hi:[0,1]
	v_pk_add_f32 v[2:3], v[2:3], v[4:5] op_sel_hi:[1,0] neg_lo:[0,1] neg_hi:[0,1]
	v_ldexp_f32 v11, v11, v12
	v_mul_f32_e32 v12, 0x3fb8aa3b, v8
	v_fma_f32 v13, v8, s3, -v12
	v_rndne_f32_e32 v14, v12
	v_fmac_f32_e32 v13, 0x32a5705f, v8
	v_sub_f32_e32 v12, v12, v14
	v_add_f32_e32 v12, v12, v13
	v_exp_f32_e32 v12, v12
	v_cvt_i32_f32_e32 v13, v14
	v_cndmask_b32_e32 v11, 0, v11, vcc
	v_cmp_nlt_f32_e32 vcc, s2, v9
	v_cndmask_b32_e32 v11, v74, v11, vcc
	v_ldexp_f32 v9, v12, v13
	v_mul_f32_e32 v12, 0x3fb8aa3b, v7
	v_fma_f32 v13, v7, s3, -v12
	v_rndne_f32_e32 v14, v12
	v_fmac_f32_e32 v13, 0x32a5705f, v7
	v_sub_f32_e32 v12, v12, v14
	v_add_f32_e32 v12, v12, v13
	v_exp_f32_e32 v13, v12
	v_cvt_i32_f32_e32 v14, v14
	v_cmp_ngt_f32_e32 vcc, s0, v8
	v_cndmask_b32_e32 v9, 0, v9, vcc
	v_cmp_nlt_f32_e32 vcc, s2, v8
	v_cndmask_b32_e32 v12, v74, v9, vcc
	v_mul_f32_e32 v9, 0x3fb8aa3b, v6
	v_ldexp_f32 v8, v13, v14
	v_fma_f32 v13, v6, s3, -v9
	v_rndne_f32_e32 v14, v9
	v_fmac_f32_e32 v13, 0x32a5705f, v6
	v_sub_f32_e32 v9, v9, v14
	v_add_f32_e32 v9, v9, v13
	v_exp_f32_e32 v9, v9
	v_cvt_i32_f32_e32 v14, v14
	v_cmp_ngt_f32_e32 vcc, s0, v7
	v_cndmask_b32_e32 v8, 0, v8, vcc
	v_cmp_nlt_f32_e32 vcc, s2, v7
	v_cndmask_b32_e32 v13, v74, v8, vcc
	v_mul_f32_e32 v8, 0x3fb8aa3b, v3
	v_ldexp_f32 v7, v9, v14
	v_fma_f32 v9, v3, s3, -v8
	v_rndne_f32_e32 v14, v8
	v_fmac_f32_e32 v9, 0x32a5705f, v3
	v_sub_f32_e32 v8, v8, v14
	v_add_f32_e32 v8, v8, v9
	v_exp_f32_e32 v8, v8
	v_cvt_i32_f32_e32 v9, v14
	v_cmp_ngt_f32_e32 vcc, s0, v6
	v_cndmask_b32_e32 v7, 0, v7, vcc
	v_cmp_nlt_f32_e32 vcc, s2, v6
	v_cndmask_b32_e32 v14, v74, v7, vcc
	v_lshlrev_b64 v[6:7], 2, v[32:33]
	v_ldexp_f32 v15, v8, v9
	v_mov_b32_e32 v8, s4
	v_add_co_u32_e32 v6, vcc, s1, v6
	v_addc_co_u32_e32 v7, vcc, v8, v7, vcc
	v_add_co_u32_e32 v6, vcc, v6, v50
	v_addc_co_u32_e32 v7, vcc, v7, v51, vcc
	v_lshlrev_b64 v[8:9], 2, v[34:35]
	v_add_co_u32_e32 v8, vcc, s1, v8
	v_addc_co_u32_e32 v9, vcc, v16, v9, vcc
	v_add_co_u32_e32 v8, vcc, v8, v50
	v_addc_co_u32_e32 v9, vcc, v9, v51, vcc
	v_lshlrev_b64 v[16:17], 2, v[36:37]
	;; [unrolled: 5-line block ×7, first 2 shown]
	v_add_co_u32_e32 v22, vcc, s1, v22
	v_addc_co_u32_e32 v23, vcc, v24, v23, vcc
	v_add_co_u32_e32 v46, vcc, v22, v50
	v_addc_co_u32_e32 v47, vcc, v23, v51, vcc
	global_load_dwordx4 v[22:25], v[6:7], off
	global_load_dwordx4 v[26:29], v[8:9], off
	global_load_dwordx4 v[30:33], v[16:17], off
	global_load_dwordx4 v[34:37], v[18:19], off
	global_load_dwordx4 v[38:41], v[20:21], off
	global_load_dwordx4 v[42:45], v[66:67], off
	global_load_dwordx4 v[58:61], v[68:69], off
	global_load_dwordx4 v[62:65], v[46:47], off
	v_mul_f32_e32 v6, 0x3fb8aa3b, v2
	v_fma_f32 v7, v2, s3, -v6
	v_rndne_f32_e32 v8, v6
	v_fmac_f32_e32 v7, 0x32a5705f, v2
	v_sub_f32_e32 v6, v6, v8
	v_add_f32_e32 v6, v6, v7
	v_exp_f32_e32 v6, v6
	v_cvt_i32_f32_e32 v7, v8
	v_cmp_ngt_f32_e32 vcc, s0, v3
	v_pk_add_f32 v[0:1], v[0:1], v[4:5] op_sel_hi:[1,0] neg_lo:[0,1] neg_hi:[0,1]
	v_cndmask_b32_e32 v8, 0, v15, vcc
	v_cmp_nlt_f32_e32 vcc, s2, v3
	v_ldexp_f32 v3, v6, v7
	v_mul_f32_e32 v6, 0x3fb8aa3b, v1
	v_cndmask_b32_e32 v15, v74, v8, vcc
	v_fma_f32 v7, v1, s3, -v6
	v_rndne_f32_e32 v8, v6
	v_fmac_f32_e32 v7, 0x32a5705f, v1
	v_sub_f32_e32 v6, v6, v8
	v_add_f32_e32 v6, v6, v7
	v_exp_f32_e32 v6, v6
	v_cvt_i32_f32_e32 v7, v8
	v_cmp_ngt_f32_e32 vcc, s0, v2
	v_cndmask_b32_e32 v3, 0, v3, vcc
	v_cmp_nlt_f32_e32 vcc, s2, v2
	v_cndmask_b32_e32 v17, v74, v3, vcc
	v_mul_f32_e32 v3, 0x3fb8aa3b, v0
	v_ldexp_f32 v2, v6, v7
	v_fma_f32 v6, v0, s3, -v3
	v_rndne_f32_e32 v7, v3
	v_fmac_f32_e32 v6, 0x32a5705f, v0
	v_sub_f32_e32 v3, v3, v7
	v_add_f32_e32 v3, v3, v6
	v_cvt_i32_f32_e32 v6, v7
	v_sub_f32_e32 v7, v70, v4
	v_mul_f32_e32 v8, 0x3fb8aa3b, v7
	v_fma_f32 v9, v7, s3, -v8
	v_rndne_f32_e32 v16, v8
	v_fmac_f32_e32 v9, 0x32a5705f, v7
	v_sub_f32_e32 v8, v8, v16
	v_add_f32_e32 v8, v8, v9
	v_exp_f32_e32 v8, v8
	v_cvt_i32_f32_e32 v9, v16
	v_cmp_ngt_f32_e32 vcc, s0, v1
	v_cndmask_b32_e32 v2, 0, v2, vcc
	v_exp_f32_e32 v3, v3
	v_cmp_nlt_f32_e32 vcc, s2, v1
	v_cndmask_b32_e32 v18, v74, v2, vcc
	v_ldexp_f32 v2, v8, v9
	v_cmp_ngt_f32_e32 vcc, s0, v7
	v_cndmask_b32_e32 v2, 0, v2, vcc
	v_cmp_nlt_f32_e32 vcc, s2, v7
	s_mov_b32 s1, 0xc1a00000
	v_cndmask_b32_e32 v2, v74, v2, vcc
	v_cmp_le_f32_e32 vcc, s1, v7
	v_ldexp_f32 v1, v3, v6
	v_cndmask_b32_e32 v16, 0, v2, vcc
	v_cmp_ngt_f32_e32 vcc, s0, v0
	v_cndmask_b32_e32 v1, 0, v1, vcc
	v_cmp_nlt_f32_e32 vcc, s2, v0
	v_cvt_f16_f32_e32 v0, v11
	v_cvt_f16_f32_e32 v2, v12
	;; [unrolled: 1-line block ×5, first 2 shown]
	v_pack_b32_f16 v6, v2, v0
	s_waitcnt vmcnt(7)
	ds_write_b128 v48, v[22:25]
	s_waitcnt vmcnt(6)
	ds_write_b128 v49, v[26:29]
	;; [unrolled: 2-line block ×8, first 2 shown]
	v_add_u32_e32 v0, 0, v102
	v_lshlrev_b32_e32 v27, 1, v93
	v_pk_mul_f16 v8, v20, v80 op_sel_hi:[0,1]
	v_lshlrev_b32_e32 v25, 1, v100
	v_add_u32_e32 v24, v0, v27
	v_cndmask_b32_e32 v19, v74, v1, vcc
	v_pk_mul_f16 v1, v20, v82 op_sel_hi:[0,1]
	v_pack_b32_f16 v7, v7, v3
	s_waitcnt lgkmcnt(0)
	s_barrier
	v_add_u32_e32 v22, v0, v25
	v_add3_u32 v23, v0, v97, v95
	v_cvt_f32_f16_e32 v2, v8
	v_cvt_f32_f16_sdwa v3, v8 dst_sel:DWORD dst_unused:UNUSED_PAD src0_sel:WORD_1
	s_mov_b32 s0, 0x5040100
	ds_read_u16 v8, v24
	ds_read_u16 v29, v24 offset:32
	ds_read_u16 v32, v24 offset:64
	;; [unrolled: 1-line block ×7, first 2 shown]
	ds_read_u16 v9, v23
	ds_read_u16 v38, v23 offset:32
	ds_read_u16 v39, v23 offset:64
	;; [unrolled: 1-line block ×7, first 2 shown]
	v_add3_u32 v21, v0, v96, v95
	v_cvt_f32_f16_e32 v0, v1
	s_waitcnt lgkmcnt(7)
	v_perm_b32 v9, v9, v8, s0
	ds_read_u16 v8, v22
	ds_read_u16 v45, v22 offset:32
	ds_read_u16 v48, v22 offset:64
	;; [unrolled: 1-line block ×15, first 2 shown]
	v_cvt_f32_f16_sdwa v1, v1 dst_sel:DWORD dst_unused:UNUSED_PAD src0_sel:WORD_1
	s_waitcnt lgkmcnt(7)
	v_perm_b32 v8, v26, v8, s0
	v_accvgpr_write_b32 a0, v0
	v_accvgpr_write_b32 a2, v2
	v_accvgpr_write_b32 a1, v1
	v_accvgpr_write_b32 a3, v3
	v_pk_mul_f16 v46, v20, v83 op_sel_hi:[0,1]
	v_cvt_f16_f32_e32 v47, v15
	v_mfma_f32_16x16x16f16 a[0:3], v[8:9], v[6:7], a[0:3]
	v_add_u32_e32 v8, 0, v92
	v_add_u32_e32 v28, v8, v27
	;; [unrolled: 1-line block ×3, first 2 shown]
	v_add3_u32 v25, v8, v96, v95
	v_add3_u32 v27, v8, v97, v95
	ds_read_u16 v8, v28
	ds_read_u16 v64, v28 offset:32
	ds_read_u16 v65, v28 offset:64
	;; [unrolled: 1-line block ×7, first 2 shown]
	ds_read_u16 v9, v27
	ds_read_u16 v74, v27 offset:32
	ds_read_u16 v75, v27 offset:64
	;; [unrolled: 1-line block ×7, first 2 shown]
	v_cvt_f16_f32_e32 v61, v17
	v_accvgpr_read_b32 v0, a0
	v_cvt_f16_f32_e32 v0, v0
	v_accvgpr_read_b32 v1, a1
	v_accvgpr_read_b32 v2, a2
	;; [unrolled: 1-line block ×3, first 2 shown]
	v_cvt_f16_f32_e32 v1, v1
	v_cvt_f16_f32_e32 v2, v2
	;; [unrolled: 1-line block ×3, first 2 shown]
	v_cvt_f32_f16_e32 v0, v0
	v_cvt_f16_f32_e32 v62, v18
	v_cvt_f16_f32_e32 v63, v19
	v_cvt_f32_f16_e32 v1, v1
	v_cvt_f32_f16_e32 v2, v2
	;; [unrolled: 1-line block ×3, first 2 shown]
	s_waitcnt lgkmcnt(7)
	v_perm_b32 v31, v9, v8, s0
	ds_read_u16 v8, v26
	ds_read_u16 v95, v26 offset:32
	ds_read_u16 v96, v26 offset:64
	ds_read_u16 v97, v26 offset:96
	ds_read_u16 v98, v26 offset:128
	ds_read_u16 v100, v26 offset:160
	ds_read_u16 v101, v26 offset:192
	ds_read_u16 v102, v26 offset:224
	ds_read_u16 v9, v25 offset:528
	ds_read_u16 v103, v25 offset:560
	ds_read_u16 v104, v25 offset:592
	ds_read_u16 v105, v25 offset:624
	ds_read_u16 v106, v25 offset:656
	ds_read_u16 v107, v25 offset:688
	ds_read_u16 v108, v25 offset:720
	ds_read_u16 v110, v25 offset:752
	s_waitcnt lgkmcnt(7)
	v_perm_b32 v30, v9, v8, s0
	v_pk_mul_f16 v76, v20, v76 op_sel_hi:[0,1]
	v_accvgpr_write_b32 a0, v0
	v_pack_b32_f16 v8, v61, v47
	v_pack_b32_f16 v9, v63, v62
	v_accvgpr_write_b32 a1, v1
	v_accvgpr_write_b32 a2, v2
	;; [unrolled: 1-line block ×3, first 2 shown]
	v_cvt_f32_f16_sdwa v3, v76 dst_sel:DWORD dst_unused:UNUSED_PAD src0_sel:WORD_1
	v_cvt_f32_f16_e32 v0, v46
	v_mfma_f32_16x16x16f16 a[0:3], v[30:31], v[8:9], a[0:3]
	v_cvt_f32_f16_sdwa v1, v46 dst_sel:DWORD dst_unused:UNUSED_PAD src0_sel:WORD_1
	v_cvt_f32_f16_e32 v2, v76
	v_perm_b32 v31, v38, v29, s0
	v_perm_b32 v30, v54, v45, s0
	v_accvgpr_write_b32 a7, v3
	v_accvgpr_write_b32 a6, v2
	;; [unrolled: 1-line block ×4, first 2 shown]
	v_pk_mul_f16 v38, v20, v77 op_sel_hi:[0,1]
	v_pk_mul_f16 v29, v20, v78 op_sel_hi:[0,1]
	v_mfma_f32_16x16x16f16 a[4:7], v[30:31], v[6:7], a[4:7]
	v_perm_b32 v31, v74, v64, s0
	s_waitcnt lgkmcnt(6)
	v_perm_b32 v30, v103, v95, s0
	v_add_f32_e32 v11, v12, v11
	v_add_f32_e32 v11, v14, v11
	;; [unrolled: 1-line block ×4, first 2 shown]
	v_pk_mul_f16 v17, v20, v72 op_sel_hi:[0,1]
	v_pk_mul_f16 v14, v20, v73 op_sel_hi:[0,1]
	v_add_f32_e32 v11, v15, v11
	v_add_f32_e32 v11, v19, v11
	;; [unrolled: 1-line block ×3, first 2 shown]
	v_accvgpr_read_b32 v3, a7
	v_accvgpr_read_b32 v0, a4
	v_accvgpr_read_b32 v1, a5
	v_accvgpr_read_b32 v2, a6
	v_cvt_f16_f32_e32 v3, v3
	v_cvt_f16_f32_e32 v0, v0
	;; [unrolled: 1-line block ×4, first 2 shown]
	v_cvt_f32_f16_e32 v3, v3
	v_cvt_f32_f16_e32 v0, v0
	;; [unrolled: 1-line block ×4, first 2 shown]
	v_accvgpr_write_b32 a7, v3
	v_accvgpr_write_b32 a4, v0
	v_accvgpr_write_b32 a5, v1
	v_accvgpr_write_b32 a6, v2
	v_cvt_f32_f16_sdwa v3, v38 dst_sel:DWORD dst_unused:UNUSED_PAD src0_sel:WORD_1
	v_cvt_f32_f16_e32 v0, v29
	v_mfma_f32_16x16x16f16 a[4:7], v[30:31], v[8:9], a[4:7]
	v_cvt_f32_f16_sdwa v1, v29 dst_sel:DWORD dst_unused:UNUSED_PAD src0_sel:WORD_1
	v_cvt_f32_f16_e32 v2, v38
	v_perm_b32 v31, v39, v32, s0
	v_perm_b32 v30, v55, v48, s0
	v_accvgpr_write_b32 a11, v3
	v_accvgpr_write_b32 a10, v2
	;; [unrolled: 1-line block ×4, first 2 shown]
	v_pk_mul_f16 v32, v20, v79 op_sel_hi:[0,1]
	v_pk_mul_f16 v29, v20, v81 op_sel_hi:[0,1]
	v_mfma_f32_16x16x16f16 a[8:11], v[30:31], v[6:7], a[8:11]
	v_perm_b32 v31, v75, v65, s0
	s_waitcnt lgkmcnt(5)
	v_perm_b32 v30, v104, v96, s0
	v_fmac_f32_e32 v11, v99, v16
	ds_bpermute_b32 v10, v10, v11
	s_nop 5
	v_accvgpr_read_b32 v3, a11
	v_accvgpr_read_b32 v0, a8
	v_accvgpr_read_b32 v1, a9
	v_accvgpr_read_b32 v2, a10
	v_cvt_f16_f32_e32 v3, v3
	v_cvt_f16_f32_e32 v0, v0
	v_cvt_f16_f32_e32 v1, v1
	v_cvt_f16_f32_e32 v2, v2
	v_cvt_f32_f16_e32 v3, v3
	v_cvt_f32_f16_e32 v0, v0
	v_cvt_f32_f16_e32 v1, v1
	v_cvt_f32_f16_e32 v2, v2
	v_accvgpr_write_b32 a11, v3
	v_accvgpr_write_b32 a8, v0
	v_accvgpr_write_b32 a9, v1
	v_accvgpr_write_b32 a10, v2
	v_cvt_f32_f16_sdwa v3, v32 dst_sel:DWORD dst_unused:UNUSED_PAD src0_sel:WORD_1
	v_cvt_f32_f16_e32 v0, v29
	v_mfma_f32_16x16x16f16 a[8:11], v[30:31], v[8:9], a[8:11]
	v_cvt_f32_f16_sdwa v1, v29 dst_sel:DWORD dst_unused:UNUSED_PAD src0_sel:WORD_1
	v_cvt_f32_f16_e32 v2, v32
	v_perm_b32 v31, v40, v33, s0
	v_perm_b32 v30, v56, v49, s0
	v_accvgpr_write_b32 a15, v3
	v_accvgpr_write_b32 a14, v2
	v_accvgpr_write_b32 a13, v1
	v_accvgpr_write_b32 a12, v0
	v_pk_mul_f16 v32, v20, v84 op_sel_hi:[0,1]
	v_pk_mul_f16 v29, v20, v85 op_sel_hi:[0,1]
	v_mfma_f32_16x16x16f16 a[12:15], v[30:31], v[6:7], a[12:15]
	v_perm_b32 v31, v80, v66, s0
	s_waitcnt lgkmcnt(5)
	v_perm_b32 v30, v105, v97, s0
	s_nop 7
	v_accvgpr_read_b32 v3, a15
	v_accvgpr_read_b32 v0, a12
	v_accvgpr_read_b32 v1, a13
	v_accvgpr_read_b32 v2, a14
	v_cvt_f16_f32_e32 v3, v3
	v_cvt_f16_f32_e32 v0, v0
	v_cvt_f16_f32_e32 v1, v1
	v_cvt_f16_f32_e32 v2, v2
	v_cvt_f32_f16_e32 v3, v3
	v_cvt_f32_f16_e32 v0, v0
	v_cvt_f32_f16_e32 v1, v1
	v_cvt_f32_f16_e32 v2, v2
	v_accvgpr_write_b32 a15, v3
	v_accvgpr_write_b32 a12, v0
	v_accvgpr_write_b32 a13, v1
	v_accvgpr_write_b32 a14, v2
	v_cvt_f32_f16_sdwa v3, v32 dst_sel:DWORD dst_unused:UNUSED_PAD src0_sel:WORD_1
	v_cvt_f32_f16_e32 v0, v29
	v_mfma_f32_16x16x16f16 a[12:15], v[30:31], v[8:9], a[12:15]
	v_cvt_f32_f16_sdwa v1, v29 dst_sel:DWORD dst_unused:UNUSED_PAD src0_sel:WORD_1
	v_cvt_f32_f16_e32 v2, v32
	v_perm_b32 v31, v41, v34, s0
	v_perm_b32 v30, v57, v50, s0
	v_accvgpr_write_b32 a19, v3
	v_accvgpr_write_b32 a18, v2
	v_accvgpr_write_b32 a17, v1
	v_accvgpr_write_b32 a16, v0
	v_pk_mul_f16 v32, v20, v86 op_sel_hi:[0,1]
	v_pk_mul_f16 v29, v20, v87 op_sel_hi:[0,1]
	v_mfma_f32_16x16x16f16 a[16:19], v[30:31], v[6:7], a[16:19]
	v_perm_b32 v31, v82, v67, s0
	s_waitcnt lgkmcnt(4)
	v_perm_b32 v30, v106, v98, s0
	;; [unrolled: 34-line block ×3, first 2 shown]
	v_pk_mul_f16 v83, v20, v88 op_sel_hi:[0,1]
	s_nop 6
	v_accvgpr_read_b32 v3, a23
	v_accvgpr_read_b32 v0, a20
	;; [unrolled: 1-line block ×4, first 2 shown]
	v_cvt_f16_f32_e32 v3, v3
	v_cvt_f16_f32_e32 v0, v0
	v_cvt_f16_f32_e32 v1, v1
	v_cvt_f16_f32_e32 v2, v2
	v_cvt_f32_f16_e32 v3, v3
	v_cvt_f32_f16_e32 v0, v0
	;; [unrolled: 1-line block ×4, first 2 shown]
	v_accvgpr_write_b32 a23, v3
	v_accvgpr_write_b32 a20, v0
	;; [unrolled: 1-line block ×4, first 2 shown]
	v_cvt_f32_f16_sdwa v3, v32 dst_sel:DWORD dst_unused:UNUSED_PAD src0_sel:WORD_1
	v_cvt_f32_f16_e32 v0, v29
	v_mfma_f32_16x16x16f16 a[20:23], v[30:31], v[8:9], a[20:23]
	v_cvt_f32_f16_sdwa v1, v29 dst_sel:DWORD dst_unused:UNUSED_PAD src0_sel:WORD_1
	v_cvt_f32_f16_e32 v2, v32
	v_perm_b32 v31, v43, v36, s0
	v_perm_b32 v30, v59, v52, s0
	v_accvgpr_write_b32 a27, v3
	v_accvgpr_write_b32 a26, v2
	;; [unrolled: 1-line block ×4, first 2 shown]
	v_pk_mul_f16 v32, v20, v234 op_sel_hi:[0,1]
	v_pk_mul_f16 v29, v20, v235 op_sel_hi:[0,1]
	v_mfma_f32_16x16x16f16 a[24:27], v[30:31], v[6:7], a[24:27]
	v_perm_b32 v31, v92, v69, s0
	s_waitcnt lgkmcnt(2)
	v_perm_b32 v30, v108, v101, s0
	s_nop 7
	v_accvgpr_read_b32 v3, a27
	v_accvgpr_read_b32 v0, a24
	;; [unrolled: 1-line block ×4, first 2 shown]
	v_cvt_f16_f32_e32 v3, v3
	v_cvt_f16_f32_e32 v0, v0
	;; [unrolled: 1-line block ×4, first 2 shown]
	v_cvt_f32_f16_e32 v3, v3
	v_cvt_f32_f16_e32 v0, v0
	;; [unrolled: 1-line block ×4, first 2 shown]
	v_accvgpr_write_b32 a27, v3
	v_accvgpr_write_b32 a24, v0
	;; [unrolled: 1-line block ×4, first 2 shown]
	v_cvt_f32_f16_sdwa v3, v32 dst_sel:DWORD dst_unused:UNUSED_PAD src0_sel:WORD_1
	v_cvt_f32_f16_e32 v0, v29
	v_mfma_f32_16x16x16f16 a[24:27], v[30:31], v[8:9], a[24:27]
	v_cvt_f32_f16_sdwa v1, v29 dst_sel:DWORD dst_unused:UNUSED_PAD src0_sel:WORD_1
	v_cvt_f32_f16_e32 v2, v32
	v_perm_b32 v31, v44, v37, s0
	v_perm_b32 v30, v60, v53, s0
	v_accvgpr_write_b32 a31, v3
	v_accvgpr_write_b32 a30, v2
	v_accvgpr_write_b32 a29, v1
	v_accvgpr_write_b32 a28, v0
	v_pk_mul_f16 v29, v20, v237 op_sel_hi:[0,1]
	v_pk_mul_f16 v32, v20, v236 op_sel_hi:[0,1]
	v_mfma_f32_16x16x16f16 a[28:31], v[30:31], v[6:7], a[28:31]
	v_perm_b32 v31, v93, v70, s0
	s_waitcnt lgkmcnt(1)
	v_perm_b32 v30, v110, v102, s0
	s_nop 7
	v_accvgpr_read_b32 v3, a31
	v_accvgpr_read_b32 v0, a28
	;; [unrolled: 1-line block ×4, first 2 shown]
	v_cvt_f16_f32_e32 v3, v3
	v_cvt_f16_f32_e32 v0, v0
	;; [unrolled: 1-line block ×4, first 2 shown]
	v_cvt_f32_f16_e32 v3, v3
	v_cvt_f32_f16_e32 v0, v0
	;; [unrolled: 1-line block ×4, first 2 shown]
	v_accvgpr_write_b32 a31, v3
	v_accvgpr_write_b32 a28, v0
	;; [unrolled: 1-line block ×4, first 2 shown]
	v_cvt_f32_f16_e32 v0, v29
	v_cvt_f32_f16_sdwa v1, v29 dst_sel:DWORD dst_unused:UNUSED_PAD src0_sel:WORD_1
	v_mfma_f32_16x16x16f16 a[28:31], v[30:31], v[8:9], a[28:31]
	v_cvt_f32_f16_e32 v2, v32
	v_cvt_f32_f16_sdwa v3, v32 dst_sel:DWORD dst_unused:UNUSED_PAD src0_sel:WORD_1
	ds_read_u16 v29, v24 offset:256
	ds_read_u16 v30, v24 offset:288
	;; [unrolled: 1-line block ×16, first 2 shown]
	s_waitcnt lgkmcnt(7)
	v_perm_b32 v23, v36, v29, s0
	ds_read_u16 v29, v22 offset:256
	ds_read_u16 v36, v22 offset:288
	;; [unrolled: 1-line block ×16, first 2 shown]
	s_waitcnt lgkmcnt(7)
	v_perm_b32 v22, v22, v29, s0
	v_accvgpr_write_b32 a35, v3
	v_accvgpr_write_b32 a34, v2
	;; [unrolled: 1-line block ×4, first 2 shown]
	s_nop 1
	v_mfma_f32_16x16x16f16 a[32:35], v[22:23], v[6:7], a[32:35]
	ds_read_u16 v22, v28 offset:256
	ds_read_u16 v29, v28 offset:288
	;; [unrolled: 1-line block ×16, first 2 shown]
	s_waitcnt lgkmcnt(7)
	v_perm_b32 v23, v23, v22, s0
	ds_read_u16 v22, v26 offset:256
	ds_read_u16 v67, v26 offset:288
	ds_read_u16 v68, v26 offset:320
	ds_read_u16 v69, v26 offset:352
	ds_read_u16 v70, v26 offset:384
	ds_read_u16 v74, v26 offset:416
	ds_read_u16 v75, v26 offset:448
	ds_read_u16 v26, v26 offset:480
	ds_read_u16 v76, v25 offset:784
	ds_read_u16 v77, v25 offset:816
	ds_read_u16 v78, v25 offset:848
	ds_read_u16 v79, v25 offset:880
	ds_read_u16 v80, v25 offset:912
	ds_read_u16 v81, v25 offset:944
	ds_read_u16 v82, v25 offset:976
	ds_read_u16 v25, v25 offset:1008
	s_waitcnt lgkmcnt(7)
	v_perm_b32 v22, v76, v22, s0
	v_pk_mul_f16 v76, v20, v89 op_sel_hi:[0,1]
	v_perm_b32 v13, v66, v60, s0
	s_waitcnt lgkmcnt(1)
	v_perm_b32 v12, v82, v75, s0
	v_accvgpr_read_b32 v3, a35
	v_accvgpr_read_b32 v0, a32
	;; [unrolled: 1-line block ×4, first 2 shown]
	v_cvt_f16_f32_e32 v3, v3
	v_cvt_f16_f32_e32 v0, v0
	;; [unrolled: 1-line block ×4, first 2 shown]
	v_cvt_f32_f16_e32 v3, v3
	v_cvt_f32_f16_e32 v0, v0
	;; [unrolled: 1-line block ×4, first 2 shown]
	v_accvgpr_write_b32 a35, v3
	v_accvgpr_write_b32 a32, v0
	;; [unrolled: 1-line block ×4, first 2 shown]
	v_cvt_f32_f16_sdwa v3, v83 dst_sel:DWORD dst_unused:UNUSED_PAD src0_sel:WORD_1
	v_cvt_f32_f16_e32 v0, v76
	v_mfma_f32_16x16x16f16 a[32:35], v[22:23], v[8:9], a[32:35]
	v_cvt_f32_f16_sdwa v1, v76 dst_sel:DWORD dst_unused:UNUSED_PAD src0_sel:WORD_1
	v_cvt_f32_f16_e32 v2, v83
	v_perm_b32 v23, v37, v30, s0
	v_perm_b32 v22, v50, v36, s0
	v_accvgpr_write_b32 a39, v3
	v_accvgpr_write_b32 a38, v2
	;; [unrolled: 1-line block ×4, first 2 shown]
	v_pk_mul_f16 v30, v20, v90 op_sel_hi:[0,1]
	s_waitcnt lgkmcnt(0)
	v_mfma_f32_16x16x16f16 a[36:39], v[22:23], v[6:7], a[36:39]
	v_perm_b32 v23, v61, v29, s0
	v_perm_b32 v22, v77, v67, s0
	v_pk_mul_f16 v29, v20, v91 op_sel_hi:[0,1]
	s_barrier
	s_nop 6
	v_accvgpr_read_b32 v3, a39
	v_accvgpr_read_b32 v0, a36
	v_accvgpr_read_b32 v1, a37
	v_accvgpr_read_b32 v2, a38
	v_cvt_f16_f32_e32 v3, v3
	v_cvt_f16_f32_e32 v0, v0
	v_cvt_f16_f32_e32 v1, v1
	v_cvt_f16_f32_e32 v2, v2
	v_cvt_f32_f16_e32 v3, v3
	v_cvt_f32_f16_e32 v0, v0
	v_cvt_f32_f16_e32 v1, v1
	v_cvt_f32_f16_e32 v2, v2
	v_accvgpr_write_b32 a39, v3
	v_accvgpr_write_b32 a36, v0
	v_accvgpr_write_b32 a37, v1
	v_accvgpr_write_b32 a38, v2
	v_cvt_f32_f16_sdwa v3, v30 dst_sel:DWORD dst_unused:UNUSED_PAD src0_sel:WORD_1
	v_cvt_f32_f16_e32 v0, v29
	v_mfma_f32_16x16x16f16 a[36:39], v[22:23], v[8:9], a[36:39]
	v_cvt_f32_f16_sdwa v1, v29 dst_sel:DWORD dst_unused:UNUSED_PAD src0_sel:WORD_1
	v_cvt_f32_f16_e32 v2, v30
	v_perm_b32 v23, v38, v31, s0
	v_perm_b32 v22, v51, v44, s0
	v_accvgpr_write_b32 a43, v3
	v_accvgpr_write_b32 a42, v2
	v_accvgpr_write_b32 a41, v1
	v_accvgpr_write_b32 a40, v0
	v_pk_mul_f16 v30, v20, v230 op_sel_hi:[0,1]
	v_pk_mul_f16 v29, v20, v231 op_sel_hi:[0,1]
	v_mfma_f32_16x16x16f16 a[40:43], v[22:23], v[6:7], a[40:43]
	v_perm_b32 v23, v62, v56, s0
	v_perm_b32 v22, v78, v68, s0
	s_nop 7
	s_nop 0
	v_accvgpr_read_b32 v3, a43
	v_accvgpr_read_b32 v0, a40
	v_accvgpr_read_b32 v1, a41
	v_accvgpr_read_b32 v2, a42
	v_cvt_f16_f32_e32 v3, v3
	v_cvt_f16_f32_e32 v0, v0
	v_cvt_f16_f32_e32 v1, v1
	v_cvt_f16_f32_e32 v2, v2
	v_cvt_f32_f16_e32 v3, v3
	v_cvt_f32_f16_e32 v0, v0
	v_cvt_f32_f16_e32 v1, v1
	v_cvt_f32_f16_e32 v2, v2
	v_accvgpr_write_b32 a43, v3
	v_accvgpr_write_b32 a40, v0
	v_accvgpr_write_b32 a41, v1
	v_accvgpr_write_b32 a42, v2
	v_cvt_f32_f16_sdwa v3, v30 dst_sel:DWORD dst_unused:UNUSED_PAD src0_sel:WORD_1
	v_cvt_f32_f16_e32 v0, v29
	v_mfma_f32_16x16x16f16 a[40:43], v[22:23], v[8:9], a[40:43]
	v_cvt_f32_f16_sdwa v1, v29 dst_sel:DWORD dst_unused:UNUSED_PAD src0_sel:WORD_1
	v_cvt_f32_f16_e32 v2, v30
	v_perm_b32 v23, v39, v32, s0
	v_perm_b32 v22, v52, v45, s0
	v_accvgpr_write_b32 a47, v3
	v_accvgpr_write_b32 a46, v2
	v_accvgpr_write_b32 a45, v1
	v_accvgpr_write_b32 a44, v0
	v_pk_mul_f16 v30, v20, v232 op_sel_hi:[0,1]
	v_pk_mul_f16 v29, v20, v233 op_sel_hi:[0,1]
	v_mfma_f32_16x16x16f16 a[44:47], v[22:23], v[6:7], a[44:47]
	v_perm_b32 v23, v63, v57, s0
	v_perm_b32 v22, v79, v69, s0
	s_nop 7
	;; [unrolled: 34-line block ×4, first 2 shown]
	s_nop 0
	v_accvgpr_read_b32 v3, a55
	v_accvgpr_read_b32 v0, a52
	;; [unrolled: 1-line block ×4, first 2 shown]
	v_cvt_f16_f32_e32 v3, v3
	v_cvt_f16_f32_e32 v0, v0
	;; [unrolled: 1-line block ×4, first 2 shown]
	v_cvt_f32_f16_e32 v3, v3
	v_cvt_f32_f16_e32 v0, v0
	v_cvt_f32_f16_e32 v1, v1
	v_cvt_f32_f16_e32 v2, v2
	v_accvgpr_write_b32 a55, v3
	v_accvgpr_write_b32 a52, v0
	;; [unrolled: 1-line block ×4, first 2 shown]
	v_cvt_f32_f16_sdwa v3, v30 dst_sel:DWORD dst_unused:UNUSED_PAD src0_sel:WORD_1
	v_cvt_f32_f16_e32 v0, v29
	v_mfma_f32_16x16x16f16 a[52:55], v[22:23], v[8:9], a[52:55]
	v_cvt_f32_f16_sdwa v1, v29 dst_sel:DWORD dst_unused:UNUSED_PAD src0_sel:WORD_1
	v_cvt_f32_f16_e32 v2, v30
	v_perm_b32 v23, v42, v35, s0
	v_perm_b32 v22, v55, v48, s0
	v_accvgpr_write_b32 a59, v3
	v_accvgpr_write_b32 a58, v2
	;; [unrolled: 1-line block ×4, first 2 shown]
	s_nop 1
	v_mfma_f32_16x16x16f16 a[56:59], v[22:23], v[6:7], a[56:59]
	s_nop 7
	s_nop 2
	v_accvgpr_read_b32 v3, a59
	v_accvgpr_read_b32 v0, a56
	;; [unrolled: 1-line block ×4, first 2 shown]
	v_cvt_f16_f32_e32 v3, v3
	v_cvt_f16_f32_e32 v0, v0
	;; [unrolled: 1-line block ×4, first 2 shown]
	v_cvt_f32_f16_e32 v3, v3
	v_cvt_f32_f16_e32 v0, v0
	;; [unrolled: 1-line block ×4, first 2 shown]
	v_accvgpr_write_b32 a59, v3
	v_accvgpr_write_b32 a56, v0
	;; [unrolled: 1-line block ×4, first 2 shown]
	v_cvt_f32_f16_sdwa v3, v17 dst_sel:DWORD dst_unused:UNUSED_PAD src0_sel:WORD_1
	v_cvt_f32_f16_e32 v0, v14
	v_mfma_f32_16x16x16f16 a[56:59], v[12:13], v[8:9], a[56:59]
	v_cvt_f32_f16_sdwa v1, v14 dst_sel:DWORD dst_unused:UNUSED_PAD src0_sel:WORD_1
	v_cvt_f32_f16_e32 v2, v17
	v_perm_b32 v13, v43, v24, s0
	v_perm_b32 v12, v21, v49, s0
	v_accvgpr_write_b32 a63, v3
	v_accvgpr_write_b32 a62, v2
	v_accvgpr_write_b32 a61, v1
	v_accvgpr_write_b32 a60, v0
	s_nop 1
	v_mfma_f32_16x16x16f16 a[60:63], v[12:13], v[6:7], a[60:63]
	v_perm_b32 v7, v27, v28, s0
	v_perm_b32 v6, v25, v26, s0
	v_cmp_gt_u32_e64 s[0:1], 16, v71
	s_nop 7
	v_accvgpr_read_b32 v3, a63
	v_accvgpr_read_b32 v0, a60
	;; [unrolled: 1-line block ×4, first 2 shown]
	v_cvt_f16_f32_e32 v3, v3
	v_cvt_f16_f32_e32 v0, v0
	;; [unrolled: 1-line block ×4, first 2 shown]
	v_cvt_f32_f16_e32 v3, v3
	v_cvt_f32_f16_e32 v0, v0
	;; [unrolled: 1-line block ×4, first 2 shown]
	v_accvgpr_write_b32 a63, v3
	v_accvgpr_write_b32 a60, v0
	;; [unrolled: 1-line block ×4, first 2 shown]
	v_add_f32_e32 v0, v11, v10
	ds_bpermute_b32 v1, v5, v0
	v_mfma_f32_16x16x16f16 a[60:63], v[6:7], v[8:9], a[60:63]
	s_and_saveexec_b64 s[2:3], s[0:1]
	s_cbranch_execz .LBB29_320
; %bb.319:
	s_waitcnt lgkmcnt(0)
	v_add_f32_e32 v0, v0, v1
	v_or_b32_e32 v1, v94, v71
	s_movk_i32 s4, 0x210
	v_mad_i32_i24 v1, v1, s4, 0
	ds_write2_b32 v1, v4, v0 offset0:128 offset1:129
.LBB29_320:
	s_or_b64 exec, exec, s[2:3]
	v_cmp_eq_u32_e32 vcc, 0, v149
	v_cmp_ne_u32_e64 s[2:3], 0, v149
	s_waitcnt lgkmcnt(0)
	s_barrier
	s_and_saveexec_b64 s[4:5], s[2:3]
	s_xor_b64 s[2:3], exec, s[4:5]
	s_cbranch_execz .LBB29_322
; %bb.321:
	s_barrier
	s_waitcnt lgkmcnt(0)
                                        ; implicit-def: $vgpr112
                                        ; implicit-def: $vgpr5
.LBB29_322:
	s_andn2_saveexec_b64 s[4:5], s[2:3]
	s_cbranch_execz .LBB29_328
; %bb.323:
	v_and_b32_e32 v0, 31, v71
	v_add_u32_e32 v1, v94, v0
	s_movk_i32 s2, 0x210
	v_mad_i32_i24 v0, v1, s2, 0
	ds_read_b64 v[6:7], v0 offset:512
	s_mov_b32 s2, 0x3fb8aa3b
	s_mov_b32 s6, 0x42b17218
	s_waitcnt lgkmcnt(0)
	s_barrier
	ds_bpermute_b32 v0, v5, v6
	v_max_f32_e32 v2, v6, v6
	s_waitcnt lgkmcnt(0)
	v_max_f32_e32 v0, v0, v0
	v_max_f32_e32 v0, v2, v0
	v_sub_f32_e32 v2, v6, v0
	v_mul_f32_e32 v3, 0x3fb8aa3b, v2
	v_fma_f32 v4, v2, s2, -v3
	v_rndne_f32_e32 v6, v3
	v_fmac_f32_e32 v4, 0x32a5705f, v2
	v_sub_f32_e32 v3, v3, v6
	v_add_f32_e32 v3, v3, v4
	v_cvt_i32_f32_e32 v6, v6
	v_exp_f32_e32 v3, v3
	s_mov_b32 s2, 0xc2ce8ed0
	v_cmp_ngt_f32_e64 s[2:3], s2, v2
	v_mov_b32_e32 v4, 0x7f800000
	v_ldexp_f32 v3, v3, v6
	v_cndmask_b32_e64 v3, 0, v3, s[2:3]
	v_cmp_nlt_f32_e64 s[2:3], s6, v2
	v_cndmask_b32_e64 v2, v4, v3, s[2:3]
	v_mul_f32_e32 v3, v7, v2
	ds_bpermute_b32 v3, v5, v3
	v_cmp_gt_u32_e64 s[2:3], 32, v71
	s_waitcnt lgkmcnt(0)
	v_fmac_f32_e32 v3, v7, v2
	s_and_saveexec_b64 s[8:9], s[2:3]
	s_cbranch_execz .LBB29_325
; %bb.324:
	v_mul_i32_i24_e32 v1, 0x210, v1
	v_add_u32_e32 v1, 0, v1
	ds_write_b64 v1, v[2:3] offset:512
.LBB29_325:
	s_or_b64 exec, exec, s[8:9]
	s_and_saveexec_b64 s[2:3], s[0:1]
	s_cbranch_execz .LBB29_327
; %bb.326:
	s_add_i32 s0, s35, s49
	s_lshl_b32 s0, s0, 5
	s_mov_b32 s1, 0
	s_lshl_b64 s[0:1], s[0:1], 3
	s_add_u32 s0, s26, s0
	v_or_b32_e32 v1, v112, v71
	s_addc_u32 s1, s27, s1
	v_lshlrev_b32_e32 v2, 3, v1
	v_mov_b32_e32 v1, v3
	global_store_dwordx2 v2, v[0:1], s[0:1]
.LBB29_327:
	s_or_b64 exec, exec, s[2:3]
.LBB29_328:
	s_or_b64 exec, exec, s[4:5]
	v_accvgpr_read_b32 v0, a60
	v_accvgpr_read_b32 v1, a61
	v_accvgpr_read_b32 v63, a3
	v_cvt_f16_f32_e32 v0, v0
	v_cvt_f16_f32_e32 v1, v1
	v_accvgpr_read_b32 v62, a2
	v_accvgpr_read_b32 v61, a1
	;; [unrolled: 1-line block ×61, first 2 shown]
	v_cvt_f16_f32_e32 v60, v60
	v_cvt_f16_f32_e32 v61, v61
	;; [unrolled: 1-line block ×62, first 2 shown]
	v_pack_b32_f16 v0, v0, v1
	v_or_b32_e32 v1, v94, v116
	s_movk_i32 s0, 0x84
	v_mad_i32_i24 v1, v1, s0, v146
	v_pack_b32_f16 v62, v62, v63
	v_pack_b32_f16 v60, v60, v61
	s_mov_b32 s3, 0
	v_lshl_add_u32 v1, v1, 2, 0
	v_pack_b32_f16 v58, v58, v59
	v_pack_b32_f16 v56, v56, v57
	;; [unrolled: 1-line block ×29, first 2 shown]
	ds_write2_b32 v1, v60, v62 offset1:1
	ds_write2_b32 v1, v56, v58 offset0:8 offset1:9
	ds_write2_b32 v1, v52, v54 offset0:16 offset1:17
	;; [unrolled: 1-line block ×15, first 2 shown]
	s_waitcnt lgkmcnt(0)
	s_barrier
	s_and_saveexec_b64 s[0:1], vcc
	s_cbranch_execz .LBB29_330
; %bb.329:
	s_lshl_b32 s2, s35, 6
	s_lshl_b64 s[4:5], s[2:3], 3
	v_bfe_u32 v1, v111, 1, 4
	s_movk_i32 s2, 0x3e0
	s_add_u32 s6, s26, s4
	v_and_or_b32 v0, v111, s2, v1
	s_movk_i32 s4, 0x210
	v_mad_u32_u24 v4, v0, s4, 0
	v_lshlrev_b32_e32 v0, 2, v71
	v_add_u32_e32 v6, v4, v0
	ds_read2st64_b32 v[2:3], v6 offset1:1
	ds_read2st64_b32 v[4:5], v4 offset0:2 offset1:35
	ds_read2st64_b32 v[6:7], v6 offset0:33 offset1:34
	s_addc_u32 s5, s27, s5
	s_lshl_b32 s2, s49, 12
	s_lshl_b64 s[2:3], s[2:3], 3
	s_waitcnt lgkmcnt(2)
	v_cvt_f32_f16_e32 v8, v2
	v_cvt_f32_f16_sdwa v9, v2 dst_sel:DWORD dst_unused:UNUSED_PAD src0_sel:WORD_1
	s_waitcnt lgkmcnt(0)
	v_cvt_f32_f16_e32 v10, v6
	v_cvt_f32_f16_sdwa v11, v6 dst_sel:DWORD dst_unused:UNUSED_PAD src0_sel:WORD_1
	s_add_u32 s2, s6, s2
	v_pk_fma_f32 v[8:9], v[4:5], v[8:9], 0 op_sel_hi:[0,1,0]
	v_mov_b32_e32 v2, v5
	v_cvt_f32_f16_e32 v12, v3
	v_cvt_f32_f16_sdwa v13, v3 dst_sel:DWORD dst_unused:UNUSED_PAD src0_sel:WORD_1
	v_add_u32_e32 v17, 2, v148
	s_addc_u32 s3, s5, s3
	v_pk_fma_f32 v[8:9], v[2:3], v[10:11], v[8:9] op_sel_hi:[0,1,1]
	v_lshlrev_b32_e32 v3, 1, v17
	v_and_b32_e32 v6, 15, v17
	s_movk_i32 s5, 0x7e0
	v_and_or_b32 v3, v3, s5, v6
	v_lshlrev_b32_e32 v14, 6, v111
	v_mad_u32_u24 v3, v3, s4, 0
	v_add_lshl_u32 v16, v71, v14, 3
	v_pk_fma_f32 v[4:5], v[4:5], v[12:13], 0 op_sel_hi:[0,1,0]
	v_add_u32_e32 v12, v3, v0
	global_store_dwordx2 v16, v[8:9], s[2:3]
	ds_read2st64_b32 v[8:9], v12 offset1:1
	ds_read2st64_b32 v[10:11], v3 offset0:2 offset1:35
	ds_read2st64_b32 v[12:13], v12 offset0:33 offset1:34
	v_cvt_f32_f16_e32 v6, v7
	v_cvt_f32_f16_sdwa v7, v7 dst_sel:DWORD dst_unused:UNUSED_PAD src0_sel:WORD_1
	s_waitcnt lgkmcnt(2)
	v_cvt_f32_f16_e32 v14, v8
	v_cvt_f32_f16_sdwa v15, v8 dst_sel:DWORD dst_unused:UNUSED_PAD src0_sel:WORD_1
	v_pk_fma_f32 v[2:3], v[2:3], v[6:7], v[4:5] op_sel_hi:[0,1,1]
	s_waitcnt lgkmcnt(0)
	v_cvt_f32_f16_e32 v4, v12
	v_cvt_f32_f16_sdwa v5, v12 dst_sel:DWORD dst_unused:UNUSED_PAD src0_sel:WORD_1
	v_cvt_f32_f16_e32 v8, v9
	v_cvt_f32_f16_sdwa v9, v9 dst_sel:DWORD dst_unused:UNUSED_PAD src0_sel:WORD_1
	global_store_dwordx2 v16, v[2:3], s[2:3] offset:512
	v_lshlrev_b32_e32 v7, 7, v17
	v_pk_fma_f32 v[2:3], v[10:11], v[14:15], 0 op_sel_hi:[0,1,0]
	v_mov_b32_e32 v6, v11
	v_add_u32_e32 v16, 4, v148
	v_pk_fma_f32 v[2:3], v[6:7], v[4:5], v[2:3] op_sel_hi:[0,1,1]
	v_lshlrev_b32_e32 v4, 1, v16
	v_and_b32_e32 v5, 15, v16
	v_add_lshl_u32 v7, v71, v7, 3
	v_and_or_b32 v4, v4, s5, v5
	global_store_dwordx2 v7, v[2:3], s[2:3]
	v_pk_fma_f32 v[2:3], v[10:11], v[8:9], 0 op_sel_hi:[0,1,0]
	v_mad_u32_u24 v10, v4, s4, 0
	v_add_u32_e32 v12, v10, v0
	ds_read2st64_b32 v[4:5], v12 offset1:1
	v_cvt_f32_f16_e32 v8, v13
	v_cvt_f32_f16_sdwa v9, v13 dst_sel:DWORD dst_unused:UNUSED_PAD src0_sel:WORD_1
	ds_read2st64_b32 v[10:11], v10 offset0:2 offset1:35
	ds_read2st64_b32 v[12:13], v12 offset0:33 offset1:34
	v_lshlrev_b32_e32 v16, 7, v16
	s_waitcnt lgkmcnt(2)
	v_cvt_f32_f16_e32 v14, v4
	v_cvt_f32_f16_sdwa v15, v4 dst_sel:DWORD dst_unused:UNUSED_PAD src0_sel:WORD_1
	v_pk_fma_f32 v[2:3], v[6:7], v[8:9], v[2:3] op_sel_hi:[0,1,1]
	global_store_dwordx2 v7, v[2:3], s[2:3] offset:512
	s_waitcnt lgkmcnt(0)
	v_cvt_f32_f16_e32 v6, v12
	v_cvt_f32_f16_sdwa v7, v12 dst_sel:DWORD dst_unused:UNUSED_PAD src0_sel:WORD_1
	v_pk_fma_f32 v[2:3], v[10:11], v[14:15], 0 op_sel_hi:[0,1,0]
	v_mov_b32_e32 v4, v11
	v_cvt_f32_f16_e32 v8, v5
	v_cvt_f32_f16_sdwa v9, v5 dst_sel:DWORD dst_unused:UNUSED_PAD src0_sel:WORD_1
	v_pk_fma_f32 v[2:3], v[4:5], v[6:7], v[2:3] op_sel_hi:[0,1,1]
	v_add_lshl_u32 v5, v71, v16, 3
	v_add_u32_e32 v16, 6, v148
	v_lshlrev_b32_e32 v6, 1, v16
	v_and_b32_e32 v7, 15, v16
	v_and_or_b32 v6, v6, s5, v7
	global_store_dwordx2 v5, v[2:3], s[2:3]
	v_pk_fma_f32 v[2:3], v[10:11], v[8:9], 0 op_sel_hi:[0,1,0]
	v_mad_u32_u24 v10, v6, s4, 0
	v_add_u32_e32 v12, v10, v0
	ds_read2st64_b32 v[6:7], v12 offset1:1
	v_cvt_f32_f16_e32 v8, v13
	v_cvt_f32_f16_sdwa v9, v13 dst_sel:DWORD dst_unused:UNUSED_PAD src0_sel:WORD_1
	ds_read2st64_b32 v[10:11], v10 offset0:2 offset1:35
	ds_read2st64_b32 v[12:13], v12 offset0:33 offset1:34
	v_lshlrev_b32_e32 v16, 7, v16
	s_waitcnt lgkmcnt(2)
	v_cvt_f32_f16_e32 v14, v6
	v_cvt_f32_f16_sdwa v15, v6 dst_sel:DWORD dst_unused:UNUSED_PAD src0_sel:WORD_1
	v_pk_fma_f32 v[2:3], v[4:5], v[8:9], v[2:3] op_sel_hi:[0,1,1]
	global_store_dwordx2 v5, v[2:3], s[2:3] offset:512
	s_waitcnt lgkmcnt(0)
	v_cvt_f32_f16_e32 v4, v12
	v_cvt_f32_f16_sdwa v5, v12 dst_sel:DWORD dst_unused:UNUSED_PAD src0_sel:WORD_1
	v_pk_fma_f32 v[2:3], v[10:11], v[14:15], 0 op_sel_hi:[0,1,0]
	v_mov_b32_e32 v6, v11
	v_cvt_f32_f16_e32 v8, v7
	v_cvt_f32_f16_sdwa v9, v7 dst_sel:DWORD dst_unused:UNUSED_PAD src0_sel:WORD_1
	v_pk_fma_f32 v[2:3], v[6:7], v[4:5], v[2:3] op_sel_hi:[0,1,1]
	v_add_lshl_u32 v7, v71, v16, 3
	v_add_u32_e32 v16, 8, v148
	v_lshlrev_b32_e32 v4, 1, v16
	v_and_b32_e32 v5, 15, v16
	;; [unrolled: 28-line block ×5, first 2 shown]
	v_and_or_b32 v6, v6, s5, v7
	global_store_dwordx2 v5, v[2:3], s[2:3]
	v_pk_fma_f32 v[2:3], v[10:11], v[8:9], 0 op_sel_hi:[0,1,0]
	v_mad_u32_u24 v10, v6, s4, 0
	v_add_u32_e32 v12, v10, v0
	ds_read2st64_b32 v[6:7], v12 offset1:1
	v_cvt_f32_f16_e32 v8, v13
	v_cvt_f32_f16_sdwa v9, v13 dst_sel:DWORD dst_unused:UNUSED_PAD src0_sel:WORD_1
	ds_read2st64_b32 v[10:11], v10 offset0:2 offset1:35
	ds_read2st64_b32 v[12:13], v12 offset0:33 offset1:34
	v_lshlrev_b32_e32 v16, 7, v16
	s_waitcnt lgkmcnt(2)
	v_cvt_f32_f16_e32 v14, v6
	v_cvt_f32_f16_sdwa v15, v6 dst_sel:DWORD dst_unused:UNUSED_PAD src0_sel:WORD_1
	v_pk_fma_f32 v[2:3], v[4:5], v[8:9], v[2:3] op_sel_hi:[0,1,1]
	global_store_dwordx2 v5, v[2:3], s[2:3] offset:512
	s_waitcnt lgkmcnt(0)
	v_cvt_f32_f16_e32 v4, v12
	v_cvt_f32_f16_sdwa v5, v12 dst_sel:DWORD dst_unused:UNUSED_PAD src0_sel:WORD_1
	v_pk_fma_f32 v[2:3], v[10:11], v[14:15], 0 op_sel_hi:[0,1,0]
	v_mov_b32_e32 v6, v11
	v_cvt_f32_f16_e32 v8, v7
	v_cvt_f32_f16_sdwa v9, v7 dst_sel:DWORD dst_unused:UNUSED_PAD src0_sel:WORD_1
	v_pk_fma_f32 v[2:3], v[6:7], v[4:5], v[2:3] op_sel_hi:[0,1,1]
	v_add_lshl_u32 v7, v71, v16, 3
	v_add_u32_e32 v16, 16, v148
	v_lshlrev_b32_e32 v4, 1, v16
	v_and_or_b32 v1, v4, s5, v1
	v_mad_u32_u24 v1, v1, s4, 0
	v_add_u32_e32 v12, v1, v0
	global_store_dwordx2 v7, v[2:3], s[2:3]
	ds_read2st64_b32 v[4:5], v12 offset1:1
	v_pk_fma_f32 v[2:3], v[10:11], v[8:9], 0 op_sel_hi:[0,1,0]
	v_cvt_f32_f16_e32 v8, v13
	v_cvt_f32_f16_sdwa v9, v13 dst_sel:DWORD dst_unused:UNUSED_PAD src0_sel:WORD_1
	ds_read2st64_b32 v[10:11], v1 offset0:2 offset1:35
	ds_read2st64_b32 v[12:13], v12 offset0:33 offset1:34
	s_waitcnt lgkmcnt(2)
	v_cvt_f32_f16_e32 v14, v4
	v_cvt_f32_f16_sdwa v15, v4 dst_sel:DWORD dst_unused:UNUSED_PAD src0_sel:WORD_1
	v_pk_fma_f32 v[2:3], v[6:7], v[8:9], v[2:3] op_sel_hi:[0,1,1]
	global_store_dwordx2 v7, v[2:3], s[2:3] offset:512
	s_waitcnt lgkmcnt(0)
	v_cvt_f32_f16_e32 v6, v12
	v_cvt_f32_f16_sdwa v7, v12 dst_sel:DWORD dst_unused:UNUSED_PAD src0_sel:WORD_1
	v_pk_fma_f32 v[2:3], v[10:11], v[14:15], 0 op_sel_hi:[0,1,0]
	v_mov_b32_e32 v4, v11
	v_cvt_f32_f16_e32 v8, v5
	v_cvt_f32_f16_sdwa v9, v5 dst_sel:DWORD dst_unused:UNUSED_PAD src0_sel:WORD_1
	v_pk_fma_f32 v[2:3], v[4:5], v[6:7], v[2:3] op_sel_hi:[0,1,1]
	v_add_u32_e32 v5, 18, v148
	v_lshlrev_b32_e32 v1, 7, v16
	v_lshlrev_b32_e32 v6, 1, v5
	v_and_b32_e32 v7, 15, v5
	v_add_lshl_u32 v1, v71, v1, 3
	v_and_or_b32 v6, v6, s5, v7
	global_store_dwordx2 v1, v[2:3], s[2:3]
	v_pk_fma_f32 v[2:3], v[10:11], v[8:9], 0 op_sel_hi:[0,1,0]
	v_mad_u32_u24 v10, v6, s4, 0
	v_add_u32_e32 v12, v10, v0
	ds_read2st64_b32 v[6:7], v12 offset1:1
	v_cvt_f32_f16_e32 v8, v13
	v_cvt_f32_f16_sdwa v9, v13 dst_sel:DWORD dst_unused:UNUSED_PAD src0_sel:WORD_1
	ds_read2st64_b32 v[10:11], v10 offset0:2 offset1:35
	ds_read2st64_b32 v[12:13], v12 offset0:33 offset1:34
	s_waitcnt lgkmcnt(2)
	v_cvt_f32_f16_e32 v14, v6
	v_cvt_f32_f16_sdwa v15, v6 dst_sel:DWORD dst_unused:UNUSED_PAD src0_sel:WORD_1
	v_pk_fma_f32 v[2:3], v[4:5], v[8:9], v[2:3] op_sel_hi:[0,1,1]
	global_store_dwordx2 v1, v[2:3], s[2:3] offset:512
	v_lshlrev_b32_e32 v1, 7, v5
	s_waitcnt lgkmcnt(0)
	v_cvt_f32_f16_e32 v4, v12
	v_cvt_f32_f16_sdwa v5, v12 dst_sel:DWORD dst_unused:UNUSED_PAD src0_sel:WORD_1
	v_pk_fma_f32 v[2:3], v[10:11], v[14:15], 0 op_sel_hi:[0,1,0]
	v_mov_b32_e32 v6, v11
	v_cvt_f32_f16_e32 v8, v7
	v_cvt_f32_f16_sdwa v9, v7 dst_sel:DWORD dst_unused:UNUSED_PAD src0_sel:WORD_1
	v_pk_fma_f32 v[2:3], v[6:7], v[4:5], v[2:3] op_sel_hi:[0,1,1]
	v_add_u32_e32 v7, 20, v148
	v_lshlrev_b32_e32 v4, 1, v7
	v_and_b32_e32 v5, 15, v7
	v_add_lshl_u32 v1, v71, v1, 3
	v_and_or_b32 v4, v4, s5, v5
	global_store_dwordx2 v1, v[2:3], s[2:3]
	v_pk_fma_f32 v[2:3], v[10:11], v[8:9], 0 op_sel_hi:[0,1,0]
	v_mad_u32_u24 v10, v4, s4, 0
	v_add_u32_e32 v12, v10, v0
	ds_read2st64_b32 v[4:5], v12 offset1:1
	v_cvt_f32_f16_e32 v8, v13
	v_cvt_f32_f16_sdwa v9, v13 dst_sel:DWORD dst_unused:UNUSED_PAD src0_sel:WORD_1
	ds_read2st64_b32 v[10:11], v10 offset0:2 offset1:35
	ds_read2st64_b32 v[12:13], v12 offset0:33 offset1:34
	s_waitcnt lgkmcnt(2)
	v_cvt_f32_f16_e32 v14, v4
	v_cvt_f32_f16_sdwa v15, v4 dst_sel:DWORD dst_unused:UNUSED_PAD src0_sel:WORD_1
	v_pk_fma_f32 v[2:3], v[6:7], v[8:9], v[2:3] op_sel_hi:[0,1,1]
	global_store_dwordx2 v1, v[2:3], s[2:3] offset:512
	v_lshlrev_b32_e32 v1, 7, v7
	s_waitcnt lgkmcnt(0)
	v_cvt_f32_f16_e32 v6, v12
	v_cvt_f32_f16_sdwa v7, v12 dst_sel:DWORD dst_unused:UNUSED_PAD src0_sel:WORD_1
	v_pk_fma_f32 v[2:3], v[10:11], v[14:15], 0 op_sel_hi:[0,1,0]
	v_mov_b32_e32 v4, v11
	v_cvt_f32_f16_e32 v8, v5
	v_cvt_f32_f16_sdwa v9, v5 dst_sel:DWORD dst_unused:UNUSED_PAD src0_sel:WORD_1
	v_pk_fma_f32 v[2:3], v[4:5], v[6:7], v[2:3] op_sel_hi:[0,1,1]
	v_add_u32_e32 v5, 22, v148
	;; [unrolled: 28-line block ×5, first 2 shown]
	v_lshlrev_b32_e32 v4, 1, v7
	v_and_b32_e32 v5, 15, v7
	v_add_lshl_u32 v1, v71, v1, 3
	v_and_or_b32 v4, v4, s5, v5
	global_store_dwordx2 v1, v[2:3], s[2:3]
	v_pk_fma_f32 v[2:3], v[10:11], v[8:9], 0 op_sel_hi:[0,1,0]
	v_mad_u32_u24 v10, v4, s4, 0
	v_add_u32_e32 v12, v10, v0
	ds_read2st64_b32 v[4:5], v12 offset1:1
	v_cvt_f32_f16_e32 v8, v13
	v_cvt_f32_f16_sdwa v9, v13 dst_sel:DWORD dst_unused:UNUSED_PAD src0_sel:WORD_1
	ds_read2st64_b32 v[10:11], v10 offset0:2 offset1:35
	ds_read2st64_b32 v[12:13], v12 offset0:33 offset1:34
	s_waitcnt lgkmcnt(2)
	v_cvt_f32_f16_e32 v14, v4
	v_cvt_f32_f16_sdwa v15, v4 dst_sel:DWORD dst_unused:UNUSED_PAD src0_sel:WORD_1
	v_pk_fma_f32 v[2:3], v[6:7], v[8:9], v[2:3] op_sel_hi:[0,1,1]
	global_store_dwordx2 v1, v[2:3], s[2:3] offset:512
	v_lshlrev_b32_e32 v1, 7, v7
	s_waitcnt lgkmcnt(0)
	v_cvt_f32_f16_e32 v6, v12
	v_cvt_f32_f16_sdwa v7, v12 dst_sel:DWORD dst_unused:UNUSED_PAD src0_sel:WORD_1
	v_cvt_f32_f16_e32 v8, v5
	v_cvt_f32_f16_sdwa v9, v5 dst_sel:DWORD dst_unused:UNUSED_PAD src0_sel:WORD_1
	v_pk_fma_f32 v[2:3], v[10:11], v[14:15], 0 op_sel_hi:[0,1,0]
	v_mov_b32_e32 v4, v11
	v_pk_fma_f32 v[2:3], v[4:5], v[6:7], v[2:3] op_sel_hi:[0,1,1]
	v_add_lshl_u32 v11, v71, v1, 3
	global_store_dwordx2 v11, v[2:3], s[2:3]
	v_pk_fma_f32 v[2:3], v[10:11], v[8:9], 0 op_sel_hi:[0,1,0]
	v_add_u32_e32 v10, 30, v148
	v_lshlrev_b32_e32 v1, 1, v10
	v_and_b32_e32 v5, 15, v10
	v_cvt_f32_f16_e32 v6, v13
	v_cvt_f32_f16_sdwa v7, v13 dst_sel:DWORD dst_unused:UNUSED_PAD src0_sel:WORD_1
	v_and_or_b32 v1, v1, s5, v5
	v_mad_u32_u24 v8, v1, s4, 0
	v_add_u32_e32 v5, v8, v0
	ds_read2st64_b32 v[0:1], v5 offset1:1
	v_pk_fma_f32 v[2:3], v[4:5], v[6:7], v[2:3] op_sel_hi:[0,1,1]
	ds_read2st64_b32 v[4:5], v5 offset0:33 offset1:34
	global_store_dwordx2 v11, v[2:3], s[2:3] offset:512
	ds_read2st64_b32 v[2:3], v8 offset0:2 offset1:35
	s_waitcnt lgkmcnt(2)
	v_cvt_f32_f16_e32 v6, v0
	v_cvt_f32_f16_sdwa v7, v0 dst_sel:DWORD dst_unused:UNUSED_PAD src0_sel:WORD_1
	s_waitcnt lgkmcnt(1)
	v_cvt_f32_f16_e32 v8, v4
	v_cvt_f32_f16_sdwa v9, v4 dst_sel:DWORD dst_unused:UNUSED_PAD src0_sel:WORD_1
	s_waitcnt lgkmcnt(0)
	v_mov_b32_e32 v0, v3
	v_pk_fma_f32 v[6:7], v[2:3], v[6:7], 0 op_sel_hi:[0,1,0]
	v_cvt_f32_f16_e32 v4, v5
	v_pk_fma_f32 v[6:7], v[0:1], v[8:9], v[6:7] op_sel_hi:[0,1,1]
	v_cvt_f32_f16_e32 v8, v1
	v_cvt_f32_f16_sdwa v9, v1 dst_sel:DWORD dst_unused:UNUSED_PAD src0_sel:WORD_1
	v_cvt_f32_f16_sdwa v5, v5 dst_sel:DWORD dst_unused:UNUSED_PAD src0_sel:WORD_1
	v_lshlrev_b32_e32 v10, 7, v10
	v_add_lshl_u32 v10, v71, v10, 3
	v_pk_fma_f32 v[2:3], v[2:3], v[8:9], 0 op_sel_hi:[0,1,0]
	v_pk_fma_f32 v[0:1], v[0:1], v[4:5], v[2:3] op_sel_hi:[0,1,1]
	global_store_dwordx2 v10, v[6:7], s[2:3]
	global_store_dwordx2 v10, v[0:1], s[2:3] offset:512
.LBB29_330:
	s_or_b64 exec, exec, s[0:1]
	s_barrier
	s_endpgm
	.section	.rodata,"a",@progbits
	.p2align	6, 0x0
	.amdhsa_kernel _ZL18flash_attn_ext_f16ILi256ELi256ELi16ELi2ELb0ELb0EEvPKcS1_S1_S1_S1_PKiPfP15HIP_vector_typeIfLj2EEffffjfiS5_IjLj3EEiiiiiiiiiiiliiliiiiil
		.amdhsa_group_segment_fixed_size 0
		.amdhsa_private_segment_fixed_size 0
		.amdhsa_kernarg_size 464
		.amdhsa_user_sgpr_count 6
		.amdhsa_user_sgpr_private_segment_buffer 1
		.amdhsa_user_sgpr_dispatch_ptr 0
		.amdhsa_user_sgpr_queue_ptr 0
		.amdhsa_user_sgpr_kernarg_segment_ptr 1
		.amdhsa_user_sgpr_dispatch_id 0
		.amdhsa_user_sgpr_flat_scratch_init 0
		.amdhsa_user_sgpr_kernarg_preload_length 0
		.amdhsa_user_sgpr_kernarg_preload_offset 0
		.amdhsa_user_sgpr_private_segment_size 0
		.amdhsa_uses_dynamic_stack 0
		.amdhsa_system_sgpr_private_segment_wavefront_offset 0
		.amdhsa_system_sgpr_workgroup_id_x 1
		.amdhsa_system_sgpr_workgroup_id_y 0
		.amdhsa_system_sgpr_workgroup_id_z 0
		.amdhsa_system_sgpr_workgroup_info 0
		.amdhsa_system_vgpr_workitem_id 1
		.amdhsa_next_free_vgpr 420
		.amdhsa_next_free_sgpr 96
		.amdhsa_accum_offset 256
		.amdhsa_reserve_vcc 1
		.amdhsa_reserve_flat_scratch 0
		.amdhsa_float_round_mode_32 0
		.amdhsa_float_round_mode_16_64 0
		.amdhsa_float_denorm_mode_32 3
		.amdhsa_float_denorm_mode_16_64 3
		.amdhsa_dx10_clamp 1
		.amdhsa_ieee_mode 1
		.amdhsa_fp16_overflow 0
		.amdhsa_tg_split 0
		.amdhsa_exception_fp_ieee_invalid_op 0
		.amdhsa_exception_fp_denorm_src 0
		.amdhsa_exception_fp_ieee_div_zero 0
		.amdhsa_exception_fp_ieee_overflow 0
		.amdhsa_exception_fp_ieee_underflow 0
		.amdhsa_exception_fp_ieee_inexact 0
		.amdhsa_exception_int_div_zero 0
	.end_amdhsa_kernel
	.section	.text._ZL18flash_attn_ext_f16ILi256ELi256ELi16ELi2ELb0ELb0EEvPKcS1_S1_S1_S1_PKiPfP15HIP_vector_typeIfLj2EEffffjfiS5_IjLj3EEiiiiiiiiiiiliiliiiiil,"axG",@progbits,_ZL18flash_attn_ext_f16ILi256ELi256ELi16ELi2ELb0ELb0EEvPKcS1_S1_S1_S1_PKiPfP15HIP_vector_typeIfLj2EEffffjfiS5_IjLj3EEiiiiiiiiiiiliiliiiiil,comdat
.Lfunc_end29:
	.size	_ZL18flash_attn_ext_f16ILi256ELi256ELi16ELi2ELb0ELb0EEvPKcS1_S1_S1_S1_PKiPfP15HIP_vector_typeIfLj2EEffffjfiS5_IjLj3EEiiiiiiiiiiiliiliiiiil, .Lfunc_end29-_ZL18flash_attn_ext_f16ILi256ELi256ELi16ELi2ELb0ELb0EEvPKcS1_S1_S1_S1_PKiPfP15HIP_vector_typeIfLj2EEffffjfiS5_IjLj3EEiiiiiiiiiiiliiliiiiil
                                        ; -- End function
	.section	.AMDGPU.csdata,"",@progbits
; Kernel info:
; codeLenInByte = 88388
; NumSgprs: 100
; NumVgprs: 256
; NumAgprs: 164
; TotalNumVgprs: 420
; ScratchSize: 0
; MemoryBound: 0
; FloatMode: 240
; IeeeMode: 1
; LDSByteSize: 0 bytes/workgroup (compile time only)
; SGPRBlocks: 12
; VGPRBlocks: 52
; NumSGPRsForWavesPerEU: 100
; NumVGPRsForWavesPerEU: 420
; AccumOffset: 256
; Occupancy: 1
; WaveLimiterHint : 1
; COMPUTE_PGM_RSRC2:SCRATCH_EN: 0
; COMPUTE_PGM_RSRC2:USER_SGPR: 6
; COMPUTE_PGM_RSRC2:TRAP_HANDLER: 0
; COMPUTE_PGM_RSRC2:TGID_X_EN: 1
; COMPUTE_PGM_RSRC2:TGID_Y_EN: 0
; COMPUTE_PGM_RSRC2:TGID_Z_EN: 0
; COMPUTE_PGM_RSRC2:TIDIG_COMP_CNT: 1
; COMPUTE_PGM_RSRC3_GFX90A:ACCUM_OFFSET: 63
; COMPUTE_PGM_RSRC3_GFX90A:TG_SPLIT: 0
	.section	.text._ZL18flash_attn_ext_f16ILi256ELi256ELi16ELi2ELb1ELb0EEvPKcS1_S1_S1_S1_PKiPfP15HIP_vector_typeIfLj2EEffffjfiS5_IjLj3EEiiiiiiiiiiiliiliiiiil,"axG",@progbits,_ZL18flash_attn_ext_f16ILi256ELi256ELi16ELi2ELb1ELb0EEvPKcS1_S1_S1_S1_PKiPfP15HIP_vector_typeIfLj2EEffffjfiS5_IjLj3EEiiiiiiiiiiiliiliiiiil,comdat
	.globl	_ZL18flash_attn_ext_f16ILi256ELi256ELi16ELi2ELb1ELb0EEvPKcS1_S1_S1_S1_PKiPfP15HIP_vector_typeIfLj2EEffffjfiS5_IjLj3EEiiiiiiiiiiiliiliiiiil ; -- Begin function _ZL18flash_attn_ext_f16ILi256ELi256ELi16ELi2ELb1ELb0EEvPKcS1_S1_S1_S1_PKiPfP15HIP_vector_typeIfLj2EEffffjfiS5_IjLj3EEiiiiiiiiiiiliiliiiiil
	.p2align	8
	.type	_ZL18flash_attn_ext_f16ILi256ELi256ELi16ELi2ELb1ELb0EEvPKcS1_S1_S1_S1_PKiPfP15HIP_vector_typeIfLj2EEffffjfiS5_IjLj3EEiiiiiiiiiiiliiliiiiil,@function
_ZL18flash_attn_ext_f16ILi256ELi256ELi16ELi2ELb1ELb0EEvPKcS1_S1_S1_S1_PKiPfP15HIP_vector_typeIfLj2EEffffjfiS5_IjLj3EEiiiiiiiiiiiliiliiiiil: ; @_ZL18flash_attn_ext_f16ILi256ELi256ELi16ELi2ELb1ELb0EEvPKcS1_S1_S1_S1_PKiPfP15HIP_vector_typeIfLj2EEffffjfiS5_IjLj3EEiiiiiiiiiiiliiliiiiil
; %bb.0:
	s_load_dwordx2 s[2:3], s[4:5], 0x80
	s_load_dwordx4 s[28:31], s[4:5], 0x64
	v_mov_b32_e32 v4, v0
	s_mov_b32 s51, s6
                                        ; implicit-def: $vgpr255 : SGPR spill to VGPR lane
	s_load_dword s41, s[4:5], 0xd0
	s_waitcnt lgkmcnt(0)
	s_abs_i32 s1, s3
	v_cvt_f32_u32_e32 v0, s1
	s_sub_i32 s8, 0, s1
	s_abs_i32 s7, s29
	s_xor_b32 s6, s29, s3
	v_rcp_iflag_f32_e32 v0, v0
	s_ashr_i32 s6, s6, 31
	s_mov_b32 s0, 0
	v_cvt_f32_ubyte0_e32 v2, 0
	v_mul_f32_e32 v0, 0x4f7ffffe, v0
	v_cvt_u32_f32_e32 v0, v0
	v_readfirstlane_b32 s9, v0
	s_mul_i32 s8, s8, s9
	s_mul_hi_u32 s8, s9, s8
	s_add_i32 s9, s9, s8
	s_mul_hi_u32 s8, s7, s9
	s_mul_i32 s9, s8, s1
	s_sub_i32 s7, s7, s9
	s_add_i32 s10, s8, 1
	s_sub_i32 s9, s7, s1
	s_cmp_ge_u32 s7, s1
	s_cselect_b32 s8, s10, s8
	s_cselect_b32 s7, s9, s7
	s_add_i32 s9, s8, 1
	s_cmp_ge_u32 s7, s1
	s_cselect_b32 s1, s9, s8
	s_add_i32 s2, s2, 63
	s_xor_b32 s1, s1, s6
	s_ashr_i32 s7, s2, 31
	s_sub_i32 s80, s1, s6
	s_lshr_b32 s1, s7, 26
	s_add_i32 s2, s2, s1
	s_add_i32 s1, s28, 15
	s_lshr_b32 s6, s1, 4
	s_add_i32 s1, s80, 1
	s_ashr_i32 s85, s2, 6
	s_lshr_b32 s2, s1, 31
	s_add_i32 s1, s1, s2
	s_ashr_i32 s1, s1, 1
	v_writelane_b32 v255, s6, 0
	s_mul_i32 s2, s6, s85
	v_writelane_b32 v255, s2, 1
	s_mul_i32 s1, s2, s1
	;; [unrolled: 2-line block ×3, first 2 shown]
	s_mul_i32 s6, s1, s30
	s_ashr_i32 s7, s6, 31
	v_cvt_f32_u32_e32 v0, s41
	v_writelane_b32 v255, s1, 3
	s_mul_i32 s1, s7, s51
	s_mul_hi_u32 s2, s6, s51
	s_add_i32 s1, s2, s1
	s_mul_i32 s8, s6, s51
	s_cmp_lg_u64 s[0:1], 0
	s_cbranch_scc0 .LBB30_2
; %bb.1:
	v_madmk_f32 v1, v2, 0x4f800000, v0
	v_rcp_f32_e32 v1, v1
	s_sub_u32 s0, 0, s41
	s_subb_u32 s9, 0, 0
	s_mov_b64 s[2:3], 0
	v_mul_f32_e32 v1, 0x5f7ffffc, v1
	v_mul_f32_e32 v3, 0x2f800000, v1
	v_trunc_f32_e32 v3, v3
	v_madmk_f32 v1, v3, 0xcf800000, v1
	v_cvt_u32_f32_e32 v3, v3
	v_cvt_u32_f32_e32 v1, v1
	v_readfirstlane_b32 s10, v3
	v_readfirstlane_b32 s11, v1
	s_mul_hi_u32 s13, s0, s11
	s_mul_i32 s14, s0, s10
	s_mul_i32 s12, s9, s11
	s_add_i32 s13, s13, s14
	s_add_i32 s13, s13, s12
	s_mul_i32 s15, s0, s11
	s_mul_hi_u32 s12, s11, s13
	s_mul_i32 s14, s11, s13
	s_mul_hi_u32 s11, s11, s15
	s_add_u32 s11, s11, s14
	s_addc_u32 s12, 0, s12
	s_mul_hi_u32 s16, s10, s15
	s_mul_i32 s15, s10, s15
	s_add_u32 s11, s11, s15
	s_mul_hi_u32 s14, s10, s13
	s_addc_u32 s11, s12, s16
	s_addc_u32 s12, s14, 0
	s_mul_i32 s13, s10, s13
	s_add_u32 s11, s11, s13
	s_addc_u32 s12, 0, s12
	v_add_co_u32_e32 v1, vcc, s11, v1
	s_cmp_lg_u64 vcc, 0
	s_addc_u32 s10, s10, s12
	v_readfirstlane_b32 s12, v1
	s_mul_i32 s11, s0, s10
	s_mul_hi_u32 s13, s0, s12
	s_add_i32 s11, s13, s11
	s_mul_i32 s9, s9, s12
	s_add_i32 s11, s11, s9
	s_mul_i32 s0, s0, s12
	s_mul_hi_u32 s13, s10, s0
	s_mul_i32 s14, s10, s0
	s_mul_i32 s16, s12, s11
	s_mul_hi_u32 s0, s12, s0
	s_mul_hi_u32 s15, s12, s11
	s_add_u32 s0, s0, s16
	s_addc_u32 s12, 0, s15
	s_add_u32 s0, s0, s14
	s_mul_hi_u32 s9, s10, s11
	s_addc_u32 s0, s12, s13
	s_addc_u32 s9, s9, 0
	s_mul_i32 s11, s10, s11
	s_add_u32 s0, s0, s11
	s_addc_u32 s9, 0, s9
	v_add_co_u32_e32 v1, vcc, s0, v1
	s_cmp_lg_u64 vcc, 0
	s_addc_u32 s9, s10, s9
	s_ashr_i32 s10, s1, 31
	s_add_u32 s0, s8, s10
	s_mov_b32 s11, s10
	s_addc_u32 s1, s1, s10
	s_xor_b64 s[0:1], s[0:1], s[10:11]
	v_readfirstlane_b32 s14, v1
	s_mul_i32 s13, s0, s9
	s_mul_hi_u32 s15, s0, s14
	s_mul_hi_u32 s12, s0, s9
	s_add_u32 s13, s15, s13
	s_addc_u32 s12, 0, s12
	s_mul_hi_u32 s16, s1, s14
	s_mul_i32 s14, s1, s14
	s_add_u32 s13, s13, s14
	s_mul_hi_u32 s15, s1, s9
	s_addc_u32 s12, s12, s16
	s_addc_u32 s13, s15, 0
	s_mul_i32 s9, s1, s9
	s_add_u32 s9, s12, s9
	s_addc_u32 s12, 0, s13
	s_add_u32 s13, s9, 1
	s_addc_u32 s14, s12, 0
	s_add_u32 s15, s9, 2
	s_mul_i32 s17, s41, s12
	s_mul_hi_u32 s18, s41, s9
	s_addc_u32 s16, s12, 0
	s_add_i32 s18, s18, s17
	s_mul_i32 s17, s41, s9
	v_mov_b32_e32 v1, s17
	v_sub_co_u32_e32 v1, vcc, s0, v1
	s_cmp_lg_u64 vcc, 0
	s_subb_u32 s0, s1, s18
	v_subrev_co_u32_e32 v3, vcc, s41, v1
	s_cmp_lg_u64 vcc, 0
	s_subb_u32 s1, s0, 0
	v_readfirstlane_b32 s17, v3
	s_cmp_ge_u32 s17, s41
	s_cselect_b32 s17, -1, 0
	s_cmp_eq_u32 s1, 0
	s_cselect_b32 s1, s17, -1
	s_cmp_lg_u32 s1, 0
	s_cselect_b32 s1, s16, s14
	v_readfirstlane_b32 s14, v1
	s_cselect_b32 s13, s15, s13
	s_cmp_ge_u32 s14, s41
	s_cselect_b32 s14, -1, 0
	s_cmp_eq_u32 s0, 0
	s_cselect_b32 s0, s14, -1
	s_cmp_lg_u32 s0, 0
	s_cselect_b32 s1, s1, s12
	s_cselect_b32 s0, s13, s9
	s_xor_b64 s[0:1], s[0:1], s[10:11]
	s_sub_u32 s54, s0, s10
	s_branch .LBB30_3
.LBB30_2:
	s_mov_b64 s[2:3], -1
                                        ; implicit-def: $sgpr54_sgpr55
.LBB30_3:
	s_load_dwordx2 s[0:1], s[4:5], 0x74
	v_cvt_f32_u32_e32 v1, s41
	s_andn2_b64 vcc, exec, s[2:3]
	s_waitcnt lgkmcnt(0)
	v_writelane_b32 v255, s0, 4
	v_writelane_b32 v255, s1, 5
	s_cbranch_vccnz .LBB30_5
; %bb.4:
	v_rcp_iflag_f32_e32 v3, v1
	s_sub_i32 s0, 0, s41
	v_mul_f32_e32 v3, 0x4f7ffffe, v3
	v_cvt_u32_f32_e32 v3, v3
	v_readfirstlane_b32 s1, v3
	s_mul_i32 s0, s0, s1
	s_mul_hi_u32 s0, s1, s0
	s_add_i32 s1, s1, s0
	s_mul_hi_u32 s0, s8, s1
	s_mul_i32 s2, s0, s41
	s_sub_i32 s2, s8, s2
	s_add_i32 s1, s0, 1
	s_sub_i32 s3, s2, s41
	s_cmp_ge_u32 s2, s41
	s_cselect_b32 s0, s1, s0
	s_cselect_b32 s2, s3, s2
	s_add_i32 s1, s0, 1
	s_cmp_ge_u32 s2, s41
	s_cselect_b32 s54, s1, s0
.LBB30_5:
	s_add_i32 s0, s51, 1
	s_mul_i32 s1, s7, s0
	s_mul_hi_u32 s2, s6, s0
	s_add_i32 s3, s2, s1
	s_mov_b32 s2, 0
	s_cmp_lg_u64 s[2:3], 0
	s_mul_i32 s2, s6, s0
	s_cbranch_scc0 .LBB30_441
; %bb.6:
	v_madmk_f32 v0, v2, 0x4f800000, v0
	v_rcp_f32_e32 v0, v0
	s_sub_u32 s6, 0, s41
	s_subb_u32 s7, 0, 0
	v_mul_f32_e32 v0, 0x5f7ffffc, v0
	v_mul_f32_e32 v2, 0x2f800000, v0
	v_trunc_f32_e32 v2, v2
	v_madmk_f32 v0, v2, 0xcf800000, v0
	v_cvt_u32_f32_e32 v2, v2
	v_cvt_u32_f32_e32 v0, v0
	v_readfirstlane_b32 s8, v2
	v_readfirstlane_b32 s9, v0
	s_mul_hi_u32 s11, s6, s9
	s_mul_i32 s12, s6, s8
	s_mul_i32 s10, s7, s9
	s_add_i32 s11, s11, s12
	s_add_i32 s11, s11, s10
	s_mul_i32 s13, s6, s9
	s_mul_hi_u32 s10, s9, s11
	s_mul_i32 s12, s9, s11
	s_mul_hi_u32 s9, s9, s13
	s_add_u32 s9, s9, s12
	s_addc_u32 s10, 0, s10
	s_mul_hi_u32 s14, s8, s13
	s_mul_i32 s13, s8, s13
	s_add_u32 s9, s9, s13
	s_mul_hi_u32 s12, s8, s11
	s_addc_u32 s9, s10, s14
	s_addc_u32 s10, s12, 0
	s_mul_i32 s11, s8, s11
	s_add_u32 s9, s9, s11
	s_addc_u32 s10, 0, s10
	v_add_co_u32_e32 v0, vcc, s9, v0
	s_cmp_lg_u64 vcc, 0
	s_addc_u32 s8, s8, s10
	v_readfirstlane_b32 s10, v0
	s_mul_i32 s9, s6, s8
	s_mul_hi_u32 s11, s6, s10
	s_add_i32 s9, s11, s9
	s_mul_i32 s7, s7, s10
	s_add_i32 s9, s9, s7
	s_mul_i32 s6, s6, s10
	s_mul_hi_u32 s11, s8, s6
	s_mul_i32 s12, s8, s6
	s_mul_i32 s14, s10, s9
	s_mul_hi_u32 s6, s10, s6
	s_mul_hi_u32 s13, s10, s9
	s_add_u32 s6, s6, s14
	s_addc_u32 s10, 0, s13
	s_add_u32 s6, s6, s12
	s_mul_hi_u32 s7, s8, s9
	s_addc_u32 s6, s10, s11
	s_addc_u32 s7, s7, 0
	s_mul_i32 s9, s8, s9
	s_add_u32 s6, s6, s9
	s_addc_u32 s7, 0, s7
	v_add_co_u32_e32 v0, vcc, s6, v0
	s_cmp_lg_u64 vcc, 0
	s_addc_u32 s10, s8, s7
	s_ashr_i32 s6, s3, 31
	s_add_u32 s8, s2, s6
	s_mov_b32 s7, s6
	s_addc_u32 s9, s3, s6
	s_xor_b64 s[8:9], s[8:9], s[6:7]
	v_readfirstlane_b32 s12, v0
	s_mul_i32 s11, s8, s10
	s_mul_hi_u32 s13, s8, s12
	s_mul_hi_u32 s3, s8, s10
	s_add_u32 s11, s13, s11
	s_addc_u32 s3, 0, s3
	s_mul_hi_u32 s14, s9, s12
	s_mul_i32 s12, s9, s12
	s_add_u32 s11, s11, s12
	s_mul_hi_u32 s13, s9, s10
	s_addc_u32 s3, s3, s14
	s_addc_u32 s11, s13, 0
	s_mul_i32 s10, s9, s10
	s_add_u32 s3, s3, s10
	s_addc_u32 s10, 0, s11
	s_add_u32 s11, s3, 1
	s_addc_u32 s12, s10, 0
	s_add_u32 s13, s3, 2
	s_mul_i32 s15, s41, s10
	s_mul_hi_u32 s16, s41, s3
	s_addc_u32 s14, s10, 0
	s_add_i32 s16, s16, s15
	s_mul_i32 s15, s41, s3
	v_mov_b32_e32 v0, s15
	v_sub_co_u32_e32 v0, vcc, s8, v0
	s_cmp_lg_u64 vcc, 0
	s_subb_u32 s8, s9, s16
	v_subrev_co_u32_e32 v2, vcc, s41, v0
	s_cmp_lg_u64 vcc, 0
	s_subb_u32 s9, s8, 0
	v_readfirstlane_b32 s15, v2
	s_cmp_ge_u32 s15, s41
	s_cselect_b32 s15, -1, 0
	s_cmp_eq_u32 s9, 0
	s_cselect_b32 s9, s15, -1
	s_cmp_lg_u32 s9, 0
	s_cselect_b32 s9, s14, s12
	v_readfirstlane_b32 s12, v0
	s_cselect_b32 s11, s13, s11
	s_cmp_ge_u32 s12, s41
	s_cselect_b32 s12, -1, 0
	s_cmp_eq_u32 s8, 0
	s_cselect_b32 s8, s12, -1
	s_cmp_lg_u32 s8, 0
	s_cselect_b32 s9, s9, s10
	s_cselect_b32 s8, s11, s3
	s_xor_b64 s[8:9], s[8:9], s[6:7]
	s_sub_u32 s58, s8, s6
	s_load_dwordx2 s[42:43], s[4:5], 0x5c
	s_cbranch_execnz .LBB30_8
.LBB30_7:
	v_rcp_iflag_f32_e32 v0, v1
	s_sub_i32 s0, 0, s41
	v_mul_f32_e32 v0, 0x4f7ffffe, v0
	v_cvt_u32_f32_e32 v0, v0
	v_readfirstlane_b32 s1, v0
	s_mul_i32 s0, s0, s1
	s_mul_hi_u32 s0, s1, s0
	s_add_i32 s1, s1, s0
	s_mul_hi_u32 s0, s2, s1
	s_mul_i32 s3, s0, s41
	s_sub_i32 s2, s2, s3
	s_add_i32 s1, s0, 1
	s_sub_i32 s3, s2, s41
	s_cmp_ge_u32 s2, s41
	s_cselect_b32 s0, s1, s0
	s_cselect_b32 s2, s3, s2
	s_add_i32 s1, s0, 1
	s_cmp_ge_u32 s2, s41
	s_cselect_b32 s58, s1, s0
.LBB30_8:
	s_abs_i32 s59, s85
	v_cvt_f32_u32_e32 v0, s59
	v_readlane_b32 s2, v255, 4
	s_ashr_i32 s52, s2, 3
	s_sub_i32 s2, 0, s59
	v_rcp_iflag_f32_e32 v0, v0
	s_load_dwordx16 s[12:27], s[4:5], 0x0
	s_load_dword s6, s[4:5], 0x40
	s_load_dword s34, s[4:5], 0x54
	s_load_dwordx2 s[0:1], s[4:5], 0x8c
	s_load_dwordx4 s[36:39], s[4:5], 0x98
	s_load_dwordx2 s[46:47], s[4:5], 0xa8
	s_load_dwordx2 s[10:11], s[4:5], 0xb8
	;; [unrolled: 1-line block ×3, first 2 shown]
	v_readlane_b32 s3, v255, 5
	s_waitcnt lgkmcnt(0)
	v_writelane_b32 v255, s0, 6
	v_mul_f32_e32 v0, 0x4f7ffffe, v0
	v_cvt_u32_f32_e32 v0, v0
	v_writelane_b32 v255, s1, 7
	s_abs_i32 s1, s54
	s_ashr_i32 s33, s31, 3
	v_readfirstlane_b32 s50, v0
	s_mul_i32 s2, s2, s50
	s_mul_hi_u32 s2, s50, s2
	s_add_i32 s50, s50, s2
	s_mul_hi_u32 s2, s1, s50
	s_mul_i32 s2, s2, s59
	s_sub_i32 s1, s1, s2
	s_ashr_i32 s40, s0, 2
	s_ashr_i32 s44, s11, 1
	;; [unrolled: 1-line block ×5, first 2 shown]
	s_sub_i32 s2, s1, s59
	s_cmp_ge_u32 s1, s59
	s_cselect_b32 s1, s2, s1
	s_sub_i32 s2, s1, s59
	s_cmp_ge_u32 s1, s59
	s_cselect_b32 s1, s2, s1
	s_xor_b32 s1, s1, s0
	s_sub_i32 s76, s1, s0
	s_sub_i32 s0, s58, s54
	s_add_i32 s2, s0, s76
	s_min_i32 s62, s85, s2
	s_cmp_gt_i32 s58, s54
	v_cvt_f16_f32_e32 v0, s6
	s_cselect_b64 s[8:9], -1, 0
	s_cmp_le_i32 s58, s54
	s_cselect_b64 s[0:1], -1, 0
	s_cmp_gt_i32 s85, s2
	s_cselect_b64 s[2:3], -1, 0
	v_bfe_u32 v36, v4, 10, 10
	s_or_b64 s[0:1], s[2:3], s[0:1]
	v_pack_b32_f16 v0, v0, v0
	v_lshlrev_b32_e32 v25, 3, v36
	v_and_b32_e32 v77, 1, v36
	v_lshrrev_b32_e32 v65, 1, v36
	s_mov_b32 s61, 0
	s_and_b64 vcc, exec, s[0:1]
	v_accvgpr_write_b32 a9, v0
	v_add_u32_e32 v85, 4, v36
	v_add_u32_e32 v84, 8, v36
	v_add_u32_e32 v83, 12, v36
	v_add_u32_e32 v82, 16, v36
	v_add_u32_e32 v81, 20, v36
	v_add_u32_e32 v80, 24, v36
	v_add_u32_e32 v79, 28, v36
	v_accvgpr_write_b32 a12, v65
	v_accvgpr_write_b32 a14, v25
	;; [unrolled: 1-line block ×3, first 2 shown]
	s_cbranch_vccz .LBB30_11
; %bb.9:
	s_andn2_b64 vcc, exec, s[8:9]
	s_cbranch_vccz .LBB30_405
.LBB30_10:
	s_endpgm
.LBB30_11:
	s_cmp_eq_u64 s[20:21], 0
	v_writelane_b32 v255, s41, 8
	s_cselect_b64 s[0:1], -1, 0
	v_and_b32_e32 v86, 0x3ff, v4
	v_writelane_b32 v255, s0, 9
	s_cmp_lg_u64 s[22:23], 0
	v_lshrrev_b32_e32 v2, 3, v86
	v_writelane_b32 v255, s1, 10
	s_cselect_b64 s[0:1], -1, 0
	v_accvgpr_write_b32 a10, v4
	v_and_b32_e32 v3, 15, v86
	v_and_b32_e32 v4, 30, v2
	v_writelane_b32 v255, s0, 11
	v_mul_u32_u24_e32 v0, 0x210, v3
	v_lshlrev_b32_e32 v2, 2, v4
	v_writelane_b32 v255, s1, 12
	v_and_b32_e32 v1, 0x7f0, v25
	s_movk_i32 s0, 0x210
	v_add3_u32 v5, 0, v0, v2
	v_mad_u32_u24 v0, v1, s0, v5
	v_accvgpr_write_b32 a22, v0
	v_lshrrev_b32_e32 v0, 5, v86
	v_lshl_add_u32 v78, v36, 1, v0
	v_lshlrev_b32_e32 v0, 2, v86
	v_and_b32_e32 v2, 0x7c, v0
	v_lshlrev_b32_e32 v0, 4, v36
	v_and_b32_e32 v7, 16, v0
	v_mul_u32_u24_e32 v6, 0x210, v78
	v_lshlrev_b32_e32 v8, 2, v2
	v_mad_u32_u24 v135, v7, s0, v5
	v_lshrrev_b32_e32 v5, 2, v86
	v_add3_u32 v134, 0, v6, v8
	v_and_b32_e32 v6, 60, v5
	v_and_or_b32 v1, v86, 14, v1
	s_movk_i32 s1, 0x90
	v_add_u32_e32 v8, v6, v7
	v_lshrrev_b32_e32 v1, 1, v1
	v_add_u16_e32 v7, v6, v7
	v_mad_u32_u24 v1, v1, s1, 0
	v_lshrrev_b16_e32 v7, 1, v7
	v_lshl_add_u32 v219, v7, 2, v1
	v_lshl_add_u32 v1, v8, 1, v1
	v_and_b32_e32 v7, 8, v25
	v_mul_u32_u24_e32 v8, 0x108, v6
	s_movk_i32 s1, 0x420
	v_or_b32_e32 v8, v8, v3
	v_mul_u32_u24_e32 v9, 0x210, v6
	v_or_b32_e32 v5, 3, v5
	v_mul_u32_u24_e32 v10, 0x420, v7
	v_mad_u32_u24 v11, v7, s1, 0
	v_lshlrev_b32_e32 v12, 1, v3
	v_mul_u32_u24_e32 v5, 0x210, v5
	v_lshlrev_b32_e32 v8, 1, v8
	v_add3_u32 v138, v11, v9, v12
	v_add3_u32 v9, 0, 32, v10
	v_add_u32_e32 v137, v11, v8
	v_add3_u32 v139, v11, v5, v12
	v_add_u32_e32 v220, v9, v8
	v_mad_u32_u24 v11, v6, s0, v9
	v_add3_u32 v230, v9, v5, v12
	v_add3_u32 v9, 0, 64, v10
	s_add_i32 s2, 0, 0x60
	v_add_u32_e32 v136, v9, v8
	v_mad_u32_u24 v10, v6, s0, v9
	v_add3_u32 v193, v9, v5, v12
	v_mov_b32_e32 v9, s2
	v_mad_u32_u24 v9, v7, s1, v9
	s_add_i32 s2, 0, 0x80
	v_add_u32_e32 v192, v9, v8
	v_mad_u32_u24 v13, v6, s0, v9
	v_add3_u32 v214, v9, v5, v12
	v_mov_b32_e32 v9, s2
	v_mad_u32_u24 v9, v7, s1, v9
	;; [unrolled: 6-line block ×3, first 2 shown]
	s_add_i32 s2, 0, 0xc0
	v_add_u32_e32 v123, v9, v8
	v_mad_u32_u24 v15, v6, s0, v9
	v_add3_u32 v226, v9, v5, v12
	v_mov_b32_e32 v9, s2
	v_mov_b32_e32 v76, v36
	v_mad_u32_u24 v9, v7, s1, v9
	s_add_i32 s2, 0, 0xe0
	s_movk_i32 s6, 0x84
	v_add_u32_e32 v150, v9, v8
	v_mad_u32_u24 v16, v6, s0, v9
	v_add3_u32 v227, v9, v5, v12
	v_mov_b32_e32 v9, s2
	s_add_i32 s2, 0, 0x100
	v_add_u32_e32 v187, 64, v1
	v_add_u32_e32 v188, 0x44, v1
	v_mad_u32_u24 v1, v76, s6, v86
	v_mov_b32_e32 v17, s2
	s_add_i32 s2, 0, 0x120
	v_lshl_add_u32 v87, v1, 2, 0
	v_or_b32_e32 v1, v0, v86
	v_mov_b32_e32 v18, s2
	s_add_i32 s2, 0, 0x140
	v_mul_u32_u24_e32 v1, 0x210, v1
	v_mov_b32_e32 v19, s2
	s_add_i32 s2, 0, 0x160
	v_accvgpr_write_b32 a36, v1
	v_and_b32_e32 v1, 31, v86
	v_mov_b32_e32 v20, s2
	s_add_i32 s2, 0, 0x180
	v_or_b32_e32 v3, v0, v3
	v_or_b32_e32 v0, v0, v1
	v_mov_b32_e32 v21, s2
	s_add_i32 s2, 0, 0x1a0
	v_mad_u32_u24 v3, v3, s6, v4
	v_mul_u32_u24_e32 v0, 0x210, v0
	v_mov_b32_e32 v22, s2
	s_add_i32 s2, 0, 0x1c0
	v_accvgpr_write_b32 a37, v0
	v_lshl_add_u32 v0, v3, 2, 0
	v_add_u32_e32 v3, 16, v65
	v_mov_b32_e32 v23, s2
	s_add_i32 s2, 0, 0x1e0
	s_movk_i32 s7, 0x1e0
	v_add_u32_e32 v36, 2, v65
	v_add_u32_e32 v38, 4, v65
	v_add_u32_e32 v40, 6, v65
	v_add_u32_e32 v42, 8, v65
	v_add_u32_e32 v44, 10, v65
	v_add_u32_e32 v46, 12, v65
	v_add_u32_e32 v48, 14, v65
	v_add_u32_e32 v50, 18, v65
	v_add_u32_e32 v52, 20, v65
	v_add_u32_e32 v54, 22, v65
	v_add_u32_e32 v56, 24, v65
	v_add_u32_e32 v58, 26, v65
	v_add_u32_e32 v60, 28, v65
	v_add_u32_e32 v62, 30, v65
	s_movk_i32 s11, 0xe0
	v_accvgpr_write_b32 a38, v0
	v_bfe_u32 v0, v76, 1, 4
	v_lshlrev_b32_e32 v65, 1, v3
	v_mov_b32_e32 v24, s2
	v_and_or_b32 v65, v65, s7, v0
	v_and_or_b32 v0, v76, s11, v0
	v_mad_u32_u24 v9, v7, s1, v9
	v_mad_u32_u24 v17, v7, s1, v17
	;; [unrolled: 1-line block ×10, first 2 shown]
	v_add_u32_e32 v152, v9, v8
	v_mad_u32_u24 v24, v6, s0, v9
	v_add3_u32 v153, v9, v5, v12
	v_add_u32_e32 v154, v17, v8
	v_mad_u32_u24 v9, v6, s0, v17
	v_add3_u32 v155, v17, v5, v12
	;; [unrolled: 3-line block ×7, first 2 shown]
	v_mad_u32_u24 v22, v6, s0, v23
	v_mad_u32_u24 v6, v6, s0, v7
	s_movk_i32 s0, 0x4200
	s_lshl_b32 s60, s51, 5
	v_lshl_add_u32 v66, v66, 2, 0
	v_add3_u32 v167, v23, v5, v12
	v_add3_u32 v169, v7, v5, v12
	;; [unrolled: 1-line block ×17, first 2 shown]
	s_ashr_i32 s45, s44, 31
	s_ashr_i32 s41, s40, 31
	s_lshl_b32 s1, s40, 3
	s_ashr_i32 s31, s30, 31
	s_lshl_b32 s0, s30, 3
	s_lshl_b64 s[2:3], s[60:61], 3
	v_or_b32_e32 v5, v25, v86
	v_accvgpr_write_b32 a39, v66
	v_add_u32_e32 v66, 64, v86
	s_add_u32 s2, s26, s2
	v_lshlrev_b32_e32 v5, 3, v5
	v_mul_u32_u24_e32 v67, 0x210, v0
	v_mad_u32_u24 v0, v0, s6, v66
	v_add_u32_e32 v166, v23, v8
	v_add_u32_e32 v168, v7, v8
	v_add_co_u32_e32 v8, vcc, s2, v5
	v_lshlrev_b32_e32 v4, 1, v36
	v_and_b32_e32 v5, 15, v36
	v_lshl_add_u32 v0, v0, 2, 0
	v_and_or_b32 v37, v4, s7, v5
	v_accvgpr_write_b32 a41, v0
	v_lshrrev_b32_e32 v0, 1, v36
	v_accvgpr_write_b32 a42, v0
	v_mad_u32_u24 v0, v37, s6, v86
	v_lshl_add_u32 v0, v0, 2, 0
	v_accvgpr_write_b32 a43, v0
	v_mul_u32_u24_e32 v0, 0x210, v37
	v_accvgpr_write_b32 a44, v0
	v_mad_u32_u24 v0, v37, s6, v66
	v_lshlrev_b32_e32 v4, 1, v38
	v_and_b32_e32 v5, 15, v38
	v_lshl_add_u32 v0, v0, 2, 0
	v_and_or_b32 v39, v4, s7, v5
	v_accvgpr_write_b32 a45, v0
	v_lshrrev_b32_e32 v0, 1, v38
	v_accvgpr_write_b32 a46, v0
	v_mad_u32_u24 v0, v39, s6, v86
	v_lshl_add_u32 v0, v0, 2, 0
	v_accvgpr_write_b32 a47, v0
	v_mul_u32_u24_e32 v0, 0x210, v39
	v_accvgpr_write_b32 a48, v0
	v_mad_u32_u24 v0, v39, s6, v66
	;; [unrolled: 13-line block ×7, first 2 shown]
	v_lshl_add_u32 v0, v0, 2, 0
	v_accvgpr_write_b32 a69, v0
	v_lshrrev_b32_e32 v0, 1, v3
	v_accvgpr_write_b32 a70, v0
	v_mad_u32_u24 v0, v65, s6, v86
	v_lshl_add_u32 v0, v0, 2, 0
	v_accvgpr_write_b32 a71, v0
	v_mul_u32_u24_e32 v0, 0x210, v65
	v_accvgpr_write_b32 a72, v0
	v_mad_u32_u24 v0, v65, s6, v66
	v_lshlrev_b32_e32 v4, 1, v50
	v_and_b32_e32 v5, 15, v50
	v_lshl_add_u32 v0, v0, 2, 0
	v_and_or_b32 v51, v4, s7, v5
	v_accvgpr_write_b32 a73, v0
	v_lshrrev_b32_e32 v0, 1, v50
	v_accvgpr_write_b32 a74, v0
	v_mad_u32_u24 v0, v51, s6, v86
	v_lshl_add_u32 v0, v0, 2, 0
	v_accvgpr_write_b32 a75, v0
	v_mul_u32_u24_e32 v0, 0x210, v51
	v_accvgpr_write_b32 a76, v0
	v_mad_u32_u24 v0, v51, s6, v66
	v_lshlrev_b32_e32 v4, 1, v52
	v_and_b32_e32 v5, 15, v52
	v_lshl_add_u32 v0, v0, 2, 0
	v_and_or_b32 v53, v4, s7, v5
	;; [unrolled: 13-line block ×5, first 2 shown]
	v_accvgpr_write_b32 a89, v0
	v_lshrrev_b32_e32 v0, 1, v58
	v_accvgpr_write_b32 a90, v0
	v_mad_u32_u24 v0, v59, s6, v86
	v_writelane_b32 v255, s51, 13
	v_lshl_add_u32 v0, v0, 2, 0
	v_readlane_b32 s55, v255, 3
	v_accvgpr_write_b32 a91, v0
	v_mul_u32_u24_e32 v0, 0x210, v59
	s_addc_u32 s3, s27, s3
	v_lshlrev_b32_e32 v4, 1, v60
	v_and_b32_e32 v5, 15, v60
	s_abs_i32 s57, s55
	v_accvgpr_write_b32 a92, v0
	v_mad_u32_u24 v0, v59, s6, v66
	v_and_or_b32 v61, v4, s7, v5
	v_cvt_f32_u32_e32 v4, s57
	v_lshl_add_u32 v0, v0, 2, 0
	v_accvgpr_write_b32 a93, v0
	v_lshrrev_b32_e32 v0, 1, v60
	v_accvgpr_write_b32 a94, v0
	v_mad_u32_u24 v0, v61, s6, v86
	v_readlane_b32 s53, v255, 2
	v_lshl_add_u32 v0, v0, 2, 0
	v_rcp_iflag_f32_e32 v4, v4
	s_abs_i32 s86, s53
	v_accvgpr_write_b32 a95, v0
	v_mul_u32_u24_e32 v0, 0x210, v61
	v_mov_b32_e32 v6, s3
	v_cvt_f32_u32_e32 v7, s86
	v_accvgpr_write_b32 a96, v0
	v_mad_u32_u24 v0, v61, s6, v66
	v_addc_co_u32_e32 v9, vcc, 0, v6, vcc
	v_lshlrev_b32_e32 v5, 1, v62
	v_and_b32_e32 v6, 15, v62
	v_lshl_add_u32 v0, v0, 2, 0
	v_and_or_b32 v63, v5, s7, v6
	v_readlane_b32 s51, v255, 1
	v_accvgpr_write_b32 a97, v0
	v_lshrrev_b32_e32 v0, 1, v62
	v_mul_f32_e32 v4, 0x4f7ffffe, v4
	s_abs_i32 s87, s51
	s_abs_i32 s88, s10
	v_accvgpr_write_b32 a98, v0
	v_mad_u32_u24 v0, v63, s6, v66
	v_cvt_u32_f32_e32 v4, v4
	v_rcp_iflag_f32_e32 v5, v7
	v_cvt_f32_u32_e32 v6, s87
	v_cvt_f32_u32_e32 v7, s88
	v_mul_lo_u32 v20, s30, v78
	v_lshl_add_u32 v0, v0, 2, 0
	v_mov_b32_e32 v64, s19
	v_ashrrev_i32_e32 v21, 31, v20
	v_accvgpr_write_b32 a101, v0
	v_add_co_u32_e32 v0, vcc, s18, v2
	v_add_u32_e32 v22, s0, v20
	v_accvgpr_write_b32 a102, v0
	v_addc_co_u32_e32 v0, vcc, 0, v64, vcc
	v_lshlrev_b64 v[44:45], 2, v[20:21]
	v_lshlrev_b32_e32 v186, 2, v2
	v_ashrrev_i32_e32 v23, 31, v22
	v_accvgpr_write_b32 a103, v0
	v_mov_b32_e32 v0, s17
	v_add_co_u32_e32 v2, vcc, s16, v44
	v_readfirstlane_b32 s8, v4
	v_rcp_iflag_f32_e32 v4, v6
	v_rcp_iflag_f32_e32 v6, v7
	v_add_u32_e32 v24, s0, v22
	v_addc_co_u32_e32 v0, vcc, v0, v45, vcc
	v_lshlrev_b64 v[46:47], 2, v[22:23]
	v_ashrrev_i32_e32 v25, 31, v24
	v_accvgpr_write_b32 a104, v2
	v_accvgpr_write_b32 a105, v0
	v_mov_b32_e32 v0, s17
	v_add_co_u32_e32 v2, vcc, s16, v46
	v_add_u32_e32 v26, s0, v24
	v_addc_co_u32_e32 v0, vcc, v0, v47, vcc
	v_lshlrev_b64 v[48:49], 2, v[24:25]
	v_ashrrev_i32_e32 v27, 31, v26
	v_accvgpr_write_b32 a106, v2
	v_accvgpr_write_b32 a107, v0
	v_mov_b32_e32 v0, s17
	v_add_co_u32_e32 v2, vcc, s16, v48
	v_mul_f32_e32 v4, 0x4f7ffffe, v4
	v_mul_f32_e32 v6, 0x4f7ffffe, v6
	v_add_u32_e32 v28, s0, v26
	v_addc_co_u32_e32 v0, vcc, v0, v49, vcc
	v_lshlrev_b64 v[50:51], 2, v[26:27]
	v_cvt_u32_f32_e32 v4, v4
	v_cvt_u32_f32_e32 v6, v6
	v_ashrrev_i32_e32 v29, 31, v28
	v_accvgpr_write_b32 a108, v2
	v_accvgpr_write_b32 a109, v0
	v_mov_b32_e32 v0, s17
	v_add_co_u32_e32 v2, vcc, s16, v50
	s_mov_b32 s2, s10
	v_add_u32_e32 v30, s0, v28
	v_addc_co_u32_e32 v0, vcc, v0, v51, vcc
	v_lshlrev_b64 v[52:53], 2, v[28:29]
	v_writelane_b32 v255, s2, 14
	v_ashrrev_i32_e32 v31, 31, v30
	v_accvgpr_write_b32 a110, v2
	v_accvgpr_write_b32 a111, v0
	v_mov_b32_e32 v0, s17
	v_add_co_u32_e32 v2, vcc, s16, v52
	v_writelane_b32 v255, s3, 15
	v_mul_f32_e32 v5, 0x4f7ffffe, v5
	s_sub_i32 s2, 0, s88
	v_add_u32_e32 v32, s0, v30
	v_addc_co_u32_e32 v0, vcc, v0, v53, vcc
	v_lshlrev_b64 v[54:55], 2, v[30:31]
	v_cvt_u32_f32_e32 v5, v5
	v_readfirstlane_b32 s9, v4
	v_mul_lo_u32 v4, s2, v6
	v_ashrrev_i32_e32 v33, 31, v32
	v_accvgpr_write_b32 a112, v2
	v_accvgpr_write_b32 a113, v0
	v_mov_b32_e32 v0, s17
	v_add_co_u32_e32 v2, vcc, s16, v54
	v_mul_hi_u32 v4, v6, v4
	v_add_u32_e32 v34, s0, v32
	v_addc_co_u32_e32 v0, vcc, v0, v55, vcc
	v_lshlrev_b64 v[56:57], 2, v[32:33]
	v_add_u32_e32 v4, v6, v4
	v_ashrrev_i32_e32 v35, 31, v34
	v_accvgpr_write_b32 a114, v2
	v_accvgpr_write_b32 a115, v0
	v_mov_b32_e32 v0, s17
	v_add_co_u32_e32 v2, vcc, s16, v56
	v_accvgpr_write_b32 a34, v4
	v_mul_lo_u32 v4, s40, v78
	v_addc_co_u32_e32 v0, vcc, v0, v57, vcc
	v_lshlrev_b64 v[58:59], 2, v[34:35]
	v_readfirstlane_b32 s10, v5
	v_ashrrev_i32_e32 v5, 31, v4
	v_accvgpr_write_b32 a116, v2
	v_accvgpr_write_b32 a117, v0
	v_mov_b32_e32 v0, s17
	v_add_co_u32_e32 v2, vcc, s16, v58
	v_add_u32_e32 v6, s1, v4
	v_addc_co_u32_e32 v0, vcc, v0, v59, vcc
	v_lshlrev_b64 v[60:61], 2, v[4:5]
	v_accvgpr_write_b32 a33, v9
	v_ashrrev_i32_e32 v7, 31, v6
	v_mul_u32_u24_e32 v3, 0x210, v63
	v_accvgpr_write_b32 a118, v2
	v_accvgpr_write_b32 a119, v0
	v_mov_b32_e32 v0, s15
	v_add_co_u32_e32 v2, vcc, s14, v60
	v_accvgpr_write_b32 a32, v8
	v_add_u32_e32 v8, s1, v6
	v_accvgpr_write_b32 a99, v3
	v_mad_u32_u24 v3, v63, s6, v86
	v_addc_co_u32_e32 v0, vcc, v0, v61, vcc
	v_lshlrev_b64 v[62:63], 2, v[6:7]
	v_ashrrev_i32_e32 v9, 31, v8
	v_accvgpr_write_b32 a120, v2
	v_accvgpr_write_b32 a121, v0
	v_mov_b32_e32 v0, s15
	v_add_co_u32_e32 v2, vcc, s14, v62
	v_add_u32_e32 v10, s1, v8
	v_addc_co_u32_e32 v0, vcc, v0, v63, vcc
	v_lshlrev_b64 v[64:65], 2, v[8:9]
	v_ashrrev_i32_e32 v11, 31, v10
	v_accvgpr_write_b32 a122, v2
	v_accvgpr_write_b32 a123, v0
	v_mov_b32_e32 v0, s15
	v_add_co_u32_e32 v2, vcc, s14, v64
	v_add_u32_e32 v12, s1, v10
	v_accvgpr_write_b32 a40, v67
	v_addc_co_u32_e32 v0, vcc, v0, v65, vcc
	v_lshlrev_b64 v[66:67], 2, v[10:11]
	v_ashrrev_i32_e32 v13, 31, v12
	v_accvgpr_write_b32 a124, v2
	v_accvgpr_write_b32 a125, v0
	v_mov_b32_e32 v0, s15
	v_add_co_u32_e32 v2, vcc, s14, v66
	v_add_u32_e32 v14, s1, v12
	v_addc_co_u32_e32 v0, vcc, v0, v67, vcc
	v_lshlrev_b64 v[68:69], 2, v[12:13]
	v_ashrrev_i32_e32 v15, 31, v14
	v_cmp_gt_u32_e64 s[64:65], 32, v86
	v_accvgpr_write_b32 a126, v2
	v_accvgpr_write_b32 a127, v0
	v_mov_b32_e32 v0, s15
	v_add_co_u32_e32 v2, vcc, s14, v68
	v_add_u32_e32 v16, s1, v14
	v_writelane_b32 v255, s64, 16
	v_addc_co_u32_e32 v0, vcc, v0, v69, vcc
	v_lshlrev_b64 v[70:71], 2, v[14:15]
	v_ashrrev_i32_e32 v17, 31, v16
	v_writelane_b32 v255, s65, 17
	s_ashr_i32 s6, s55, 31
	v_accvgpr_write_b32 a128, v2
	v_accvgpr_write_b32 a129, v0
	v_mov_b32_e32 v0, s15
	v_add_co_u32_e32 v2, vcc, s14, v70
	v_add_u32_e32 v18, s1, v16
	v_writelane_b32 v255, s6, 18
	s_sub_i32 s6, 0, s57
	v_addc_co_u32_e32 v0, vcc, v0, v71, vcc
	v_lshlrev_b64 v[72:73], 2, v[16:17]
	v_ashrrev_i32_e32 v19, 31, v18
	s_mul_i32 s6, s6, s8
	v_accvgpr_write_b32 a130, v2
	v_accvgpr_write_b32 a131, v0
	v_mov_b32_e32 v0, s15
	v_add_co_u32_e32 v2, vcc, s14, v72
	s_mul_hi_u32 s6, s8, s6
	v_addc_co_u32_e32 v0, vcc, v0, v73, vcc
	v_lshlrev_b64 v[74:75], 2, v[18:19]
	s_add_i32 s6, s8, s6
	v_accvgpr_write_b32 a132, v2
	v_add_co_u32_e32 v2, vcc, s14, v74
	v_writelane_b32 v255, s6, 19
	s_ashr_i32 s6, s53, 31
	v_accvgpr_write_b32 a134, v2
	v_add_u32_e32 v2, 8, v78
	v_writelane_b32 v255, s6, 20
	s_sub_i32 s6, 0, s86
	v_accvgpr_write_b32 a137, v2
	v_mul_lo_u32 v2, v77, s52
	s_mul_i32 s6, s6, s10
	v_accvgpr_write_b32 a139, v2
	v_lshrrev_b32_e32 v2, 1, v85
	s_mul_hi_u32 s6, s10, s6
	v_accvgpr_write_b32 a140, v2
	v_add_u32_e32 v2, 0x840, v87
	s_add_i32 s6, s10, s6
	v_accvgpr_write_b32 a141, v2
	v_lshrrev_b32_e32 v2, 1, v84
	v_writelane_b32 v255, s6, 21
	s_ashr_i32 s6, s51, 31
	v_accvgpr_write_b32 a142, v2
	v_lshrrev_b32_e32 v2, 1, v83
	v_writelane_b32 v255, s6, 22
	s_sub_i32 s6, 0, s87
	v_accvgpr_write_b32 a143, v2
	v_lshrrev_b32_e32 v2, 1, v82
	s_mul_i32 s6, s6, s9
	v_accvgpr_write_b32 a133, v0
	v_mov_b32_e32 v0, s15
	v_accvgpr_write_b32 a144, v2
	v_lshrrev_b32_e32 v2, 1, v81
	s_mul_hi_u32 s6, s9, s6
	v_addc_co_u32_e32 v0, vcc, v0, v75, vcc
	v_accvgpr_write_b32 a145, v2
	v_lshrrev_b32_e32 v2, 1, v80
	s_add_i32 s6, s9, s6
	v_accvgpr_write_b32 a135, v0
	v_mbcnt_lo_u32_b32 v0, -1, 0
	v_accvgpr_write_b32 a146, v2
	v_lshrrev_b32_e32 v2, 1, v79
	v_writelane_b32 v255, s6, 23
	s_lshl_b64 s[6:7], s[44:45], 1
	v_mbcnt_hi_u32_b32 v0, -1, v0
	v_accvgpr_write_b32 a147, v2
	v_lshrrev_b32_e32 v2, 2, v76
	v_writelane_b32 v255, s6, 24
	v_accvgpr_write_b32 a136, v0
	v_lshlrev_b32_e32 v0, 1, v86
	v_accvgpr_write_b32 a148, v2
	v_and_b32_e32 v2, 1, v86
	v_lshl_add_u32 v3, v3, 2, 0
	v_writelane_b32 v255, s7, 25
	v_and_b32_e32 v0, 62, v0
	v_accvgpr_write_b32 a150, v2
	v_bfe_u32 v2, v76, 1, 1
	s_movk_i32 s90, 0x80
	v_cmp_eq_u32_e64 s[0:1], 0, v77
	v_cmp_eq_u32_e64 s[2:3], 1, v77
	v_cmp_gt_u32_e64 s[4:5], 16, v86
	v_accvgpr_write_b32 a100, v3
	s_mov_b32 s35, s34
	s_lshl_b64 s[68:69], s[30:31], 8
	s_lshl_b64 s[70:71], s[40:41], 8
	s_mov_b32 s45, 0x3f200000
	s_mov_b32 s67, 0x3fb8aa3b
	;; [unrolled: 1-line block ×4, first 2 shown]
	s_brev_b32 s6, -2
	s_mov_b32 s89, 0xc1a00000
	s_mov_b32 s66, 0x5040100
	v_mul_u32_u24_e32 v221, 0x90, v78
	v_accvgpr_write_b32 a23, v78
	v_accvgpr_write_b32 a138, v0
	v_lshl_add_u32 v215, v0, 1, 0
	v_add_u32_e32 v216, 0x1080, v134
	v_add_u32_e32 v217, 0x2100, v134
	;; [unrolled: 1-line block ×38, first 2 shown]
	v_writelane_b32 v255, s52, 26
	v_accvgpr_write_b32 a20, v85
	v_accvgpr_write_b32 a35, v87
	;; [unrolled: 1-line block ×8, first 2 shown]
	v_lshlrev_b32_e32 v78, 4, v1
	v_mov_b32_e32 v234, 0xbd5c1c4e
	v_mov_b32_e32 v235, 0x3e088382
	v_mov_b32_e32 v236, 0xbeaaaa99
	v_mov_b32_e32 v237, 0x7f800000
	v_accvgpr_write_b32 a21, v86
	v_accvgpr_write_b32 a8, v76
	;; [unrolled: 1-line block ×8, first 2 shown]
	s_branch .LBB30_14
.LBB30_12:                              ;   in Loop: Header=BB30_14 Depth=1
	s_or_b64 exec, exec, s[72:73]
	s_barrier
.LBB30_13:                              ;   in Loop: Header=BB30_14 Depth=1
	s_add_i32 s8, s54, s85
	s_abs_i32 s10, s8
	s_mul_hi_u32 s11, s10, s50
	s_mul_i32 s11, s11, s59
	s_sub_i32 s10, s10, s11
	s_ashr_i32 s9, s8, 31
	s_sub_i32 s11, s10, s59
	s_cmp_ge_u32 s10, s59
	s_cselect_b32 s10, s11, s10
	s_sub_i32 s11, s10, s59
	s_cmp_ge_u32 s10, s59
	s_cselect_b32 s10, s11, s10
	s_xor_b32 s10, s10, s9
	s_sub_i32 s9, s9, s10
	s_add_i32 s54, s8, s9
	s_sub_i32 s10, s58, s54
	s_min_i32 s62, s85, s10
	s_cmp_gt_i32 s58, s54
	s_cselect_b64 s[8:9], -1, 0
	s_cmp_le_i32 s85, s10
	s_cselect_b64 s[10:11], -1, 0
	s_and_b64 s[10:11], s[10:11], s[8:9]
	s_mov_b32 s76, 0
	s_and_b64 vcc, exec, s[10:11]
	s_cbranch_vccz .LBB30_404
.LBB30_14:                              ; =>This Loop Header: Depth=1
                                        ;     Child Loop BB30_249 Depth 2
                                        ;     Child Loop BB30_55 Depth 2
	s_ashr_i32 s8, s54, 31
	v_readlane_b32 s9, v255, 18
	s_xor_b32 s8, s8, s9
	s_abs_i32 s9, s54
	v_readlane_b32 s10, v255, 19
	s_mul_hi_u32 s10, s9, s10
	s_mul_i32 s11, s10, s57
	s_sub_i32 s9, s9, s11
	s_add_i32 s11, s10, 1
	s_sub_i32 s51, s9, s57
	s_cmp_ge_u32 s9, s57
	s_cselect_b32 s10, s11, s10
	s_cselect_b32 s9, s51, s9
	s_add_i32 s11, s10, 1
	s_cmp_ge_u32 s9, s57
	s_cselect_b32 s9, s11, s10
	s_xor_b32 s9, s9, s8
	s_sub_i32 s8, s9, s8
	v_readlane_b32 s9, v255, 3
	s_mul_i32 s9, s8, s9
	s_sub_i32 s10, s54, s9
	s_ashr_i32 s9, s10, 31
	v_readlane_b32 s11, v255, 20
	s_xor_b32 s9, s9, s11
	s_abs_i32 s11, s10
	v_readlane_b32 s51, v255, 21
	s_mul_hi_u32 s51, s11, s51
	s_mul_i32 s52, s51, s86
	s_sub_i32 s11, s11, s52
	s_add_i32 s52, s51, 1
	s_sub_i32 s53, s11, s86
	s_cmp_ge_u32 s11, s86
	s_cselect_b32 s51, s52, s51
	s_cselect_b32 s11, s53, s11
	s_add_i32 s52, s51, 1
	s_cmp_ge_u32 s11, s86
	s_cselect_b32 s11, s52, s51
	s_xor_b32 s11, s11, s9
	s_sub_i32 s9, s11, s9
	v_readlane_b32 s11, v255, 2
	s_mul_i32 s11, s9, s11
	s_sub_i32 s11, s10, s11
	;; [unrolled: 21-line block ×3, first 2 shown]
	s_ashr_i32 s51, s11, 31
	s_abs_i32 s11, s11
	s_mul_hi_u32 s52, s11, s50
	s_mul_i32 s53, s52, s59
	s_sub_i32 s11, s11, s53
	s_xor_b32 s51, s51, s38
	s_add_i32 s53, s52, 1
	s_sub_i32 s56, s11, s59
	s_cmp_ge_u32 s11, s59
	s_cselect_b32 s52, s53, s52
	s_cselect_b32 s11, s56, s11
	s_add_i32 s53, s52, 1
	s_cmp_ge_u32 s11, s59
	s_cselect_b32 s11, s53, s52
	v_readlane_b32 s52, v255, 11
	s_xor_b32 s11, s11, s51
	v_readlane_b32 s53, v255, 12
	s_andn2_b64 vcc, exec, s[52:53]
	s_sub_i32 s52, s11, s51
	s_cbranch_vccnz .LBB30_16
; %bb.15:                               ;   in Loop: Header=BB30_14 Depth=1
	v_readlane_b32 s11, v255, 0
	s_mul_i32 s11, s8, s11
	s_add_i32 s64, s52, s11
	s_ashr_i32 s65, s64, 31
	s_lshl_b64 s[64:65], s[64:65], 2
	s_add_u32 s64, s22, s64
	s_addc_u32 s65, s23, s65
	v_mov_b32_e32 v1, 0
	global_load_dword v1, v1, s[64:65]
	s_waitcnt vmcnt(0)
	v_readfirstlane_b32 s11, v1
	s_ashr_i32 s51, s11, 31
	s_lshr_b32 s51, s51, 26
	s_add_i32 s11, s11, s51
	s_ashr_i32 s11, s11, 6
	s_min_i32 s62, s62, s11
.LBB30_16:                              ;   in Loop: Header=BB30_14 Depth=1
	v_readlane_b32 s64, v255, 4
	v_readlane_b32 s65, v255, 5
	s_mul_i32 s51, s9, s80
	s_lshl_b32 s11, s10, 1
	s_mul_i32 s10, s8, s65
	s_add_i32 s72, s11, s51
	s_ashr_i32 s51, s10, 31
	s_add_u32 s10, s12, s10
	s_mul_i32 s53, s72, s64
	s_addc_u32 s51, s13, s51
	s_ashr_i32 s60, s53, 31
	s_add_u32 s56, s10, s53
	s_addc_u32 s95, s51, s60
	s_ashr_i32 s53, s8, 31
	s_mul_i32 s10, s8, s37
	s_mul_hi_u32 s51, s8, s36
	s_add_i32 s10, s51, s10
	s_mul_i32 s51, s53, s36
	v_readlane_b32 s74, v255, 6
	s_add_i32 s63, s10, s51
	s_mul_i32 s64, s8, s36
	v_readlane_b32 s75, v255, 7
	s_add_u32 s10, s14, s64
	s_mul_i32 s65, s9, s75
	s_addc_u32 s51, s15, s63
	s_ashr_i32 s91, s65, 31
	s_add_u32 s84, s10, s65
	s_addc_u32 s81, s51, s91
	s_abs_i32 s10, s8
	v_accvgpr_read_b32 v1, a34
	v_mul_hi_u32 v1, s10, v1
	v_mul_lo_u32 v1, v1, s88
	v_sub_u32_e32 v1, s10, v1
	s_mul_i32 s10, s28, s29
	v_subrev_u32_e32 v2, s88, v1
	v_cmp_le_u32_e32 vcc, s88, v1
	s_mul_i32 s10, s10, s8
	v_cndmask_b32_e32 v1, v1, v2, vcc
	s_add_i32 s10, s72, s10
	v_subrev_u32_e32 v2, s88, v1
	v_cmp_le_u32_e32 vcc, s88, v1
	s_lshl_b32 s60, s10, 7
	v_cndmask_b32_e32 v1, v1, v2, vcc
	s_lshl_b64 s[74:75], s[60:61], 3
	v_xor_b32_e32 v1, s53, v1
	s_add_u32 s51, s24, s74
	s_mul_i32 s60, s8, s47
	s_mul_hi_u32 s73, s8, s46
	v_subrev_u32_e32 v1, s53, v1
	s_addc_u32 s10, s25, s75
	s_add_i32 s60, s73, s60
	s_mul_i32 s53, s53, s46
	s_add_i32 s60, s60, s53
	s_mul_i32 s92, s8, s46
	s_add_u32 s8, s16, s92
	s_mul_i32 s93, s9, s39
	s_addc_u32 s53, s17, s60
	s_ashr_i32 s94, s93, 31
	s_add_u32 s82, s8, s93
	s_addc_u32 s83, s53, s94
	s_ashr_i32 s73, s72, 31
	v_ashrrev_i32_e32 v2, 31, v1
	v_mul_lo_u32 v3, v1, s49
	v_mul_hi_u32 v4, v1, s48
	s_lshl_b64 s[8:9], s[72:73], 2
	v_add_u32_e32 v3, v4, v3
	v_mul_lo_u32 v2, v2, s48
	v_mul_lo_u32 v84, v1, s48
	s_add_u32 s53, s20, s8
	v_add_u32_e32 v85, v3, v2
	v_mov_b32_e32 v1, s19
	v_add_co_u32_e32 v229, vcc, s18, v84
	s_addc_u32 s72, s21, s9
	v_readlane_b32 s8, v255, 9
	v_addc_co_u32_e32 v228, vcc, v1, v85, vcc
	v_readlane_b32 s9, v255, 10
	v_accvgpr_read_b32 v1, a15
	s_and_b64 s[8:9], s[8:9], exec
	v_or_b32_e32 v77, s11, v1
	s_cselect_b32 s73, 0, s72
	s_cselect_b32 s72, 0, s53
	s_cmp_lg_u32 s76, 0
	v_cmp_gt_i32_e32 vcc, s80, v77
	s_cbranch_scc0 .LBB30_51
; %bb.17:                               ;   in Loop: Header=BB30_14 Depth=1
	s_lshl_b32 s53, s52, 4
	v_accvgpr_read_b32 v1, a12
	v_add_u32_e32 v1, s53, v1
	v_cmp_le_i32_e64 s[8:9], s28, v1
	s_xor_b64 s[74:75], vcc, -1
	s_or_b64 s[8:9], s[8:9], s[74:75]
	s_and_saveexec_b64 s[78:79], s[8:9]
	s_xor_b64 s[8:9], exec, s[78:79]
	s_cbranch_execz .LBB30_19
; %bb.18:                               ;   in Loop: Header=BB30_14 Depth=1
	v_accvgpr_read_b32 v1, a35
	v_mov_b32_e32 v2, 0
	ds_write2st64_b32 v1, v2, v2 offset1:1
                                        ; implicit-def: $vgpr1
.LBB30_19:                              ;   in Loop: Header=BB30_14 Depth=1
	s_andn2_saveexec_b64 s[8:9], s[8:9]
	s_cbranch_execz .LBB30_21
; %bb.20:                               ;   in Loop: Header=BB30_14 Depth=1
	v_mul_lo_u32 v1, v1, s33
	v_accvgpr_read_b32 v2, a21
	v_accvgpr_read_b32 v3, a139
	v_add3_u32 v2, v1, v3, v2
	v_ashrrev_i32_e32 v3, 31, v2
	v_lshlrev_b64 v[2:3], 3, v[2:3]
	v_add_co_u32_e32 v2, vcc, s56, v2
	v_mov_b32_e32 v1, s95
	v_addc_co_u32_e32 v3, vcc, v1, v3, vcc
	global_load_dwordx2 v[4:5], v[2:3], off
	s_waitcnt vmcnt(0)
	v_cvt_f16_f32_e32 v1, v4
	global_load_dwordx2 v[2:3], v[2:3], off offset:512
	v_cvt_f16_f32_e32 v4, v5
	v_pack_b32_f16 v1, v1, v4
	v_accvgpr_read_b32 v4, a9
	v_pk_mul_f16 v1, v4, v1
	s_waitcnt vmcnt(0)
	v_cvt_f16_f32_e32 v2, v2
	v_cvt_f16_f32_e32 v3, v3
	v_pack_b32_f16 v2, v2, v3
	v_pk_mul_f16 v2, v4, v2
	v_accvgpr_read_b32 v3, a35
	ds_write2st64_b32 v3, v1, v2 offset1:1
.LBB30_21:                              ;   in Loop: Header=BB30_14 Depth=1
	s_or_b64 exec, exec, s[8:9]
	v_accvgpr_read_b32 v1, a140
	v_add_u32_e32 v1, s53, v1
	v_cmp_le_i32_e32 vcc, s28, v1
	s_or_b64 s[8:9], vcc, s[74:75]
	s_and_saveexec_b64 s[78:79], s[8:9]
	s_xor_b64 s[8:9], exec, s[78:79]
	s_cbranch_execz .LBB30_23
; %bb.22:                               ;   in Loop: Header=BB30_14 Depth=1
	v_mov_b32_e32 v1, 0
	v_accvgpr_read_b32 v2, a141
	ds_write2st64_b32 v2, v1, v1 offset1:1
                                        ; implicit-def: $vgpr1
.LBB30_23:                              ;   in Loop: Header=BB30_14 Depth=1
	s_andn2_saveexec_b64 s[8:9], s[8:9]
	s_cbranch_execz .LBB30_25
; %bb.24:                               ;   in Loop: Header=BB30_14 Depth=1
	v_mul_lo_u32 v1, v1, s33
	v_accvgpr_read_b32 v2, a21
	v_accvgpr_read_b32 v3, a139
	v_add3_u32 v2, v1, v3, v2
	v_ashrrev_i32_e32 v3, 31, v2
	v_lshlrev_b64 v[2:3], 3, v[2:3]
	v_add_co_u32_e32 v2, vcc, s56, v2
	v_mov_b32_e32 v1, s95
	v_addc_co_u32_e32 v3, vcc, v1, v3, vcc
	global_load_dwordx2 v[4:5], v[2:3], off
	s_waitcnt vmcnt(0)
	v_cvt_f16_f32_e32 v1, v4
	global_load_dwordx2 v[2:3], v[2:3], off offset:512
	v_cvt_f16_f32_e32 v4, v5
	v_pack_b32_f16 v1, v1, v4
	v_accvgpr_read_b32 v4, a9
	v_pk_mul_f16 v1, v4, v1
	s_waitcnt vmcnt(0)
	v_cvt_f16_f32_e32 v2, v2
	v_cvt_f16_f32_e32 v3, v3
	v_pack_b32_f16 v2, v2, v3
	v_pk_mul_f16 v2, v4, v2
	v_accvgpr_read_b32 v3, a141
	ds_write2st64_b32 v3, v1, v2 offset1:1
.LBB30_25:                              ;   in Loop: Header=BB30_14 Depth=1
	s_or_b64 exec, exec, s[8:9]
	v_accvgpr_read_b32 v1, a142
	v_add_u32_e32 v1, s53, v1
	v_cmp_le_i32_e32 vcc, s28, v1
	s_or_b64 s[8:9], vcc, s[74:75]
	s_and_saveexec_b64 s[78:79], s[8:9]
	s_xor_b64 s[8:9], exec, s[78:79]
	s_cbranch_execz .LBB30_27
; %bb.26:                               ;   in Loop: Header=BB30_14 Depth=1
	v_accvgpr_read_b32 v1, a141
	v_add_u32_e32 v1, 64, v1
	v_mov_b32_e32 v2, 0
	ds_write2st64_b32 v1, v2, v2 offset0:8 offset1:9
                                        ; implicit-def: $vgpr1
.LBB30_27:                              ;   in Loop: Header=BB30_14 Depth=1
	s_andn2_saveexec_b64 s[8:9], s[8:9]
	s_cbranch_execz .LBB30_29
; %bb.28:                               ;   in Loop: Header=BB30_14 Depth=1
	v_mul_lo_u32 v1, v1, s33
	v_accvgpr_read_b32 v2, a21
	v_accvgpr_read_b32 v3, a139
	v_add3_u32 v2, v1, v3, v2
	v_ashrrev_i32_e32 v3, 31, v2
	v_lshlrev_b64 v[2:3], 3, v[2:3]
	v_add_co_u32_e32 v2, vcc, s56, v2
	v_mov_b32_e32 v1, s95
	v_addc_co_u32_e32 v3, vcc, v1, v3, vcc
	global_load_dwordx2 v[4:5], v[2:3], off
	s_waitcnt vmcnt(0)
	v_cvt_f16_f32_e32 v1, v4
	global_load_dwordx2 v[2:3], v[2:3], off offset:512
	v_cvt_f16_f32_e32 v4, v5
	v_pack_b32_f16 v1, v1, v4
	v_accvgpr_read_b32 v4, a9
	v_pk_mul_f16 v1, v4, v1
	s_waitcnt vmcnt(0)
	v_cvt_f16_f32_e32 v2, v2
	v_cvt_f16_f32_e32 v3, v3
	v_pack_b32_f16 v2, v2, v3
	v_accvgpr_read_b32 v3, a141
	v_pk_mul_f16 v2, v4, v2
	v_add_u32_e32 v3, 64, v3
	ds_write2st64_b32 v3, v1, v2 offset0:8 offset1:9
.LBB30_29:                              ;   in Loop: Header=BB30_14 Depth=1
	s_or_b64 exec, exec, s[8:9]
	v_accvgpr_read_b32 v1, a143
	v_add_u32_e32 v1, s53, v1
	v_cmp_le_i32_e32 vcc, s28, v1
	s_or_b64 s[8:9], vcc, s[74:75]
	s_and_saveexec_b64 s[78:79], s[8:9]
	s_xor_b64 s[8:9], exec, s[78:79]
	s_cbranch_execz .LBB30_31
; %bb.30:                               ;   in Loop: Header=BB30_14 Depth=1
	v_accvgpr_read_b32 v1, a141
	v_add_u32_e32 v1, 0x80, v1
	v_mov_b32_e32 v2, 0
	ds_write2st64_b32 v1, v2, v2 offset0:16 offset1:17
                                        ; implicit-def: $vgpr1
.LBB30_31:                              ;   in Loop: Header=BB30_14 Depth=1
	s_andn2_saveexec_b64 s[8:9], s[8:9]
	s_cbranch_execz .LBB30_33
; %bb.32:                               ;   in Loop: Header=BB30_14 Depth=1
	v_mul_lo_u32 v1, v1, s33
	v_accvgpr_read_b32 v2, a21
	v_accvgpr_read_b32 v3, a139
	v_add3_u32 v2, v1, v3, v2
	v_ashrrev_i32_e32 v3, 31, v2
	v_lshlrev_b64 v[2:3], 3, v[2:3]
	v_add_co_u32_e32 v2, vcc, s56, v2
	v_mov_b32_e32 v1, s95
	v_addc_co_u32_e32 v3, vcc, v1, v3, vcc
	global_load_dwordx2 v[4:5], v[2:3], off
	s_waitcnt vmcnt(0)
	v_cvt_f16_f32_e32 v1, v4
	global_load_dwordx2 v[2:3], v[2:3], off offset:512
	v_cvt_f16_f32_e32 v4, v5
	v_pack_b32_f16 v1, v1, v4
	v_accvgpr_read_b32 v4, a9
	v_pk_mul_f16 v1, v4, v1
	s_waitcnt vmcnt(0)
	v_cvt_f16_f32_e32 v2, v2
	v_cvt_f16_f32_e32 v3, v3
	v_pack_b32_f16 v2, v2, v3
	v_accvgpr_read_b32 v3, a141
	v_pk_mul_f16 v2, v4, v2
	v_add_u32_e32 v3, 0x80, v3
	ds_write2st64_b32 v3, v1, v2 offset0:16 offset1:17
.LBB30_33:                              ;   in Loop: Header=BB30_14 Depth=1
	s_or_b64 exec, exec, s[8:9]
	v_accvgpr_read_b32 v1, a144
	v_add_u32_e32 v1, s53, v1
	v_cmp_le_i32_e32 vcc, s28, v1
	s_or_b64 s[8:9], vcc, s[74:75]
	s_and_saveexec_b64 s[78:79], s[8:9]
	s_xor_b64 s[8:9], exec, s[78:79]
	s_cbranch_execz .LBB30_35
; %bb.34:                               ;   in Loop: Header=BB30_14 Depth=1
	v_accvgpr_read_b32 v1, a141
	v_add_u32_e32 v1, 0xc0, v1
	v_mov_b32_e32 v2, 0
	ds_write2st64_b32 v1, v2, v2 offset0:24 offset1:25
                                        ; implicit-def: $vgpr1
.LBB30_35:                              ;   in Loop: Header=BB30_14 Depth=1
	s_andn2_saveexec_b64 s[8:9], s[8:9]
	s_cbranch_execz .LBB30_37
; %bb.36:                               ;   in Loop: Header=BB30_14 Depth=1
	v_mul_lo_u32 v1, v1, s33
	v_accvgpr_read_b32 v2, a21
	v_accvgpr_read_b32 v3, a139
	v_add3_u32 v2, v1, v3, v2
	v_ashrrev_i32_e32 v3, 31, v2
	v_lshlrev_b64 v[2:3], 3, v[2:3]
	v_add_co_u32_e32 v2, vcc, s56, v2
	v_mov_b32_e32 v1, s95
	v_addc_co_u32_e32 v3, vcc, v1, v3, vcc
	global_load_dwordx2 v[4:5], v[2:3], off
	s_waitcnt vmcnt(0)
	v_cvt_f16_f32_e32 v1, v4
	global_load_dwordx2 v[2:3], v[2:3], off offset:512
	v_cvt_f16_f32_e32 v4, v5
	v_pack_b32_f16 v1, v1, v4
	v_accvgpr_read_b32 v4, a9
	v_pk_mul_f16 v1, v4, v1
	s_waitcnt vmcnt(0)
	v_cvt_f16_f32_e32 v2, v2
	v_cvt_f16_f32_e32 v3, v3
	v_pack_b32_f16 v2, v2, v3
	v_accvgpr_read_b32 v3, a141
	v_pk_mul_f16 v2, v4, v2
	v_add_u32_e32 v3, 0xc0, v3
	ds_write2st64_b32 v3, v1, v2 offset0:24 offset1:25
.LBB30_37:                              ;   in Loop: Header=BB30_14 Depth=1
	s_or_b64 exec, exec, s[8:9]
	v_accvgpr_read_b32 v1, a145
	v_add_u32_e32 v1, s53, v1
	v_cmp_le_i32_e32 vcc, s28, v1
	s_or_b64 s[8:9], vcc, s[74:75]
	s_and_saveexec_b64 s[78:79], s[8:9]
	s_xor_b64 s[8:9], exec, s[78:79]
	s_cbranch_execz .LBB30_39
; %bb.38:                               ;   in Loop: Header=BB30_14 Depth=1
	v_mov_b32_e32 v1, 0
	v_accvgpr_read_b32 v2, a141
	ds_write2st64_b32 v2, v1, v1 offset0:33 offset1:34
                                        ; implicit-def: $vgpr1
.LBB30_39:                              ;   in Loop: Header=BB30_14 Depth=1
	s_andn2_saveexec_b64 s[8:9], s[8:9]
	s_cbranch_execz .LBB30_41
; %bb.40:                               ;   in Loop: Header=BB30_14 Depth=1
	v_mul_lo_u32 v1, v1, s33
	v_accvgpr_read_b32 v2, a21
	v_accvgpr_read_b32 v3, a139
	v_add3_u32 v2, v1, v3, v2
	v_ashrrev_i32_e32 v3, 31, v2
	v_lshlrev_b64 v[2:3], 3, v[2:3]
	v_add_co_u32_e32 v2, vcc, s56, v2
	v_mov_b32_e32 v1, s95
	v_addc_co_u32_e32 v3, vcc, v1, v3, vcc
	global_load_dwordx2 v[4:5], v[2:3], off
	s_waitcnt vmcnt(0)
	v_cvt_f16_f32_e32 v1, v4
	global_load_dwordx2 v[2:3], v[2:3], off offset:512
	v_cvt_f16_f32_e32 v4, v5
	v_pack_b32_f16 v1, v1, v4
	v_accvgpr_read_b32 v4, a9
	v_pk_mul_f16 v1, v4, v1
	s_waitcnt vmcnt(0)
	v_cvt_f16_f32_e32 v2, v2
	v_cvt_f16_f32_e32 v3, v3
	v_pack_b32_f16 v2, v2, v3
	v_pk_mul_f16 v2, v4, v2
	v_accvgpr_read_b32 v3, a141
	ds_write2st64_b32 v3, v1, v2 offset0:33 offset1:34
.LBB30_41:                              ;   in Loop: Header=BB30_14 Depth=1
	s_or_b64 exec, exec, s[8:9]
	v_accvgpr_read_b32 v1, a146
	v_add_u32_e32 v1, s53, v1
	v_cmp_le_i32_e32 vcc, s28, v1
	s_or_b64 s[8:9], vcc, s[74:75]
	s_and_saveexec_b64 s[78:79], s[8:9]
	s_xor_b64 s[8:9], exec, s[78:79]
	s_cbranch_execz .LBB30_43
; %bb.42:                               ;   in Loop: Header=BB30_14 Depth=1
	v_accvgpr_read_b32 v1, a141
	v_add_u32_e32 v1, 64, v1
	v_mov_b32_e32 v2, 0
	ds_write2st64_b32 v1, v2, v2 offset0:41 offset1:42
                                        ; implicit-def: $vgpr1
.LBB30_43:                              ;   in Loop: Header=BB30_14 Depth=1
	s_andn2_saveexec_b64 s[8:9], s[8:9]
	s_cbranch_execz .LBB30_45
; %bb.44:                               ;   in Loop: Header=BB30_14 Depth=1
	v_mul_lo_u32 v1, v1, s33
	v_accvgpr_read_b32 v2, a21
	v_accvgpr_read_b32 v3, a139
	v_add3_u32 v2, v1, v3, v2
	v_ashrrev_i32_e32 v3, 31, v2
	v_lshlrev_b64 v[2:3], 3, v[2:3]
	v_add_co_u32_e32 v2, vcc, s56, v2
	v_mov_b32_e32 v1, s95
	v_addc_co_u32_e32 v3, vcc, v1, v3, vcc
	global_load_dwordx2 v[4:5], v[2:3], off
	s_waitcnt vmcnt(0)
	v_cvt_f16_f32_e32 v1, v4
	global_load_dwordx2 v[2:3], v[2:3], off offset:512
	v_cvt_f16_f32_e32 v4, v5
	v_pack_b32_f16 v1, v1, v4
	v_accvgpr_read_b32 v4, a9
	v_pk_mul_f16 v1, v4, v1
	s_waitcnt vmcnt(0)
	v_cvt_f16_f32_e32 v2, v2
	v_cvt_f16_f32_e32 v3, v3
	v_pack_b32_f16 v2, v2, v3
	v_accvgpr_read_b32 v3, a141
	v_pk_mul_f16 v2, v4, v2
	v_add_u32_e32 v3, 64, v3
	ds_write2st64_b32 v3, v1, v2 offset0:41 offset1:42
.LBB30_45:                              ;   in Loop: Header=BB30_14 Depth=1
	s_or_b64 exec, exec, s[8:9]
	v_accvgpr_read_b32 v1, a147
	v_add_u32_e32 v1, s53, v1
	v_cmp_le_i32_e32 vcc, s28, v1
	s_or_b64 s[8:9], vcc, s[74:75]
	s_and_saveexec_b64 s[74:75], s[8:9]
	s_xor_b64 s[8:9], exec, s[74:75]
	s_cbranch_execz .LBB30_47
; %bb.46:                               ;   in Loop: Header=BB30_14 Depth=1
	v_accvgpr_read_b32 v1, a141
	v_add_u32_e32 v1, 0x80, v1
	v_mov_b32_e32 v2, 0
	ds_write2st64_b32 v1, v2, v2 offset0:49 offset1:50
                                        ; implicit-def: $vgpr1
.LBB30_47:                              ;   in Loop: Header=BB30_14 Depth=1
	s_andn2_saveexec_b64 s[8:9], s[8:9]
	s_cbranch_execz .LBB30_49
; %bb.48:                               ;   in Loop: Header=BB30_14 Depth=1
	v_mul_lo_u32 v1, v1, s33
	v_accvgpr_read_b32 v2, a21
	v_accvgpr_read_b32 v3, a139
	v_add3_u32 v2, v1, v3, v2
	v_ashrrev_i32_e32 v3, 31, v2
	v_lshlrev_b64 v[2:3], 3, v[2:3]
	v_add_co_u32_e32 v2, vcc, s56, v2
	v_mov_b32_e32 v1, s95
	v_addc_co_u32_e32 v3, vcc, v1, v3, vcc
	global_load_dwordx2 v[4:5], v[2:3], off
	s_waitcnt vmcnt(0)
	v_cvt_f16_f32_e32 v1, v4
	global_load_dwordx2 v[2:3], v[2:3], off offset:512
	v_cvt_f16_f32_e32 v4, v5
	v_pack_b32_f16 v1, v1, v4
	v_accvgpr_read_b32 v4, a9
	v_pk_mul_f16 v1, v4, v1
	s_waitcnt vmcnt(0)
	v_cvt_f16_f32_e32 v2, v2
	v_cvt_f16_f32_e32 v3, v3
	v_pack_b32_f16 v2, v2, v3
	v_accvgpr_read_b32 v3, a141
	v_pk_mul_f16 v2, v4, v2
	v_add_u32_e32 v3, 0x80, v3
	ds_write2st64_b32 v3, v1, v2 offset0:49 offset1:50
.LBB30_49:                              ;   in Loop: Header=BB30_14 Depth=1
	s_or_b64 exec, exec, s[8:9]
	v_accvgpr_read_b32 v1, a22
	s_waitcnt lgkmcnt(0)
	s_barrier
	ds_read2_b64 v[30:33], v1 offset1:4
	ds_read2_b64 v[26:29], v1 offset0:8 offset1:12
	ds_read2_b64 v[22:25], v1 offset0:16 offset1:20
	ds_read2_b64 v[18:21], v1 offset0:24 offset1:28
	ds_read2_b64 v[14:17], v1 offset0:32 offset1:36
	ds_read2_b64 v[10:13], v1 offset0:40 offset1:44
	ds_read2_b64 v[6:9], v1 offset0:48 offset1:52
	ds_read2_b64 v[2:5], v1 offset0:56 offset1:60
	v_accvgpr_read_b32 v1, a23
	v_add_u32_e32 v38, s53, v1
	v_accvgpr_read_b32 v1, a137
	s_add_i32 s77, s62, -1
	v_add_u32_e32 v36, s53, v1
	s_cmp_gt_i32 s77, s76
	v_mul_hi_u32 v39, s42, v38
	v_mul_hi_u32 v37, s42, v36
	s_waitcnt lgkmcnt(0)
	s_barrier
	s_cbranch_scc1 .LBB30_52
; %bb.50:                               ;   in Loop: Header=BB30_14 Depth=1
	v_add_u32_e32 v1, v38, v39
	v_lshrrev_b32_e32 v1, s43, v1
	v_mul_lo_u32 v1, v1, s28
	v_sub_u32_e32 v1, v38, v1
	v_mad_i64_i32 v[86:87], s[8:9], v1, s44, 0
	v_add_u32_e32 v1, v36, v37
	v_lshrrev_b32_e32 v1, s43, v1
	v_mul_lo_u32 v1, v1, s28
	v_sub_u32_e32 v1, v36, v1
	v_mad_i64_i32 v[88:89], s[8:9], v1, s44, 0
	s_mov_b64 s[8:9], 0
	s_mov_b32 s74, 0xfeffffff
	s_mov_b32 s78, 0
	;; [unrolled: 1-line block ×3, first 2 shown]
	s_branch .LBB30_53
.LBB30_51:                              ;   in Loop: Header=BB30_14 Depth=1
	s_cbranch_execz .LBB30_13
	s_branch .LBB30_212
.LBB30_52:                              ;   in Loop: Header=BB30_14 Depth=1
	s_mov_b64 s[8:9], -1
                                        ; implicit-def: $sgpr75
                                        ; implicit-def: $sgpr78
                                        ; implicit-def: $sgpr74
                                        ; implicit-def: $vgpr86_vgpr87
                                        ; implicit-def: $vgpr88_vgpr89
.LBB30_53:                              ;   in Loop: Header=BB30_14 Depth=1
	s_andn2_b64 vcc, exec, s[8:9]
	v_mov_b32_e32 v1, s75
	v_mov_b32_e32 v35, s78
	;; [unrolled: 1-line block ×34, first 2 shown]
	s_cbranch_vccnz .LBB30_89
; %bb.54:                               ;   in Loop: Header=BB30_14 Depth=1
	v_accvgpr_read_b32 v34, a138
	v_lshlrev_b32_e32 v1, 1, v34
	v_add_co_u32_e32 v96, vcc, v229, v1
	v_add_u32_e32 v1, v38, v39
	v_lshrrev_b32_e32 v1, s43, v1
	v_mul_lo_u32 v1, v1, s28
	v_sub_u32_e32 v1, v38, v1
	v_mad_i64_i32 v[86:87], s[8:9], v1, s44, 0
	v_add_u32_e32 v1, v36, v37
	v_lshrrev_b32_e32 v1, s43, v1
	v_mul_lo_u32 v1, v1, s28
	v_sub_u32_e32 v1, v36, v1
	v_accvgpr_read_b32 v35, a136
	v_mad_i64_i32 v[88:89], s[8:9], v1, s44, 0
	v_and_b32_e32 v1, 64, v35
	v_addc_co_u32_e32 v97, vcc, 0, v228, vcc
	v_add_u32_e32 v1, 64, v1
	v_xor_b32_e32 v34, 32, v35
	v_cmp_lt_i32_e32 vcc, v34, v1
	v_cndmask_b32_e32 v34, v35, v34, vcc
	v_lshlrev_b32_e32 v98, 2, v34
	v_xor_b32_e32 v34, 16, v35
	v_cmp_lt_i32_e32 vcc, v34, v1
	v_cndmask_b32_e32 v1, v35, v34, vcc
	v_mov_b32_e32 v76, 0
	v_lshlrev_b32_e32 v99, 2, v1
	s_lshl_b32 s8, s76, 6
	v_mov_b32_e32 v115, 0
	v_mov_b32_e32 v121, 0xfeffffff
	v_mov_b32_e32 v120, 0
	v_mov_b32_e32 v118, 0
	v_mov_b32_e32 v117, 0
	v_mov_b32_e32 v116, 0
	v_mov_b32_e32 v82, 0
	v_mov_b32_e32 v114, 0
	v_mov_b32_e32 v113, 0
	v_mov_b32_e32 v112, 0
	v_mov_b32_e32 v111, 0
	v_mov_b32_e32 v110, 0
	v_mov_b32_e32 v109, 0
	v_mov_b32_e32 v108, 0
	v_mov_b32_e32 v107, 0
	v_mov_b32_e32 v106, 0
	v_mov_b32_e32 v105, 0
	v_mov_b32_e32 v104, 0
	v_mov_b32_e32 v103, 0
	v_mov_b32_e32 v102, 0
	v_mov_b32_e32 v80, 0
	v_mov_b32_e32 v101, 0
	v_mov_b32_e32 v100, 0
	v_mov_b32_e32 v95, 0
	v_mov_b32_e32 v94, 0
	v_mov_b32_e32 v93, 0
	v_mov_b32_e32 v92, 0
	v_mov_b32_e32 v91, 0
	v_mov_b32_e32 v90, 0
	v_mov_b32_e32 v83, 0
	v_mov_b32_e32 v81, 0
	v_mov_b32_e32 v79, 0
	v_mov_b32_e32 v1, 0
.LBB30_55:                              ;   Parent Loop BB30_14 Depth=1
                                        ; =>  This Inner Loop Header: Depth=2
	s_ashr_i32 s9, s8, 31
	s_lshl_b64 s[74:75], s[8:9], 1
	v_add_co_u32_e32 v36, vcc, s74, v96
	v_mov_b32_e32 v34, s75
	v_addc_co_u32_e32 v37, vcc, v97, v34, vcc
	v_lshlrev_b64 v[34:35], 1, v[86:87]
	v_add_co_u32_e32 v34, vcc, v36, v34
	v_addc_co_u32_e32 v35, vcc, v37, v35, vcc
	global_load_dword v34, v[34:35], off
	v_add_u32_e32 v38, v215, v221
	s_mul_hi_i32 s75, s8, s40
	s_mul_i32 s74, s8, s40
	s_lshl_b64 s[74:75], s[74:75], 2
	s_add_u32 s9, s84, s74
	s_addc_u32 s74, s81, s75
                                        ; implicit-def: $vgpr122
	s_waitcnt vmcnt(0)
	ds_write_b32 v38, v34 offset:33792
	v_lshlrev_b64 v[34:35], 1, v[88:89]
	v_add_co_u32_e32 v34, vcc, v36, v34
	v_addc_co_u32_e32 v35, vcc, v37, v35, vcc
	global_load_dword v34, v[34:35], off
	v_mov_b32_e32 v35, s74
	s_waitcnt vmcnt(0)
	ds_write_b32 v38, v34 offset:34944
	v_add_co_u32_e32 v34, vcc, s9, v60
	v_addc_co_u32_e32 v35, vcc, v35, v61, vcc
	v_add_co_u32_e32 v34, vcc, v34, v186
	v_addc_co_u32_e32 v35, vcc, 0, v35, vcc
	global_load_dwordx4 v[34:37], v[34:35], off
	v_add_u32_e32 v38, 0x4000, v135
	s_waitcnt vmcnt(0)
	ds_write_b128 v134, v[34:37]
	v_add_co_u32_e32 v34, vcc, s9, v62
	v_mov_b32_e32 v35, s74
	v_addc_co_u32_e32 v35, vcc, v35, v63, vcc
	v_add_co_u32_e32 v34, vcc, v34, v186
	v_addc_co_u32_e32 v35, vcc, 0, v35, vcc
	global_load_dwordx4 v[34:37], v[34:35], off
	s_waitcnt vmcnt(0)
	ds_write_b128 v216, v[34:37]
	v_add_co_u32_e32 v34, vcc, s9, v64
	v_mov_b32_e32 v35, s74
	v_addc_co_u32_e32 v35, vcc, v35, v65, vcc
	v_add_co_u32_e32 v34, vcc, v34, v186
	v_addc_co_u32_e32 v35, vcc, 0, v35, vcc
	global_load_dwordx4 v[34:37], v[34:35], off
	;; [unrolled: 8-line block ×7, first 2 shown]
	s_waitcnt vmcnt(0)
	ds_write_b128 v206, v[34:37]
	s_waitcnt lgkmcnt(0)
	s_barrier
	ds_read2_b64 v[34:37], v135 offset1:4
	s_waitcnt lgkmcnt(0)
	v_mfma_f32_16x16x16f16 a[0:3], v[34:35], v[30:31], 0
	v_mfma_f32_16x16x16f16 a[0:3], v[36:37], v[32:33], a[0:3]
	ds_read2_b64 v[34:37], v135 offset0:8 offset1:12
	s_waitcnt lgkmcnt(0)
	v_mfma_f32_16x16x16f16 a[0:3], v[34:35], v[26:27], a[0:3]
	v_mfma_f32_16x16x16f16 a[0:3], v[36:37], v[28:29], a[0:3]
	ds_read2_b64 v[34:37], v135 offset0:16 offset1:20
	s_waitcnt lgkmcnt(0)
	v_mfma_f32_16x16x16f16 a[0:3], v[34:35], v[22:23], a[0:3]
	v_mfma_f32_16x16x16f16 a[0:3], v[36:37], v[24:25], a[0:3]
	ds_read2_b64 v[34:37], v135 offset0:24 offset1:28
	s_waitcnt lgkmcnt(0)
	v_mfma_f32_16x16x16f16 a[0:3], v[34:35], v[18:19], a[0:3]
	v_mfma_f32_16x16x16f16 a[0:3], v[36:37], v[20:21], a[0:3]
	ds_read2_b64 v[34:37], v135 offset0:32 offset1:36
	s_waitcnt lgkmcnt(0)
	v_mfma_f32_16x16x16f16 a[0:3], v[34:35], v[14:15], a[0:3]
	v_mfma_f32_16x16x16f16 a[0:3], v[36:37], v[16:17], a[0:3]
	ds_read2_b64 v[34:37], v135 offset0:40 offset1:44
	s_waitcnt lgkmcnt(0)
	v_mfma_f32_16x16x16f16 a[0:3], v[34:35], v[10:11], a[0:3]
	v_mfma_f32_16x16x16f16 a[0:3], v[36:37], v[12:13], a[0:3]
	ds_read2_b64 v[34:37], v135 offset0:48 offset1:52
	s_waitcnt lgkmcnt(0)
	v_mfma_f32_16x16x16f16 a[0:3], v[34:35], v[6:7], a[0:3]
	v_mfma_f32_16x16x16f16 a[0:3], v[36:37], v[8:9], a[0:3]
	ds_read2_b64 v[34:37], v135 offset0:56 offset1:60
	s_waitcnt lgkmcnt(0)
	v_mfma_f32_16x16x16f16 a[0:3], v[34:35], v[2:3], a[0:3]
	v_mfma_f32_16x16x16f16 a[4:7], v[36:37], v[4:5], a[0:3]
	ds_read2_b64 v[34:37], v38 offset0:64 offset1:68
	s_waitcnt lgkmcnt(0)
	v_mfma_f32_16x16x16f16 a[0:3], v[34:35], v[30:31], 0
	v_mfma_f32_16x16x16f16 a[0:3], v[36:37], v[32:33], a[0:3]
	ds_read2_b64 v[34:37], v38 offset0:72 offset1:76
	s_waitcnt lgkmcnt(0)
	v_mfma_f32_16x16x16f16 a[0:3], v[34:35], v[26:27], a[0:3]
	v_mfma_f32_16x16x16f16 a[0:3], v[36:37], v[28:29], a[0:3]
	ds_read2_b64 v[34:37], v38 offset0:80 offset1:84
	s_waitcnt lgkmcnt(0)
	v_mfma_f32_16x16x16f16 a[0:3], v[34:35], v[22:23], a[0:3]
	v_mfma_f32_16x16x16f16 a[0:3], v[36:37], v[24:25], a[0:3]
	ds_read2_b64 v[34:37], v38 offset0:88 offset1:92
	s_waitcnt lgkmcnt(0)
	v_mfma_f32_16x16x16f16 a[0:3], v[34:35], v[18:19], a[0:3]
	v_mfma_f32_16x16x16f16 a[0:3], v[36:37], v[20:21], a[0:3]
	ds_read2_b64 v[34:37], v38 offset0:96 offset1:100
	s_waitcnt lgkmcnt(0)
	v_mfma_f32_16x16x16f16 a[0:3], v[34:35], v[14:15], a[0:3]
	v_mfma_f32_16x16x16f16 a[0:3], v[36:37], v[16:17], a[0:3]
	ds_read2_b64 v[34:37], v38 offset0:104 offset1:108
	s_waitcnt lgkmcnt(0)
	v_mfma_f32_16x16x16f16 a[0:3], v[34:35], v[10:11], a[0:3]
	v_mfma_f32_16x16x16f16 a[0:3], v[36:37], v[12:13], a[0:3]
	ds_read2_b64 v[34:37], v38 offset0:112 offset1:116
	s_waitcnt lgkmcnt(0)
	v_mfma_f32_16x16x16f16 a[0:3], v[34:35], v[6:7], a[0:3]
	v_mfma_f32_16x16x16f16 a[0:3], v[36:37], v[8:9], a[0:3]
	ds_read2_b64 v[34:37], v38 offset0:120 offset1:124
	s_waitcnt lgkmcnt(0)
	s_barrier
	v_mfma_f32_16x16x16f16 a[0:3], v[34:35], v[2:3], a[0:3]
	v_accvgpr_read_b32 v34, a4
	v_cmp_nlt_f32_e64 s[74:75], |v34|, s45
	v_mfma_f32_16x16x16f16 a[0:3], v[36:37], v[4:5], a[0:3]
	s_and_saveexec_b64 s[78:79], s[74:75]
	s_xor_b64 s[74:75], exec, s[78:79]
	s_cbranch_execz .LBB30_57
; %bb.56:                               ;   in Loop: Header=BB30_55 Depth=2
	v_add_f32_e64 v34, |v34|, |v34|
	v_mul_f32_e32 v35, 0x3fb8aa3b, v34
	v_rndne_f32_e32 v36, v35
	v_sub_f32_e32 v37, v35, v36
	v_fma_f32 v35, v34, s67, -v35
	v_fmac_f32_e32 v35, 0x32a5705f, v34
	v_add_f32_e32 v35, v37, v35
	v_cvt_i32_f32_e32 v36, v36
	v_exp_f32_e32 v35, v35
	v_cmp_ngt_f32_e32 vcc, s55, v34
	v_ldexp_f32 v35, v35, v36
	v_cndmask_b32_e32 v35, 0, v35, vcc
	v_cmp_nlt_f32_e32 vcc, s7, v34
	v_cndmask_b32_e32 v34, v237, v35, vcc
	v_add_f32_e32 v34, 1.0, v34
	v_rcp_f32_e32 v34, v34
	v_fma_f32 v122, v34, -2.0, 1.0
                                        ; implicit-def: $vgpr34
.LBB30_57:                              ;   in Loop: Header=BB30_55 Depth=2
	s_andn2_saveexec_b64 s[74:75], s[74:75]
; %bb.58:                               ;   in Loop: Header=BB30_55 Depth=2
	v_mul_f32_e32 v35, v34, v34
	v_mov_b32_e32 v36, 0x3ca908c9
	v_fmac_f32_e32 v36, 0xbbbac73d, v35
	v_fma_f32 v36, v35, v36, v234
	v_fma_f32 v36, v35, v36, v235
	;; [unrolled: 1-line block ×3, first 2 shown]
	v_mul_f32_e64 v36, |v34|, v36
	v_fma_f32 v122, v35, v36, |v34|
; %bb.59:                               ;   in Loop: Header=BB30_55 Depth=2
	s_or_b64 exec, exec, s[74:75]
	v_accvgpr_read_b32 v37, a7
	v_accvgpr_read_b32 v35, a5
	;; [unrolled: 1-line block ×4, first 2 shown]
	v_cmp_nlt_f32_e64 s[74:75], |v35|, s45
                                        ; implicit-def: $vgpr131
	s_and_saveexec_b64 s[78:79], s[74:75]
	s_xor_b64 s[74:75], exec, s[78:79]
	s_cbranch_execz .LBB30_61
; %bb.60:                               ;   in Loop: Header=BB30_55 Depth=2
	v_add_f32_e64 v38, |v35|, |v35|
	v_mul_f32_e32 v39, 0x3fb8aa3b, v38
	v_rndne_f32_e32 v40, v39
	v_sub_f32_e32 v41, v39, v40
	v_fma_f32 v39, v38, s67, -v39
	v_fmac_f32_e32 v39, 0x32a5705f, v38
	v_add_f32_e32 v39, v41, v39
	v_cvt_i32_f32_e32 v40, v40
	v_exp_f32_e32 v39, v39
	v_cmp_ngt_f32_e32 vcc, s55, v38
	v_ldexp_f32 v39, v39, v40
	v_cndmask_b32_e32 v39, 0, v39, vcc
	v_cmp_nlt_f32_e32 vcc, s7, v38
	v_cndmask_b32_e32 v38, v237, v39, vcc
	v_add_f32_e32 v38, 1.0, v38
	v_rcp_f32_e32 v38, v38
	v_fma_f32 v131, v38, -2.0, 1.0
.LBB30_61:                              ;   in Loop: Header=BB30_55 Depth=2
	s_andn2_saveexec_b64 s[74:75], s[74:75]
; %bb.62:                               ;   in Loop: Header=BB30_55 Depth=2
	v_mul_f32_e32 v38, v35, v35
	v_mov_b32_e32 v39, 0x3ca908c9
	v_fmac_f32_e32 v39, 0xbbbac73d, v38
	v_fma_f32 v39, v38, v39, v234
	v_fma_f32 v39, v38, v39, v235
	;; [unrolled: 1-line block ×3, first 2 shown]
	v_mul_f32_e64 v39, |v35|, v39
	v_fma_f32 v131, v38, v39, |v35|
; %bb.63:                               ;   in Loop: Header=BB30_55 Depth=2
	s_or_b64 exec, exec, s[74:75]
	v_cmp_nlt_f32_e64 s[74:75], |v36|, s45
                                        ; implicit-def: $vgpr133
	s_and_saveexec_b64 s[78:79], s[74:75]
	s_xor_b64 s[74:75], exec, s[78:79]
	s_cbranch_execz .LBB30_65
; %bb.64:                               ;   in Loop: Header=BB30_55 Depth=2
	v_add_f32_e64 v38, |v36|, |v36|
	v_mul_f32_e32 v39, 0x3fb8aa3b, v38
	v_rndne_f32_e32 v40, v39
	v_sub_f32_e32 v41, v39, v40
	v_fma_f32 v39, v38, s67, -v39
	v_fmac_f32_e32 v39, 0x32a5705f, v38
	v_add_f32_e32 v39, v41, v39
	v_cvt_i32_f32_e32 v40, v40
	v_exp_f32_e32 v39, v39
	v_cmp_ngt_f32_e32 vcc, s55, v38
	v_ldexp_f32 v39, v39, v40
	v_cndmask_b32_e32 v39, 0, v39, vcc
	v_cmp_nlt_f32_e32 vcc, s7, v38
	v_cndmask_b32_e32 v38, v237, v39, vcc
	v_add_f32_e32 v38, 1.0, v38
	v_rcp_f32_e32 v38, v38
	v_fma_f32 v133, v38, -2.0, 1.0
.LBB30_65:                              ;   in Loop: Header=BB30_55 Depth=2
	s_andn2_saveexec_b64 s[74:75], s[74:75]
; %bb.66:                               ;   in Loop: Header=BB30_55 Depth=2
	v_mul_f32_e32 v38, v36, v36
	v_mov_b32_e32 v39, 0x3ca908c9
	v_fmac_f32_e32 v39, 0xbbbac73d, v38
	v_fma_f32 v39, v38, v39, v234
	v_fma_f32 v39, v38, v39, v235
	v_fma_f32 v39, v38, v39, v236
	v_mul_f32_e64 v39, |v36|, v39
	v_fma_f32 v133, v38, v39, |v36|
; %bb.67:                               ;   in Loop: Header=BB30_55 Depth=2
	s_or_b64 exec, exec, s[74:75]
	v_cmp_nlt_f32_e64 s[74:75], |v37|, s45
                                        ; implicit-def: $vgpr185
	s_and_saveexec_b64 s[78:79], s[74:75]
	s_xor_b64 s[74:75], exec, s[78:79]
	s_cbranch_execz .LBB30_69
; %bb.68:                               ;   in Loop: Header=BB30_55 Depth=2
	v_add_f32_e64 v38, |v37|, |v37|
	v_mul_f32_e32 v39, 0x3fb8aa3b, v38
	v_rndne_f32_e32 v40, v39
	v_sub_f32_e32 v41, v39, v40
	v_fma_f32 v39, v38, s67, -v39
	v_fmac_f32_e32 v39, 0x32a5705f, v38
	v_add_f32_e32 v39, v41, v39
	v_cvt_i32_f32_e32 v40, v40
	v_exp_f32_e32 v39, v39
	v_cmp_ngt_f32_e32 vcc, s55, v38
	v_ldexp_f32 v39, v39, v40
	v_cndmask_b32_e32 v39, 0, v39, vcc
	v_cmp_nlt_f32_e32 vcc, s7, v38
	v_cndmask_b32_e32 v38, v237, v39, vcc
	v_add_f32_e32 v38, 1.0, v38
	v_rcp_f32_e32 v38, v38
	v_fma_f32 v185, v38, -2.0, 1.0
.LBB30_69:                              ;   in Loop: Header=BB30_55 Depth=2
	s_andn2_saveexec_b64 s[74:75], s[74:75]
; %bb.70:                               ;   in Loop: Header=BB30_55 Depth=2
	v_mul_f32_e32 v38, v37, v37
	v_mov_b32_e32 v39, 0x3ca908c9
	v_fmac_f32_e32 v39, 0xbbbac73d, v38
	v_fma_f32 v39, v38, v39, v234
	v_fma_f32 v39, v38, v39, v235
	;; [unrolled: 1-line block ×3, first 2 shown]
	v_mul_f32_e64 v39, |v37|, v39
	v_fma_f32 v185, v38, v39, |v37|
; %bb.71:                               ;   in Loop: Header=BB30_55 Depth=2
	s_or_b64 exec, exec, s[74:75]
	v_accvgpr_read_b32 v41, a3
	v_accvgpr_read_b32 v38, a0
	;; [unrolled: 1-line block ×4, first 2 shown]
	v_cmp_nlt_f32_e64 s[74:75], |v38|, s45
                                        ; implicit-def: $vgpr189
	s_and_saveexec_b64 s[78:79], s[74:75]
	s_xor_b64 s[74:75], exec, s[78:79]
	s_cbranch_execz .LBB30_73
; %bb.72:                               ;   in Loop: Header=BB30_55 Depth=2
	v_add_f32_e64 v132, |v38|, |v38|
	v_mul_f32_e32 v140, 0x3fb8aa3b, v132
	v_rndne_f32_e32 v141, v140
	v_sub_f32_e32 v142, v140, v141
	v_fma_f32 v140, v132, s67, -v140
	v_fmac_f32_e32 v140, 0x32a5705f, v132
	v_add_f32_e32 v140, v142, v140
	v_cvt_i32_f32_e32 v141, v141
	v_exp_f32_e32 v140, v140
	v_cmp_ngt_f32_e32 vcc, s55, v132
	v_ldexp_f32 v140, v140, v141
	v_cndmask_b32_e32 v140, 0, v140, vcc
	v_cmp_nlt_f32_e32 vcc, s7, v132
	v_cndmask_b32_e32 v132, v237, v140, vcc
	v_add_f32_e32 v132, 1.0, v132
	v_rcp_f32_e32 v132, v132
	v_fma_f32 v189, v132, -2.0, 1.0
.LBB30_73:                              ;   in Loop: Header=BB30_55 Depth=2
	s_andn2_saveexec_b64 s[74:75], s[74:75]
; %bb.74:                               ;   in Loop: Header=BB30_55 Depth=2
	v_mul_f32_e32 v132, v38, v38
	v_mov_b32_e32 v140, 0x3ca908c9
	v_fmac_f32_e32 v140, 0xbbbac73d, v132
	v_fma_f32 v140, v132, v140, v234
	v_fma_f32 v140, v132, v140, v235
	;; [unrolled: 1-line block ×3, first 2 shown]
	v_mul_f32_e64 v140, |v38|, v140
	v_fma_f32 v189, v132, v140, |v38|
; %bb.75:                               ;   in Loop: Header=BB30_55 Depth=2
	s_or_b64 exec, exec, s[74:75]
	v_cmp_nlt_f32_e64 s[74:75], |v39|, s45
                                        ; implicit-def: $vgpr132
	s_and_saveexec_b64 s[78:79], s[74:75]
	s_xor_b64 s[74:75], exec, s[78:79]
	s_cbranch_execz .LBB30_77
; %bb.76:                               ;   in Loop: Header=BB30_55 Depth=2
	v_add_f32_e64 v132, |v39|, |v39|
	v_mul_f32_e32 v140, 0x3fb8aa3b, v132
	v_rndne_f32_e32 v141, v140
	v_sub_f32_e32 v142, v140, v141
	v_fma_f32 v140, v132, s67, -v140
	v_fmac_f32_e32 v140, 0x32a5705f, v132
	v_add_f32_e32 v140, v142, v140
	v_cvt_i32_f32_e32 v141, v141
	v_exp_f32_e32 v140, v140
	v_cmp_ngt_f32_e32 vcc, s55, v132
	v_ldexp_f32 v140, v140, v141
	v_cndmask_b32_e32 v140, 0, v140, vcc
	v_cmp_nlt_f32_e32 vcc, s7, v132
	v_cndmask_b32_e32 v132, v237, v140, vcc
	v_add_f32_e32 v132, 1.0, v132
	v_rcp_f32_e32 v132, v132
	v_fma_f32 v132, v132, -2.0, 1.0
.LBB30_77:                              ;   in Loop: Header=BB30_55 Depth=2
	s_andn2_saveexec_b64 s[74:75], s[74:75]
; %bb.78:                               ;   in Loop: Header=BB30_55 Depth=2
	v_mul_f32_e32 v132, v39, v39
	v_mov_b32_e32 v140, 0x3ca908c9
	v_fmac_f32_e32 v140, 0xbbbac73d, v132
	v_fma_f32 v140, v132, v140, v234
	v_fma_f32 v140, v132, v140, v235
	v_fma_f32 v140, v132, v140, v236
	v_mul_f32_e64 v140, |v39|, v140
	v_fma_f32 v132, v132, v140, |v39|
; %bb.79:                               ;   in Loop: Header=BB30_55 Depth=2
	s_or_b64 exec, exec, s[74:75]
	v_cmp_nlt_f32_e64 s[74:75], |v40|, s45
                                        ; implicit-def: $vgpr190
	s_and_saveexec_b64 s[78:79], s[74:75]
	s_xor_b64 s[74:75], exec, s[78:79]
	s_cbranch_execz .LBB30_81
; %bb.80:                               ;   in Loop: Header=BB30_55 Depth=2
	v_add_f32_e64 v140, |v40|, |v40|
	v_mul_f32_e32 v141, 0x3fb8aa3b, v140
	v_rndne_f32_e32 v142, v141
	v_sub_f32_e32 v143, v141, v142
	v_fma_f32 v141, v140, s67, -v141
	v_fmac_f32_e32 v141, 0x32a5705f, v140
	v_add_f32_e32 v141, v143, v141
	v_cvt_i32_f32_e32 v142, v142
	v_exp_f32_e32 v141, v141
	v_cmp_ngt_f32_e32 vcc, s55, v140
	v_ldexp_f32 v141, v141, v142
	v_cndmask_b32_e32 v141, 0, v141, vcc
	v_cmp_nlt_f32_e32 vcc, s7, v140
	v_cndmask_b32_e32 v140, v237, v141, vcc
	v_add_f32_e32 v140, 1.0, v140
	v_rcp_f32_e32 v140, v140
	v_fma_f32 v190, v140, -2.0, 1.0
.LBB30_81:                              ;   in Loop: Header=BB30_55 Depth=2
	s_andn2_saveexec_b64 s[74:75], s[74:75]
; %bb.82:                               ;   in Loop: Header=BB30_55 Depth=2
	v_mul_f32_e32 v140, v40, v40
	v_mov_b32_e32 v141, 0x3ca908c9
	v_fmac_f32_e32 v141, 0xbbbac73d, v140
	v_fma_f32 v141, v140, v141, v234
	v_fma_f32 v141, v140, v141, v235
	;; [unrolled: 1-line block ×3, first 2 shown]
	v_mul_f32_e64 v141, |v40|, v141
	v_fma_f32 v190, v140, v141, |v40|
; %bb.83:                               ;   in Loop: Header=BB30_55 Depth=2
	s_or_b64 exec, exec, s[74:75]
	v_cmp_nlt_f32_e64 s[74:75], |v41|, s45
                                        ; implicit-def: $vgpr191
	s_and_saveexec_b64 s[78:79], s[74:75]
	s_xor_b64 s[74:75], exec, s[78:79]
	s_cbranch_execz .LBB30_85
; %bb.84:                               ;   in Loop: Header=BB30_55 Depth=2
	v_add_f32_e64 v140, |v41|, |v41|
	v_mul_f32_e32 v141, 0x3fb8aa3b, v140
	v_rndne_f32_e32 v142, v141
	v_sub_f32_e32 v143, v141, v142
	v_fma_f32 v141, v140, s67, -v141
	v_fmac_f32_e32 v141, 0x32a5705f, v140
	v_add_f32_e32 v141, v143, v141
	v_cvt_i32_f32_e32 v142, v142
	v_exp_f32_e32 v141, v141
	v_cmp_ngt_f32_e32 vcc, s55, v140
	v_ldexp_f32 v141, v141, v142
	v_cndmask_b32_e32 v141, 0, v141, vcc
	v_cmp_nlt_f32_e32 vcc, s7, v140
	v_cndmask_b32_e32 v140, v237, v141, vcc
	v_add_f32_e32 v140, 1.0, v140
	v_rcp_f32_e32 v140, v140
	v_fma_f32 v191, v140, -2.0, 1.0
.LBB30_85:                              ;   in Loop: Header=BB30_55 Depth=2
	s_andn2_saveexec_b64 s[74:75], s[74:75]
; %bb.86:                               ;   in Loop: Header=BB30_55 Depth=2
	v_mul_f32_e32 v140, v41, v41
	v_mov_b32_e32 v141, 0x3ca908c9
	v_fmac_f32_e32 v141, 0xbbbac73d, v140
	v_fma_f32 v141, v140, v141, v234
	v_fma_f32 v141, v140, v141, v235
	;; [unrolled: 1-line block ×3, first 2 shown]
	v_mul_f32_e64 v141, |v41|, v141
	v_fma_f32 v191, v140, v141, |v41|
; %bb.87:                               ;   in Loop: Header=BB30_55 Depth=2
	s_or_b64 exec, exec, s[74:75]
	v_bfi_b32 v140, s6, v133, v36
	v_add_u32_e32 v36, 0x8400, v219
	v_bfi_b32 v39, s6, v132, v39
	v_bfi_b32 v35, s6, v131, v35
	;; [unrolled: 1-line block ×3, first 2 shown]
	ds_read2_b32 v[132:133], v36 offset1:1
	ds_read_b32 v122, v187 offset:33792
	ds_read_b32 v131, v188 offset:33792
	v_bfi_b32 v141, s6, v185, v37
	v_bfi_b32 v41, s6, v191, v41
	s_waitcnt lgkmcnt(2)
	v_cvt_f32_f16_e32 v36, v132
	v_cvt_f32_f16_sdwa v37, v132 dst_sel:DWORD dst_unused:UNUSED_PAD src0_sel:WORD_1
	v_bfi_b32 v40, s6, v190, v40
	v_bfi_b32 v38, s6, v189, v38
	s_mul_hi_i32 s75, s8, s30
	v_pk_fma_f32 v[142:143], v[34:35], s[34:35], v[36:37]
	v_add_f32_e32 v34, 0x40051340, v142
	v_add_f32_e32 v35, 0x40051340, v143
	v_max3_f32 v132, v121, v34, v35
	s_waitcnt lgkmcnt(0)
	v_cvt_f32_f16_sdwa v35, v131 dst_sel:DWORD dst_unused:UNUSED_PAD src0_sel:WORD_1
	v_cvt_f32_f16_e32 v34, v131
	s_mul_i32 s74, s8, s30
	s_lshl_b64 s[74:75], s[74:75], 2
	s_add_u32 s9, s82, s74
	v_pk_fma_f32 v[36:37], v[40:41], s[34:35], v[34:35]
	v_cvt_f32_f16_sdwa v35, v122 dst_sel:DWORD dst_unused:UNUSED_PAD src0_sel:WORD_1
	v_cvt_f32_f16_e32 v34, v122
	v_add_f32_e32 v131, 0x40051340, v36
	v_add_f32_e32 v144, 0x40051340, v37
	s_addc_u32 s74, s83, s75
	v_pk_fma_f32 v[38:39], v[38:39], s[34:35], v[34:35]
	v_cvt_f32_f16_e32 v34, v133
	v_cvt_f32_f16_sdwa v35, v133 dst_sel:DWORD dst_unused:UNUSED_PAD src0_sel:WORD_1
	v_add_f32_e32 v122, 0x40051340, v38
	v_add_f32_e32 v145, 0x40051340, v39
	s_add_i32 s76, s76, 1
	v_pk_fma_f32 v[40:41], v[140:141], s[34:35], v[34:35]
	v_add_f32_e32 v34, 0x40051340, v40
	v_add_f32_e32 v35, 0x40051340, v41
	v_max3_f32 v34, v132, v34, v35
	v_max3_f32 v34, v34, v122, v145
	v_max3_f32 v34, v34, v131, v144
	ds_bpermute_b32 v35, v98, v34
	s_add_i32 s8, s8, 64
	s_cmp_lt_i32 s76, s77
	s_waitcnt lgkmcnt(0)
	v_max_f32_e32 v35, v35, v35
	v_max_f32_e32 v34, v34, v35
	ds_bpermute_b32 v35, v99, v34
	s_waitcnt lgkmcnt(0)
	v_max_f32_e32 v35, v35, v35
	v_max_f32_e32 v34, v34, v35
	v_pk_add_f32 v[132:133], v[142:143], v[34:35] op_sel_hi:[1,0] neg_lo:[0,1] neg_hi:[0,1]
	v_mul_f32_e32 v35, 0x3fb8aa3b, v133
	v_fma_f32 v122, v133, s67, -v35
	v_rndne_f32_e32 v131, v35
	v_fmac_f32_e32 v122, 0x32a5705f, v133
	v_sub_f32_e32 v35, v35, v131
	v_add_f32_e32 v35, v35, v122
	v_exp_f32_e32 v35, v35
	v_cvt_i32_f32_e32 v122, v131
	v_cmp_ngt_f32_e32 vcc, s55, v133
	v_ldexp_f32 v35, v35, v122
	v_cndmask_b32_e32 v35, 0, v35, vcc
	v_cmp_nlt_f32_e32 vcc, s7, v133
	v_cndmask_b32_e32 v122, v237, v35, vcc
	v_mul_f32_e32 v35, 0x3fb8aa3b, v132
	v_fma_f32 v131, v132, s67, -v35
	v_rndne_f32_e32 v133, v35
	v_fmac_f32_e32 v131, 0x32a5705f, v132
	v_sub_f32_e32 v35, v35, v133
	v_add_f32_e32 v35, v35, v131
	v_exp_f32_e32 v35, v35
	v_cvt_i32_f32_e32 v131, v133
	v_cmp_ngt_f32_e32 vcc, s55, v132
	v_ldexp_f32 v35, v35, v131
	v_cndmask_b32_e32 v35, 0, v35, vcc
	v_cmp_nlt_f32_e32 vcc, s7, v132
	v_pk_add_f32 v[40:41], v[40:41], v[34:35] op_sel_hi:[1,0] neg_lo:[0,1] neg_hi:[0,1]
	v_cndmask_b32_e32 v131, v237, v35, vcc
	v_mul_f32_e32 v35, 0x3fb8aa3b, v41
	v_fma_f32 v132, v41, s67, -v35
	v_rndne_f32_e32 v133, v35
	v_fmac_f32_e32 v132, 0x32a5705f, v41
	v_sub_f32_e32 v35, v35, v133
	v_add_f32_e32 v35, v35, v132
	v_exp_f32_e32 v35, v35
	v_cvt_i32_f32_e32 v132, v133
	v_cmp_ngt_f32_e32 vcc, s55, v41
	v_ldexp_f32 v35, v35, v132
	v_cndmask_b32_e32 v35, 0, v35, vcc
	v_cmp_nlt_f32_e32 vcc, s7, v41
	v_cndmask_b32_e32 v132, v237, v35, vcc
	v_mul_f32_e32 v35, 0x3fb8aa3b, v40
	v_fma_f32 v41, v40, s67, -v35
	v_rndne_f32_e32 v133, v35
	v_fmac_f32_e32 v41, 0x32a5705f, v40
	v_sub_f32_e32 v35, v35, v133
	v_add_f32_e32 v35, v35, v41
	v_exp_f32_e32 v35, v35
	v_cvt_i32_f32_e32 v41, v133
	v_cmp_ngt_f32_e32 vcc, s55, v40
	v_ldexp_f32 v35, v35, v41
	v_cndmask_b32_e32 v35, 0, v35, vcc
	v_cmp_nlt_f32_e32 vcc, s7, v40
	v_pk_add_f32 v[38:39], v[38:39], v[34:35] op_sel_hi:[1,0] neg_lo:[0,1] neg_hi:[0,1]
	v_cndmask_b32_e32 v133, v237, v35, vcc
	;; [unrolled: 27-line block ×3, first 2 shown]
	v_mul_f32_e32 v35, 0x3fb8aa3b, v37
	v_fma_f32 v38, v37, s67, -v35
	v_rndne_f32_e32 v39, v35
	v_fmac_f32_e32 v38, 0x32a5705f, v37
	v_sub_f32_e32 v35, v35, v39
	v_add_f32_e32 v35, v35, v38
	v_exp_f32_e32 v35, v35
	v_cvt_i32_f32_e32 v38, v39
	v_cmp_ngt_f32_e32 vcc, s55, v37
	v_ldexp_f32 v35, v35, v38
	v_cndmask_b32_e32 v35, 0, v35, vcc
	v_cmp_nlt_f32_e32 vcc, s7, v37
	v_cndmask_b32_e32 v37, v237, v35, vcc
	v_mul_f32_e32 v35, 0x3fb8aa3b, v36
	v_fma_f32 v38, v36, s67, -v35
	v_rndne_f32_e32 v39, v35
	v_fmac_f32_e32 v38, 0x32a5705f, v36
	v_sub_f32_e32 v35, v35, v39
	v_add_f32_e32 v35, v35, v38
	v_exp_f32_e32 v35, v35
	v_cvt_i32_f32_e32 v38, v39
	v_cmp_ngt_f32_e32 vcc, s55, v36
	v_ldexp_f32 v35, v35, v38
	v_cndmask_b32_e32 v35, 0, v35, vcc
	v_cmp_nlt_f32_e32 vcc, s7, v36
	v_sub_f32_e32 v36, v121, v34
	v_mul_f32_e32 v38, 0x3fb8aa3b, v36
	v_fma_f32 v39, v36, s67, -v38
	v_rndne_f32_e32 v40, v38
	v_fmac_f32_e32 v39, 0x32a5705f, v36
	v_sub_f32_e32 v38, v38, v40
	v_add_f32_e32 v38, v38, v39
	v_exp_f32_e32 v38, v38
	v_cvt_i32_f32_e32 v39, v40
	v_cndmask_b32_e32 v142, v237, v35, vcc
	v_add_f32_e32 v35, v131, v122
	v_add_f32_e32 v35, v133, v35
	;; [unrolled: 1-line block ×4, first 2 shown]
	v_ldexp_f32 v38, v38, v39
	v_cmp_ngt_f32_e32 vcc, s55, v36
	v_add_f32_e32 v35, v140, v35
	v_cndmask_b32_e32 v38, 0, v38, vcc
	v_cmp_nlt_f32_e32 vcc, s7, v36
	v_add_f32_e32 v35, v142, v35
	v_cndmask_b32_e32 v38, v237, v38, vcc
	v_cmp_le_f32_e32 vcc, s89, v36
	v_add_f32_e32 v35, v37, v35
	v_cndmask_b32_e32 v36, 0, v38, vcc
	v_fmac_f32_e32 v35, v115, v36
	v_cvt_f16_f32_e32 v36, v36
	v_cvt_f16_f32_e32 v38, v122
	;; [unrolled: 1-line block ×4, first 2 shown]
	v_pk_mul_f16 v79, v36, v79 op_sel_hi:[0,1]
	v_pk_mul_f16 v1, v36, v1 op_sel_hi:[0,1]
	v_pk_mul_f16 v83, v36, v83 op_sel_hi:[0,1]
	v_pk_mul_f16 v81, v36, v81 op_sel_hi:[0,1]
	v_pk_mul_f16 v91, v36, v91 op_sel_hi:[0,1]
	v_pk_mul_f16 v90, v36, v90 op_sel_hi:[0,1]
	v_pk_mul_f16 v93, v36, v93 op_sel_hi:[0,1]
	v_pk_mul_f16 v92, v36, v92 op_sel_hi:[0,1]
	v_pk_mul_f16 v95, v36, v95 op_sel_hi:[0,1]
	v_pk_mul_f16 v94, v36, v94 op_sel_hi:[0,1]
	v_pk_mul_f16 v101, v36, v101 op_sel_hi:[0,1]
	v_pk_mul_f16 v100, v36, v100 op_sel_hi:[0,1]
	v_pk_mul_f16 v102, v36, v102 op_sel_hi:[0,1]
	v_pk_mul_f16 v80, v36, v80 op_sel_hi:[0,1]
	v_pk_mul_f16 v104, v36, v104 op_sel_hi:[0,1]
	v_pk_mul_f16 v103, v36, v103 op_sel_hi:[0,1]
	v_pk_mul_f16 v106, v36, v106 op_sel_hi:[0,1]
	v_pk_mul_f16 v105, v36, v105 op_sel_hi:[0,1]
	v_pk_mul_f16 v108, v36, v108 op_sel_hi:[0,1]
	v_pk_mul_f16 v107, v36, v107 op_sel_hi:[0,1]
	v_pk_mul_f16 v110, v36, v110 op_sel_hi:[0,1]
	v_pk_mul_f16 v109, v36, v109 op_sel_hi:[0,1]
	v_pk_mul_f16 v112, v36, v112 op_sel_hi:[0,1]
	v_pk_mul_f16 v111, v36, v111 op_sel_hi:[0,1]
	v_pk_mul_f16 v114, v36, v114 op_sel_hi:[0,1]
	v_pk_mul_f16 v113, v36, v113 op_sel_hi:[0,1]
	v_pk_mul_f16 v116, v36, v116 op_sel_hi:[0,1]
	v_pk_mul_f16 v82, v36, v82 op_sel_hi:[0,1]
	v_pk_mul_f16 v118, v36, v118 op_sel_hi:[0,1]
	v_pk_mul_f16 v115, v36, v117 op_sel_hi:[0,1]
	v_pk_mul_f16 v41, v36, v76 op_sel_hi:[0,1]
	v_pk_mul_f16 v40, v36, v120 op_sel_hi:[0,1]
	v_cvt_f16_f32_e32 v36, v131
	v_cvt_f16_f32_e32 v76, v141
	v_mov_b32_e32 v117, s74
	v_pack_b32_f16 v38, v36, v38
	v_cvt_f16_f32_e32 v36, v132
	v_pack_b32_f16 v39, v39, v36
	v_cvt_f16_f32_e32 v36, v140
	;; [unrolled: 2-line block ×3, first 2 shown]
	v_pack_b32_f16 v37, v76, v37
	v_add_co_u32_e32 v76, vcc, s9, v44
	v_addc_co_u32_e32 v117, vcc, v117, v45, vcc
	v_add_co_u32_e32 v120, vcc, v76, v186
	v_addc_co_u32_e32 v121, vcc, 0, v117, vcc
	global_load_dwordx4 v[222:225], v[120:121], off
	v_add_co_u32_e32 v76, vcc, s9, v46
	v_mov_b32_e32 v117, s74
	v_addc_co_u32_e32 v117, vcc, v117, v47, vcc
	v_add_co_u32_e32 v132, vcc, v76, v186
	v_addc_co_u32_e32 v133, vcc, 0, v117, vcc
	v_add_co_u32_e32 v76, vcc, s9, v48
	v_mov_b32_e32 v117, s74
	v_addc_co_u32_e32 v117, vcc, v117, v49, vcc
	v_add_co_u32_e32 v140, vcc, v76, v186
	v_addc_co_u32_e32 v141, vcc, 0, v117, vcc
	;; [unrolled: 5-line block ×7, first 2 shown]
	s_waitcnt vmcnt(0)
	ds_write_b128 v134, v[222:225]
	global_load_dwordx4 v[222:225], v[132:133], off
	s_waitcnt vmcnt(0)
	ds_write_b128 v216, v[222:225]
	global_load_dwordx4 v[222:225], v[140:141], off
	;; [unrolled: 3-line block ×7, first 2 shown]
	s_waitcnt vmcnt(0)
	ds_write_b128 v206, v[222:225]
	s_waitcnt lgkmcnt(0)
	s_barrier
	ds_read_u16 v76, v138 offset:528
	ds_read_u16 v117, v138 offset:1056
	v_cvt_f32_f16_e32 v224, v1
	v_cvt_f32_f16_sdwa v225, v1 dst_sel:DWORD dst_unused:UNUSED_PAD src0_sel:WORD_1
	ds_read_u16 v1, v139
	ds_read_u16 v122, v139 offset:32
	v_cvt_f32_f16_e32 v222, v79
	v_cvt_f32_f16_sdwa v223, v79 dst_sel:DWORD dst_unused:UNUSED_PAD src0_sel:WORD_1
	s_waitcnt lgkmcnt(1)
	v_perm_b32 v121, v1, v117, s66
	ds_read_u16 v1, v137
	ds_read_u16 v117, v137 offset:32
	v_accvgpr_write_b32 a0, v222
	v_accvgpr_write_b32 a1, v223
	;; [unrolled: 1-line block ×3, first 2 shown]
	s_waitcnt lgkmcnt(1)
	v_perm_b32 v120, v76, v1, s66
	v_accvgpr_write_b32 a3, v225
	s_nop 1
	v_mfma_f32_16x16x16f16 a[0:3], v[120:121], v[38:39], a[0:3]
	ds_read_u16 v131, v137 offset:16896
	ds_read_u16 v132, v207 offset:528
	;; [unrolled: 1-line block ×4, first 2 shown]
	s_waitcnt lgkmcnt(0)
	v_perm_b32 v121, v133, v121, s66
	s_nop 4
	v_accvgpr_read_b32 v1, a0
	v_cvt_f16_f32_e32 v1, v1
	v_accvgpr_read_b32 v76, a1
	v_accvgpr_read_b32 v79, a2
	;; [unrolled: 1-line block ×3, first 2 shown]
	v_cvt_f16_f32_e32 v76, v76
	v_cvt_f16_f32_e32 v79, v79
	;; [unrolled: 1-line block ×3, first 2 shown]
	v_cvt_f32_f16_e32 v222, v1
	v_cvt_f32_f16_e32 v223, v76
	;; [unrolled: 1-line block ×4, first 2 shown]
	v_perm_b32 v120, v132, v131, s66
	v_accvgpr_write_b32 a0, v222
	v_accvgpr_write_b32 a1, v223
	;; [unrolled: 1-line block ×4, first 2 shown]
	v_cvt_f32_f16_e32 v222, v83
	v_cvt_f32_f16_sdwa v223, v83 dst_sel:DWORD dst_unused:UNUSED_PAD src0_sel:WORD_1
	v_mfma_f32_16x16x16f16 a[0:3], v[120:121], v[36:37], a[0:3]
	v_cvt_f32_f16_e32 v224, v81
	v_cvt_f32_f16_sdwa v225, v81 dst_sel:DWORD dst_unused:UNUSED_PAD src0_sel:WORD_1
	s_nop 7
	s_nop 0
	v_accvgpr_read_b32 v79, a2
	v_accvgpr_read_b32 v1, a0
	;; [unrolled: 1-line block ×3, first 2 shown]
	v_cvt_f16_f32_e32 v120, v79
	v_accvgpr_read_b32 v79, a3
	v_cvt_f16_f32_e32 v1, v1
	v_cvt_f16_f32_e32 v76, v76
	;; [unrolled: 1-line block ×3, first 2 shown]
	v_accvgpr_write_b32 a0, v222
	v_accvgpr_write_b32 a1, v223
	v_pack_b32_f16 v79, v1, v76
	v_pack_b32_f16 v1, v120, v121
	ds_read_u16 v76, v208 offset:528
	ds_read_u16 v120, v208 offset:1056
	v_accvgpr_write_b32 a2, v224
	v_accvgpr_write_b32 a3, v225
	s_waitcnt lgkmcnt(0)
	v_perm_b32 v121, v122, v120, s66
	v_perm_b32 v120, v76, v117, s66
	s_nop 1
	v_mfma_f32_16x16x16f16 a[0:3], v[120:121], v[38:39], a[0:3]
	ds_read_u16 v120, v220 offset:16896
	ds_read_u16 v122, v170 offset:528
	;; [unrolled: 1-line block ×4, first 2 shown]
	s_waitcnt lgkmcnt(2)
	v_perm_b32 v120, v122, v120, s66
	s_waitcnt lgkmcnt(0)
	v_perm_b32 v121, v131, v121, s66
	s_nop 2
	v_accvgpr_read_b32 v76, a0
	v_cvt_f16_f32_e32 v76, v76
	v_accvgpr_read_b32 v81, a1
	v_accvgpr_read_b32 v83, a2
	;; [unrolled: 1-line block ×3, first 2 shown]
	v_cvt_f16_f32_e32 v81, v81
	v_cvt_f16_f32_e32 v83, v83
	;; [unrolled: 1-line block ×3, first 2 shown]
	v_cvt_f32_f16_e32 v222, v76
	v_cvt_f32_f16_e32 v223, v81
	;; [unrolled: 1-line block ×4, first 2 shown]
	v_accvgpr_write_b32 a0, v222
	v_accvgpr_write_b32 a1, v223
	v_accvgpr_write_b32 a2, v224
	v_accvgpr_write_b32 a3, v225
	v_cvt_f32_f16_e32 v222, v91
	v_cvt_f32_f16_sdwa v223, v91 dst_sel:DWORD dst_unused:UNUSED_PAD src0_sel:WORD_1
	v_mfma_f32_16x16x16f16 a[0:3], v[120:121], v[36:37], a[0:3]
	v_cvt_f32_f16_e32 v224, v90
	v_cvt_f32_f16_sdwa v225, v90 dst_sel:DWORD dst_unused:UNUSED_PAD src0_sel:WORD_1
	s_nop 7
	s_nop 0
	v_accvgpr_read_b32 v83, a2
	v_accvgpr_read_b32 v76, a0
	v_accvgpr_read_b32 v81, a1
	v_cvt_f16_f32_e32 v117, v83
	v_accvgpr_read_b32 v83, a3
	v_cvt_f16_f32_e32 v76, v76
	v_cvt_f16_f32_e32 v81, v81
	v_cvt_f16_f32_e32 v120, v83
	v_accvgpr_write_b32 a0, v222
	v_accvgpr_write_b32 a1, v223
	v_pack_b32_f16 v83, v76, v81
	v_pack_b32_f16 v81, v117, v120
	ds_read_u16 v76, v137 offset:64
	ds_read_u16 v117, v202 offset:528
	ds_read_u16 v120, v202 offset:1056
	ds_read_u16 v121, v139 offset:64
	v_accvgpr_write_b32 a2, v224
	v_accvgpr_write_b32 a3, v225
	s_waitcnt lgkmcnt(2)
	v_perm_b32 v90, v117, v76, s66
	s_waitcnt lgkmcnt(0)
	v_perm_b32 v91, v121, v120, s66
	ds_read_u16 v120, v136 offset:16896
	ds_read_u16 v121, v171 offset:528
	ds_read_u16 v122, v203 offset:1056
	ds_read_u16 v131, v193 offset:16896
	v_mfma_f32_16x16x16f16 a[0:3], v[90:91], v[38:39], a[0:3]
	s_nop 7
	s_nop 2
	v_accvgpr_read_b32 v76, a0
	v_cvt_f16_f32_e32 v76, v76
	v_accvgpr_read_b32 v90, a1
	v_accvgpr_read_b32 v91, a2
	v_accvgpr_read_b32 v117, a3
	v_cvt_f16_f32_e32 v90, v90
	v_cvt_f16_f32_e32 v91, v91
	v_cvt_f16_f32_e32 v117, v117
	v_cvt_f32_f16_e32 v222, v76
	v_cvt_f32_f16_e32 v223, v90
	v_cvt_f32_f16_e32 v224, v91
	v_cvt_f32_f16_e32 v225, v117
	s_waitcnt lgkmcnt(0)
	v_perm_b32 v91, v131, v122, s66
	v_perm_b32 v90, v121, v120, s66
	v_accvgpr_write_b32 a0, v222
	v_accvgpr_write_b32 a1, v223
	v_accvgpr_write_b32 a2, v224
	v_accvgpr_write_b32 a3, v225
	v_cvt_f32_f16_e32 v222, v93
	v_cvt_f32_f16_sdwa v223, v93 dst_sel:DWORD dst_unused:UNUSED_PAD src0_sel:WORD_1
	v_mfma_f32_16x16x16f16 a[0:3], v[90:91], v[36:37], a[0:3]
	v_cvt_f32_f16_e32 v224, v92
	v_cvt_f32_f16_sdwa v225, v92 dst_sel:DWORD dst_unused:UNUSED_PAD src0_sel:WORD_1
	s_nop 7
	s_nop 0
	v_accvgpr_read_b32 v91, a2
	v_accvgpr_read_b32 v76, a0
	v_accvgpr_read_b32 v90, a1
	v_cvt_f16_f32_e32 v117, v91
	v_accvgpr_read_b32 v91, a3
	v_cvt_f16_f32_e32 v76, v76
	v_cvt_f16_f32_e32 v90, v90
	v_cvt_f16_f32_e32 v120, v91
	v_accvgpr_write_b32 a0, v222
	v_accvgpr_write_b32 a1, v223
	v_pack_b32_f16 v91, v76, v90
	v_pack_b32_f16 v90, v117, v120
	ds_read_u16 v76, v137 offset:96
	ds_read_u16 v117, v204 offset:528
	ds_read_u16 v120, v204 offset:1056
	ds_read_u16 v121, v139 offset:96
	v_accvgpr_write_b32 a2, v224
	v_accvgpr_write_b32 a3, v225
	s_waitcnt lgkmcnt(2)
	v_perm_b32 v92, v117, v76, s66
	s_waitcnt lgkmcnt(0)
	v_perm_b32 v93, v121, v120, s66
	ds_read_u16 v120, v192 offset:16896
	ds_read_u16 v121, v172 offset:528
	ds_read_u16 v122, v205 offset:1056
	ds_read_u16 v131, v214 offset:16896
	v_mfma_f32_16x16x16f16 a[0:3], v[92:93], v[38:39], a[0:3]
	s_nop 7
	s_nop 2
	v_accvgpr_read_b32 v76, a0
	v_cvt_f16_f32_e32 v76, v76
	v_accvgpr_read_b32 v92, a1
	v_accvgpr_read_b32 v93, a2
	v_accvgpr_read_b32 v117, a3
	v_cvt_f16_f32_e32 v92, v92
	v_cvt_f16_f32_e32 v93, v93
	v_cvt_f16_f32_e32 v117, v117
	v_cvt_f32_f16_e32 v222, v76
	v_cvt_f32_f16_e32 v223, v92
	v_cvt_f32_f16_e32 v224, v93
	v_cvt_f32_f16_e32 v225, v117
	s_waitcnt lgkmcnt(0)
	v_perm_b32 v93, v131, v122, s66
	v_perm_b32 v92, v121, v120, s66
	;; [unrolled: 55-line block ×4, first 2 shown]
	v_accvgpr_write_b32 a0, v222
	v_accvgpr_write_b32 a1, v223
	v_accvgpr_write_b32 a2, v224
	v_accvgpr_write_b32 a3, v225
	v_cvt_f32_f16_e32 v222, v102
	v_cvt_f32_f16_sdwa v223, v102 dst_sel:DWORD dst_unused:UNUSED_PAD src0_sel:WORD_1
	v_mfma_f32_16x16x16f16 a[0:3], v[100:101], v[36:37], a[0:3]
	v_cvt_f32_f16_e32 v224, v80
	v_cvt_f32_f16_sdwa v225, v80 dst_sel:DWORD dst_unused:UNUSED_PAD src0_sel:WORD_1
	s_nop 7
	s_nop 0
	v_accvgpr_read_b32 v101, a2
	v_accvgpr_read_b32 v76, a0
	v_accvgpr_read_b32 v100, a1
	v_cvt_f16_f32_e32 v117, v101
	v_accvgpr_read_b32 v101, a3
	v_cvt_f16_f32_e32 v76, v76
	v_cvt_f16_f32_e32 v100, v100
	v_cvt_f16_f32_e32 v120, v101
	v_accvgpr_write_b32 a0, v222
	v_accvgpr_write_b32 a1, v223
	v_pack_b32_f16 v101, v76, v100
	v_pack_b32_f16 v100, v117, v120
	ds_read_u16 v76, v137 offset:192
	ds_read_u16 v117, v124 offset:528
	ds_read_u16 v120, v124 offset:1056
	ds_read_u16 v121, v139 offset:192
	v_accvgpr_write_b32 a2, v224
	v_accvgpr_write_b32 a3, v225
	s_waitcnt lgkmcnt(0)
	v_perm_b32 v121, v121, v120, s66
	v_perm_b32 v120, v117, v76, s66
	s_nop 1
	v_mfma_f32_16x16x16f16 a[0:3], v[120:121], v[38:39], a[0:3]
	ds_read_u16 v120, v150 offset:16896
	ds_read_u16 v122, v175 offset:528
	ds_read_u16 v121, v125 offset:1056
	ds_read_u16 v131, v227 offset:16896
	s_waitcnt lgkmcnt(2)
	v_perm_b32 v120, v122, v120, s66
	s_waitcnt lgkmcnt(0)
	v_perm_b32 v121, v131, v121, s66
	s_nop 2
	v_accvgpr_read_b32 v76, a0
	v_cvt_f16_f32_e32 v76, v76
	v_accvgpr_read_b32 v80, a1
	v_accvgpr_read_b32 v102, a2
	v_accvgpr_read_b32 v117, a3
	v_cvt_f16_f32_e32 v80, v80
	v_cvt_f16_f32_e32 v102, v102
	v_cvt_f16_f32_e32 v117, v117
	v_cvt_f32_f16_e32 v222, v76
	v_cvt_f32_f16_e32 v223, v80
	v_cvt_f32_f16_e32 v224, v102
	v_cvt_f32_f16_e32 v225, v117
	v_accvgpr_write_b32 a0, v222
	v_accvgpr_write_b32 a1, v223
	v_accvgpr_write_b32 a2, v224
	v_accvgpr_write_b32 a3, v225
	v_cvt_f32_f16_e32 v222, v104
	v_cvt_f32_f16_sdwa v223, v104 dst_sel:DWORD dst_unused:UNUSED_PAD src0_sel:WORD_1
	v_mfma_f32_16x16x16f16 a[0:3], v[120:121], v[36:37], a[0:3]
	v_cvt_f32_f16_e32 v224, v103
	v_cvt_f32_f16_sdwa v225, v103 dst_sel:DWORD dst_unused:UNUSED_PAD src0_sel:WORD_1
	s_nop 7
	s_nop 0
	v_accvgpr_read_b32 v102, a2
	v_accvgpr_read_b32 v76, a0
	v_accvgpr_read_b32 v80, a1
	v_cvt_f16_f32_e32 v117, v102
	v_accvgpr_read_b32 v102, a3
	v_cvt_f16_f32_e32 v76, v76
	v_cvt_f16_f32_e32 v80, v80
	v_cvt_f16_f32_e32 v120, v102
	v_accvgpr_write_b32 a0, v222
	v_accvgpr_write_b32 a1, v223
	v_pack_b32_f16 v102, v76, v80
	v_pack_b32_f16 v80, v117, v120
	ds_read_u16 v76, v137 offset:224
	ds_read_u16 v117, v126 offset:528
	ds_read_u16 v120, v126 offset:1056
	ds_read_u16 v121, v139 offset:224
	v_accvgpr_write_b32 a2, v224
	v_accvgpr_write_b32 a3, v225
	s_waitcnt lgkmcnt(0)
	v_perm_b32 v121, v121, v120, s66
	v_perm_b32 v120, v117, v76, s66
	s_nop 1
	v_mfma_f32_16x16x16f16 a[0:3], v[120:121], v[38:39], a[0:3]
	ds_read_u16 v120, v152 offset:16896
	ds_read_u16 v122, v176 offset:528
	ds_read_u16 v121, v127 offset:1056
	ds_read_u16 v131, v153 offset:16896
	s_waitcnt lgkmcnt(2)
	v_perm_b32 v120, v122, v120, s66
	s_waitcnt lgkmcnt(0)
	v_perm_b32 v121, v131, v121, s66
	s_nop 2
	v_accvgpr_read_b32 v76, a0
	v_cvt_f16_f32_e32 v76, v76
	v_accvgpr_read_b32 v103, a1
	v_accvgpr_read_b32 v104, a2
	v_accvgpr_read_b32 v117, a3
	v_cvt_f16_f32_e32 v103, v103
	v_cvt_f16_f32_e32 v104, v104
	v_cvt_f16_f32_e32 v117, v117
	v_cvt_f32_f16_e32 v222, v76
	v_cvt_f32_f16_e32 v223, v103
	v_cvt_f32_f16_e32 v224, v104
	v_cvt_f32_f16_e32 v225, v117
	;; [unrolled: 55-line block ×7, first 2 shown]
	v_accvgpr_write_b32 a0, v222
	v_accvgpr_write_b32 a1, v223
	;; [unrolled: 1-line block ×4, first 2 shown]
	v_cvt_f32_f16_e32 v222, v116
	v_cvt_f32_f16_sdwa v223, v116 dst_sel:DWORD dst_unused:UNUSED_PAD src0_sel:WORD_1
	v_mfma_f32_16x16x16f16 a[0:3], v[120:121], v[36:37], a[0:3]
	v_cvt_f32_f16_e32 v224, v82
	v_cvt_f32_f16_sdwa v225, v82 dst_sel:DWORD dst_unused:UNUSED_PAD src0_sel:WORD_1
	s_nop 7
	s_nop 0
	v_accvgpr_read_b32 v114, a2
	v_accvgpr_read_b32 v76, a0
	;; [unrolled: 1-line block ×3, first 2 shown]
	v_cvt_f16_f32_e32 v117, v114
	v_accvgpr_read_b32 v114, a3
	v_cvt_f16_f32_e32 v76, v76
	v_cvt_f16_f32_e32 v113, v113
	;; [unrolled: 1-line block ×3, first 2 shown]
	v_accvgpr_write_b32 a0, v222
	v_accvgpr_write_b32 a1, v223
	v_pack_b32_f16 v114, v76, v113
	v_pack_b32_f16 v113, v117, v120
	ds_read_u16 v76, v137 offset:416
	ds_read_u16 v117, v251 offset:528
	;; [unrolled: 1-line block ×4, first 2 shown]
	v_accvgpr_write_b32 a2, v224
	v_accvgpr_write_b32 a3, v225
	s_waitcnt lgkmcnt(0)
	v_perm_b32 v121, v121, v120, s66
	v_perm_b32 v120, v117, v76, s66
	s_nop 1
	v_mfma_f32_16x16x16f16 a[0:3], v[120:121], v[38:39], a[0:3]
	ds_read_u16 v120, v164 offset:16896
	ds_read_u16 v121, v182 offset:528
	;; [unrolled: 1-line block ×4, first 2 shown]
	s_nop 6
	v_accvgpr_read_b32 v76, a0
	v_cvt_f16_f32_e32 v76, v76
	v_accvgpr_read_b32 v82, a1
	v_accvgpr_read_b32 v116, a2
	;; [unrolled: 1-line block ×3, first 2 shown]
	v_cvt_f16_f32_e32 v82, v82
	v_cvt_f16_f32_e32 v116, v116
	;; [unrolled: 1-line block ×3, first 2 shown]
	v_cvt_f32_f16_e32 v222, v76
	v_cvt_f32_f16_e32 v223, v82
	;; [unrolled: 1-line block ×4, first 2 shown]
	s_waitcnt lgkmcnt(0)
	v_perm_b32 v117, v131, v122, s66
	v_perm_b32 v116, v121, v120, s66
	v_accvgpr_write_b32 a0, v222
	v_accvgpr_write_b32 a1, v223
	;; [unrolled: 1-line block ×4, first 2 shown]
	v_cvt_f32_f16_e32 v222, v118
	v_cvt_f32_f16_sdwa v223, v118 dst_sel:DWORD dst_unused:UNUSED_PAD src0_sel:WORD_1
	v_mfma_f32_16x16x16f16 a[0:3], v[116:117], v[36:37], a[0:3]
	v_cvt_f32_f16_e32 v224, v115
	v_cvt_f32_f16_sdwa v225, v115 dst_sel:DWORD dst_unused:UNUSED_PAD src0_sel:WORD_1
	s_nop 7
	s_nop 0
	v_accvgpr_read_b32 v116, a2
	v_accvgpr_read_b32 v76, a0
	;; [unrolled: 1-line block ×3, first 2 shown]
	v_cvt_f16_f32_e32 v117, v116
	v_accvgpr_read_b32 v116, a3
	v_cvt_f16_f32_e32 v76, v76
	v_cvt_f16_f32_e32 v82, v82
	;; [unrolled: 1-line block ×3, first 2 shown]
	v_accvgpr_write_b32 a0, v222
	v_accvgpr_write_b32 a1, v223
	v_pack_b32_f16 v116, v76, v82
	v_pack_b32_f16 v82, v117, v120
	ds_read_u16 v76, v137 offset:448
	ds_read_u16 v117, v252 offset:528
	;; [unrolled: 1-line block ×4, first 2 shown]
	v_accvgpr_write_b32 a2, v224
	v_accvgpr_write_b32 a3, v225
	s_waitcnt lgkmcnt(0)
	v_perm_b32 v121, v121, v120, s66
	v_perm_b32 v120, v117, v76, s66
	s_nop 1
	v_mfma_f32_16x16x16f16 a[0:3], v[120:121], v[38:39], a[0:3]
	ds_read_u16 v120, v166 offset:16896
	ds_read_u16 v122, v183 offset:528
	;; [unrolled: 1-line block ×4, first 2 shown]
	s_waitcnt lgkmcnt(2)
	v_perm_b32 v120, v122, v120, s66
	s_waitcnt lgkmcnt(0)
	v_perm_b32 v121, v131, v121, s66
	s_nop 2
	v_accvgpr_read_b32 v76, a0
	v_cvt_f16_f32_e32 v76, v76
	v_accvgpr_read_b32 v115, a1
	v_accvgpr_read_b32 v117, a2
	;; [unrolled: 1-line block ×3, first 2 shown]
	v_cvt_f16_f32_e32 v115, v115
	v_cvt_f16_f32_e32 v117, v117
	;; [unrolled: 1-line block ×3, first 2 shown]
	v_cvt_f32_f16_e32 v222, v76
	v_cvt_f32_f16_e32 v223, v115
	;; [unrolled: 1-line block ×4, first 2 shown]
	v_accvgpr_write_b32 a0, v222
	v_accvgpr_write_b32 a1, v223
	;; [unrolled: 1-line block ×4, first 2 shown]
	v_cvt_f32_f16_e32 v222, v41
	v_cvt_f32_f16_sdwa v223, v41 dst_sel:DWORD dst_unused:UNUSED_PAD src0_sel:WORD_1
	v_mfma_f32_16x16x16f16 a[0:3], v[120:121], v[36:37], a[0:3]
	v_cvt_f32_f16_e32 v224, v40
	v_cvt_f32_f16_sdwa v225, v40 dst_sel:DWORD dst_unused:UNUSED_PAD src0_sel:WORD_1
	s_nop 7
	s_nop 0
	v_accvgpr_read_b32 v76, a0
	v_accvgpr_read_b32 v115, a1
	;; [unrolled: 1-line block ×4, first 2 shown]
	v_cvt_f16_f32_e32 v76, v76
	v_cvt_f16_f32_e32 v115, v115
	;; [unrolled: 1-line block ×4, first 2 shown]
	v_accvgpr_write_b32 a0, v222
	v_pack_b32_f16 v118, v76, v115
	v_accvgpr_write_b32 a1, v223
	v_pack_b32_f16 v117, v117, v120
	ds_read_u16 v76, v137 offset:480
	ds_read_u16 v115, v246 offset:528
	;; [unrolled: 1-line block ×4, first 2 shown]
	v_accvgpr_write_b32 a2, v224
	v_accvgpr_write_b32 a3, v225
	s_waitcnt lgkmcnt(2)
	v_perm_b32 v40, v115, v76, s66
	s_waitcnt lgkmcnt(0)
	v_perm_b32 v41, v121, v120, s66
	ds_read_u16 v76, v168 offset:16896
	ds_read_u16 v115, v184 offset:528
	;; [unrolled: 1-line block ×4, first 2 shown]
	v_mfma_f32_16x16x16f16 a[0:3], v[40:41], v[38:39], a[0:3]
	s_waitcnt lgkmcnt(0)
	v_perm_b32 v121, v121, v120, s66
	v_perm_b32 v120, v115, v76, s66
	s_barrier
	s_nop 6
	v_accvgpr_read_b32 v38, a0
	v_cvt_f16_f32_e32 v38, v38
	v_accvgpr_read_b32 v39, a1
	v_accvgpr_read_b32 v40, a2
	;; [unrolled: 1-line block ×3, first 2 shown]
	v_cvt_f16_f32_e32 v39, v39
	v_cvt_f16_f32_e32 v40, v40
	v_cvt_f16_f32_e32 v41, v41
	v_cvt_f32_f16_e32 v38, v38
	v_cvt_f32_f16_e32 v39, v39
	v_cvt_f32_f16_e32 v40, v40
	v_cvt_f32_f16_e32 v41, v41
	v_accvgpr_write_b32 a0, v38
	v_accvgpr_write_b32 a1, v39
	;; [unrolled: 1-line block ×4, first 2 shown]
	s_nop 1
	v_mfma_f32_16x16x16f16 a[0:3], v[120:121], v[36:37], a[0:3]
	s_nop 7
	s_nop 2
	v_accvgpr_read_b32 v36, a0
	v_accvgpr_read_b32 v37, a1
	;; [unrolled: 1-line block ×4, first 2 shown]
	v_cvt_f16_f32_e32 v36, v36
	v_cvt_f16_f32_e32 v37, v37
	;; [unrolled: 1-line block ×4, first 2 shown]
	v_pack_b32_f16 v76, v36, v37
	v_pack_b32_f16 v120, v38, v39
	s_cbranch_scc0 .LBB30_89
; %bb.88:                               ;   in Loop: Header=BB30_55 Depth=2
	v_mov_b32_e32 v115, v35
	v_mov_b32_e32 v121, v34
	s_branch .LBB30_55
.LBB30_89:                              ;   in Loop: Header=BB30_14 Depth=1
	s_lshl_b32 s8, s76, 6
	s_ashr_i32 s9, s8, 31
	s_lshl_b64 s[74:75], s[8:9], 1
	v_add_co_u32_e32 v36, vcc, s74, v229
	v_mov_b32_e32 v37, s75
	v_accvgpr_read_b32 v38, a138
	v_addc_co_u32_e32 v37, vcc, v228, v37, vcc
	v_lshlrev_b32_e32 v38, 1, v38
	v_add_co_u32_e32 v38, vcc, v36, v38
	v_addc_co_u32_e32 v39, vcc, 0, v37, vcc
	v_lshlrev_b64 v[36:37], 1, v[86:87]
	v_add_co_u32_e32 v36, vcc, v38, v36
	v_addc_co_u32_e32 v37, vcc, v39, v37, vcc
	global_load_dword v36, v[36:37], off
	v_add_u32_e32 v40, v215, v221
	s_mul_hi_i32 s75, s40, s8
	s_mul_i32 s74, s40, s8
	s_lshl_b64 s[74:75], s[74:75], 2
	s_add_u32 s9, s84, s74
	s_addc_u32 s74, s81, s75
	s_waitcnt vmcnt(0)
	ds_write_b32 v40, v36 offset:33792
	v_lshlrev_b64 v[36:37], 1, v[88:89]
	v_add_co_u32_e32 v36, vcc, v38, v36
	v_addc_co_u32_e32 v37, vcc, v39, v37, vcc
	global_load_dword v36, v[36:37], off
	v_mov_b32_e32 v37, s74
	s_waitcnt vmcnt(0)
	ds_write_b32 v40, v36 offset:34944
	v_add_co_u32_e32 v36, vcc, s9, v60
	v_addc_co_u32_e32 v37, vcc, v37, v61, vcc
	v_add_co_u32_e32 v36, vcc, v36, v186
	v_addc_co_u32_e32 v37, vcc, 0, v37, vcc
	global_load_dwordx4 v[36:39], v[36:37], off
	v_add_u32_e32 v40, 0x4000, v135
	s_waitcnt vmcnt(0)
	ds_write_b128 v134, v[36:39]
	v_add_co_u32_e32 v36, vcc, s9, v62
	v_mov_b32_e32 v37, s74
	v_addc_co_u32_e32 v37, vcc, v37, v63, vcc
	v_add_co_u32_e32 v36, vcc, v36, v186
	v_addc_co_u32_e32 v37, vcc, 0, v37, vcc
	global_load_dwordx4 v[36:39], v[36:37], off
	s_waitcnt vmcnt(0)
	ds_write_b128 v216, v[36:39]
	v_add_co_u32_e32 v36, vcc, s9, v64
	v_mov_b32_e32 v37, s74
	v_addc_co_u32_e32 v37, vcc, v37, v65, vcc
	v_add_co_u32_e32 v36, vcc, v36, v186
	v_addc_co_u32_e32 v37, vcc, 0, v37, vcc
	global_load_dwordx4 v[36:39], v[36:37], off
	;; [unrolled: 8-line block ×7, first 2 shown]
	s_waitcnt vmcnt(0)
	ds_write_b128 v206, v[36:39]
	s_waitcnt lgkmcnt(0)
	s_barrier
	ds_read2_b64 v[36:39], v135 offset1:4
	s_waitcnt lgkmcnt(0)
	v_mfma_f32_16x16x16f16 a[0:3], v[36:37], v[30:31], 0
	v_mfma_f32_16x16x16f16 a[0:3], v[38:39], v[32:33], a[0:3]
	ds_read2_b64 v[36:39], v135 offset0:8 offset1:12
	s_waitcnt lgkmcnt(0)
	v_mfma_f32_16x16x16f16 a[0:3], v[36:37], v[26:27], a[0:3]
	v_mfma_f32_16x16x16f16 a[0:3], v[38:39], v[28:29], a[0:3]
	ds_read2_b64 v[36:39], v135 offset0:16 offset1:20
	;; [unrolled: 4-line block ×14, first 2 shown]
	s_waitcnt lgkmcnt(0)
	v_mfma_f32_16x16x16f16 a[0:3], v[10:11], v[6:7], a[0:3]
                                        ; implicit-def: $vgpr10
	v_mfma_f32_16x16x16f16 a[0:3], v[12:13], v[8:9], a[0:3]
	ds_read2_b64 v[6:9], v40 offset0:120 offset1:124
	s_waitcnt lgkmcnt(0)
	s_barrier
	v_mfma_f32_16x16x16f16 a[0:3], v[6:7], v[2:3], a[0:3]
	v_accvgpr_read_b32 v2, a4
	v_cmp_nlt_f32_e64 s[74:75], |v2|, s45
	v_mfma_f32_16x16x16f16 a[0:3], v[8:9], v[4:5], a[0:3]
	s_and_saveexec_b64 s[76:77], s[74:75]
	s_xor_b64 s[74:75], exec, s[76:77]
	s_cbranch_execz .LBB30_91
; %bb.90:                               ;   in Loop: Header=BB30_14 Depth=1
	v_add_f32_e64 v2, |v2|, |v2|
	v_mul_f32_e32 v3, 0x3fb8aa3b, v2
	v_rndne_f32_e32 v4, v3
	v_sub_f32_e32 v5, v3, v4
	v_fma_f32 v3, v2, s67, -v3
	v_fmac_f32_e32 v3, 0x32a5705f, v2
	v_add_f32_e32 v3, v5, v3
	v_cvt_i32_f32_e32 v4, v4
	v_exp_f32_e32 v3, v3
	v_cmp_ngt_f32_e32 vcc, s55, v2
	v_ldexp_f32 v3, v3, v4
	v_cndmask_b32_e32 v3, 0, v3, vcc
	v_cmp_nlt_f32_e32 vcc, s7, v2
	v_cndmask_b32_e32 v2, v237, v3, vcc
	v_add_f32_e32 v2, 1.0, v2
	v_rcp_f32_e32 v2, v2
	v_fma_f32 v10, v2, -2.0, 1.0
                                        ; implicit-def: $vgpr2
.LBB30_91:                              ;   in Loop: Header=BB30_14 Depth=1
	s_andn2_saveexec_b64 s[74:75], s[74:75]
; %bb.92:                               ;   in Loop: Header=BB30_14 Depth=1
	v_mul_f32_e32 v3, v2, v2
	v_mov_b32_e32 v4, 0x3ca908c9
	v_fmac_f32_e32 v4, 0xbbbac73d, v3
	v_fma_f32 v4, v3, v4, v234
	v_fma_f32 v4, v3, v4, v235
	;; [unrolled: 1-line block ×3, first 2 shown]
	v_mul_f32_e64 v4, |v2|, v4
	v_fma_f32 v10, v3, v4, |v2|
; %bb.93:                               ;   in Loop: Header=BB30_14 Depth=1
	s_or_b64 exec, exec, s[74:75]
	v_accvgpr_read_b32 v2, a4
	v_accvgpr_read_b32 v3, a5
	;; [unrolled: 1-line block ×4, first 2 shown]
	v_cmp_nlt_f32_e64 s[74:75], |v3|, s45
                                        ; implicit-def: $vgpr11
	s_and_saveexec_b64 s[76:77], s[74:75]
	s_xor_b64 s[74:75], exec, s[76:77]
	s_cbranch_execz .LBB30_95
; %bb.94:                               ;   in Loop: Header=BB30_14 Depth=1
	v_add_f32_e64 v6, |v3|, |v3|
	v_mul_f32_e32 v7, 0x3fb8aa3b, v6
	v_rndne_f32_e32 v8, v7
	v_sub_f32_e32 v9, v7, v8
	v_fma_f32 v7, v6, s67, -v7
	v_fmac_f32_e32 v7, 0x32a5705f, v6
	v_add_f32_e32 v7, v9, v7
	v_cvt_i32_f32_e32 v8, v8
	v_exp_f32_e32 v7, v7
	v_cmp_ngt_f32_e32 vcc, s55, v6
	v_ldexp_f32 v7, v7, v8
	v_cndmask_b32_e32 v7, 0, v7, vcc
	v_cmp_nlt_f32_e32 vcc, s7, v6
	v_cndmask_b32_e32 v6, v237, v7, vcc
	v_add_f32_e32 v6, 1.0, v6
	v_rcp_f32_e32 v6, v6
	v_fma_f32 v11, v6, -2.0, 1.0
.LBB30_95:                              ;   in Loop: Header=BB30_14 Depth=1
	s_andn2_saveexec_b64 s[74:75], s[74:75]
; %bb.96:                               ;   in Loop: Header=BB30_14 Depth=1
	v_mul_f32_e32 v6, v3, v3
	v_mov_b32_e32 v7, 0x3ca908c9
	v_fmac_f32_e32 v7, 0xbbbac73d, v6
	v_fma_f32 v7, v6, v7, v234
	v_fma_f32 v7, v6, v7, v235
	v_fma_f32 v7, v6, v7, v236
	v_mul_f32_e64 v7, |v3|, v7
	v_fma_f32 v11, v6, v7, |v3|
; %bb.97:                               ;   in Loop: Header=BB30_14 Depth=1
	s_or_b64 exec, exec, s[74:75]
	v_cmp_nlt_f32_e64 s[74:75], |v4|, s45
                                        ; implicit-def: $vgpr12
	s_and_saveexec_b64 s[76:77], s[74:75]
	s_xor_b64 s[74:75], exec, s[76:77]
	s_cbranch_execz .LBB30_99
; %bb.98:                               ;   in Loop: Header=BB30_14 Depth=1
	v_add_f32_e64 v6, |v4|, |v4|
	v_mul_f32_e32 v7, 0x3fb8aa3b, v6
	v_rndne_f32_e32 v8, v7
	v_sub_f32_e32 v9, v7, v8
	v_fma_f32 v7, v6, s67, -v7
	v_fmac_f32_e32 v7, 0x32a5705f, v6
	v_add_f32_e32 v7, v9, v7
	v_cvt_i32_f32_e32 v8, v8
	v_exp_f32_e32 v7, v7
	v_cmp_ngt_f32_e32 vcc, s55, v6
	v_ldexp_f32 v7, v7, v8
	v_cndmask_b32_e32 v7, 0, v7, vcc
	v_cmp_nlt_f32_e32 vcc, s7, v6
	v_cndmask_b32_e32 v6, v237, v7, vcc
	v_add_f32_e32 v6, 1.0, v6
	v_rcp_f32_e32 v6, v6
	v_fma_f32 v12, v6, -2.0, 1.0
.LBB30_99:                              ;   in Loop: Header=BB30_14 Depth=1
	s_andn2_saveexec_b64 s[74:75], s[74:75]
; %bb.100:                              ;   in Loop: Header=BB30_14 Depth=1
	v_mul_f32_e32 v6, v4, v4
	v_mov_b32_e32 v7, 0x3ca908c9
	v_fmac_f32_e32 v7, 0xbbbac73d, v6
	v_fma_f32 v7, v6, v7, v234
	v_fma_f32 v7, v6, v7, v235
	;; [unrolled: 1-line block ×3, first 2 shown]
	v_mul_f32_e64 v7, |v4|, v7
	v_fma_f32 v12, v6, v7, |v4|
; %bb.101:                              ;   in Loop: Header=BB30_14 Depth=1
	s_or_b64 exec, exec, s[74:75]
	v_cmp_nlt_f32_e64 s[74:75], |v5|, s45
                                        ; implicit-def: $vgpr13
	s_and_saveexec_b64 s[76:77], s[74:75]
	s_xor_b64 s[74:75], exec, s[76:77]
	s_cbranch_execz .LBB30_103
; %bb.102:                              ;   in Loop: Header=BB30_14 Depth=1
	v_add_f32_e64 v6, |v5|, |v5|
	v_mul_f32_e32 v7, 0x3fb8aa3b, v6
	v_rndne_f32_e32 v8, v7
	v_sub_f32_e32 v9, v7, v8
	v_fma_f32 v7, v6, s67, -v7
	v_fmac_f32_e32 v7, 0x32a5705f, v6
	v_add_f32_e32 v7, v9, v7
	v_cvt_i32_f32_e32 v8, v8
	v_exp_f32_e32 v7, v7
	v_cmp_ngt_f32_e32 vcc, s55, v6
	v_ldexp_f32 v7, v7, v8
	v_cndmask_b32_e32 v7, 0, v7, vcc
	v_cmp_nlt_f32_e32 vcc, s7, v6
	v_cndmask_b32_e32 v6, v237, v7, vcc
	v_add_f32_e32 v6, 1.0, v6
	v_rcp_f32_e32 v6, v6
	v_fma_f32 v13, v6, -2.0, 1.0
.LBB30_103:                             ;   in Loop: Header=BB30_14 Depth=1
	s_andn2_saveexec_b64 s[74:75], s[74:75]
; %bb.104:                              ;   in Loop: Header=BB30_14 Depth=1
	v_mul_f32_e32 v6, v5, v5
	v_mov_b32_e32 v7, 0x3ca908c9
	v_fmac_f32_e32 v7, 0xbbbac73d, v6
	v_fma_f32 v7, v6, v7, v234
	v_fma_f32 v7, v6, v7, v235
	;; [unrolled: 1-line block ×3, first 2 shown]
	v_mul_f32_e64 v7, |v5|, v7
	v_fma_f32 v13, v6, v7, |v5|
; %bb.105:                              ;   in Loop: Header=BB30_14 Depth=1
	s_or_b64 exec, exec, s[74:75]
	v_accvgpr_read_b32 v9, a3
	v_accvgpr_read_b32 v6, a0
	;; [unrolled: 1-line block ×4, first 2 shown]
	v_cmp_nlt_f32_e64 s[74:75], |v6|, s45
                                        ; implicit-def: $vgpr14
	s_and_saveexec_b64 s[76:77], s[74:75]
	s_xor_b64 s[74:75], exec, s[76:77]
	s_cbranch_execz .LBB30_107
; %bb.106:                              ;   in Loop: Header=BB30_14 Depth=1
	v_add_f32_e64 v14, |v6|, |v6|
	v_mul_f32_e32 v15, 0x3fb8aa3b, v14
	v_rndne_f32_e32 v16, v15
	v_sub_f32_e32 v17, v15, v16
	v_fma_f32 v15, v14, s67, -v15
	v_fmac_f32_e32 v15, 0x32a5705f, v14
	v_add_f32_e32 v15, v17, v15
	v_cvt_i32_f32_e32 v16, v16
	v_exp_f32_e32 v15, v15
	v_cmp_ngt_f32_e32 vcc, s55, v14
	v_ldexp_f32 v15, v15, v16
	v_cndmask_b32_e32 v15, 0, v15, vcc
	v_cmp_nlt_f32_e32 vcc, s7, v14
	v_cndmask_b32_e32 v14, v237, v15, vcc
	v_add_f32_e32 v14, 1.0, v14
	v_rcp_f32_e32 v14, v14
	v_fma_f32 v14, v14, -2.0, 1.0
.LBB30_107:                             ;   in Loop: Header=BB30_14 Depth=1
	s_andn2_saveexec_b64 s[74:75], s[74:75]
; %bb.108:                              ;   in Loop: Header=BB30_14 Depth=1
	v_mul_f32_e32 v14, v6, v6
	v_mov_b32_e32 v15, 0x3ca908c9
	v_fmac_f32_e32 v15, 0xbbbac73d, v14
	v_fma_f32 v15, v14, v15, v234
	v_fma_f32 v15, v14, v15, v235
	;; [unrolled: 1-line block ×3, first 2 shown]
	v_mul_f32_e64 v15, |v6|, v15
	v_fma_f32 v14, v14, v15, |v6|
; %bb.109:                              ;   in Loop: Header=BB30_14 Depth=1
	s_or_b64 exec, exec, s[74:75]
	v_cmp_nlt_f32_e64 s[74:75], |v7|, s45
                                        ; implicit-def: $vgpr15
	s_and_saveexec_b64 s[76:77], s[74:75]
	s_xor_b64 s[74:75], exec, s[76:77]
	s_cbranch_execz .LBB30_111
; %bb.110:                              ;   in Loop: Header=BB30_14 Depth=1
	v_add_f32_e64 v15, |v7|, |v7|
	v_mul_f32_e32 v16, 0x3fb8aa3b, v15
	v_rndne_f32_e32 v17, v16
	v_sub_f32_e32 v18, v16, v17
	v_fma_f32 v16, v15, s67, -v16
	v_fmac_f32_e32 v16, 0x32a5705f, v15
	v_add_f32_e32 v16, v18, v16
	v_cvt_i32_f32_e32 v17, v17
	v_exp_f32_e32 v16, v16
	v_cmp_ngt_f32_e32 vcc, s55, v15
	v_ldexp_f32 v16, v16, v17
	v_cndmask_b32_e32 v16, 0, v16, vcc
	v_cmp_nlt_f32_e32 vcc, s7, v15
	v_cndmask_b32_e32 v15, v237, v16, vcc
	v_add_f32_e32 v15, 1.0, v15
	v_rcp_f32_e32 v15, v15
	v_fma_f32 v15, v15, -2.0, 1.0
.LBB30_111:                             ;   in Loop: Header=BB30_14 Depth=1
	s_andn2_saveexec_b64 s[74:75], s[74:75]
; %bb.112:                              ;   in Loop: Header=BB30_14 Depth=1
	v_mul_f32_e32 v15, v7, v7
	v_mov_b32_e32 v16, 0x3ca908c9
	v_fmac_f32_e32 v16, 0xbbbac73d, v15
	v_fma_f32 v16, v15, v16, v234
	v_fma_f32 v16, v15, v16, v235
	;; [unrolled: 1-line block ×3, first 2 shown]
	v_mul_f32_e64 v16, |v7|, v16
	v_fma_f32 v15, v15, v16, |v7|
; %bb.113:                              ;   in Loop: Header=BB30_14 Depth=1
	s_or_b64 exec, exec, s[74:75]
	v_cmp_nlt_f32_e64 s[74:75], |v8|, s45
                                        ; implicit-def: $vgpr16
	s_and_saveexec_b64 s[76:77], s[74:75]
	s_xor_b64 s[74:75], exec, s[76:77]
	s_cbranch_execz .LBB30_115
; %bb.114:                              ;   in Loop: Header=BB30_14 Depth=1
	v_add_f32_e64 v16, |v8|, |v8|
	v_mul_f32_e32 v17, 0x3fb8aa3b, v16
	v_rndne_f32_e32 v18, v17
	v_sub_f32_e32 v19, v17, v18
	v_fma_f32 v17, v16, s67, -v17
	v_fmac_f32_e32 v17, 0x32a5705f, v16
	v_add_f32_e32 v17, v19, v17
	v_cvt_i32_f32_e32 v18, v18
	v_exp_f32_e32 v17, v17
	v_cmp_ngt_f32_e32 vcc, s55, v16
	v_ldexp_f32 v17, v17, v18
	v_cndmask_b32_e32 v17, 0, v17, vcc
	v_cmp_nlt_f32_e32 vcc, s7, v16
	v_cndmask_b32_e32 v16, v237, v17, vcc
	v_add_f32_e32 v16, 1.0, v16
	v_rcp_f32_e32 v16, v16
	v_fma_f32 v16, v16, -2.0, 1.0
.LBB30_115:                             ;   in Loop: Header=BB30_14 Depth=1
	s_andn2_saveexec_b64 s[74:75], s[74:75]
; %bb.116:                              ;   in Loop: Header=BB30_14 Depth=1
	v_mul_f32_e32 v16, v8, v8
	v_mov_b32_e32 v17, 0x3ca908c9
	v_fmac_f32_e32 v17, 0xbbbac73d, v16
	v_fma_f32 v17, v16, v17, v234
	v_fma_f32 v17, v16, v17, v235
	;; [unrolled: 1-line block ×3, first 2 shown]
	v_mul_f32_e64 v17, |v8|, v17
	v_fma_f32 v16, v16, v17, |v8|
; %bb.117:                              ;   in Loop: Header=BB30_14 Depth=1
	s_or_b64 exec, exec, s[74:75]
	v_cmp_nlt_f32_e64 s[74:75], |v9|, s45
                                        ; implicit-def: $vgpr17
	s_and_saveexec_b64 s[76:77], s[74:75]
	s_xor_b64 s[74:75], exec, s[76:77]
	s_cbranch_execz .LBB30_119
; %bb.118:                              ;   in Loop: Header=BB30_14 Depth=1
	v_add_f32_e64 v17, |v9|, |v9|
	v_mul_f32_e32 v18, 0x3fb8aa3b, v17
	v_rndne_f32_e32 v19, v18
	v_sub_f32_e32 v20, v18, v19
	v_fma_f32 v18, v17, s67, -v18
	v_fmac_f32_e32 v18, 0x32a5705f, v17
	v_add_f32_e32 v18, v20, v18
	v_cvt_i32_f32_e32 v19, v19
	v_exp_f32_e32 v18, v18
	v_cmp_ngt_f32_e32 vcc, s55, v17
	v_ldexp_f32 v18, v18, v19
	v_cndmask_b32_e32 v18, 0, v18, vcc
	v_cmp_nlt_f32_e32 vcc, s7, v17
	v_cndmask_b32_e32 v17, v237, v18, vcc
	v_add_f32_e32 v17, 1.0, v17
	v_rcp_f32_e32 v17, v17
	v_fma_f32 v17, v17, -2.0, 1.0
.LBB30_119:                             ;   in Loop: Header=BB30_14 Depth=1
	s_andn2_saveexec_b64 s[74:75], s[74:75]
; %bb.120:                              ;   in Loop: Header=BB30_14 Depth=1
	v_mul_f32_e32 v17, v9, v9
	v_mov_b32_e32 v18, 0x3ca908c9
	v_fmac_f32_e32 v18, 0xbbbac73d, v17
	v_fma_f32 v18, v17, v18, v234
	v_fma_f32 v18, v17, v18, v235
	v_fma_f32 v18, v17, v18, v236
	v_mul_f32_e64 v18, |v9|, v18
	v_fma_f32 v17, v17, v18, |v9|
; %bb.121:                              ;   in Loop: Header=BB30_14 Depth=1
	s_or_b64 exec, exec, s[74:75]
	v_bfi_b32 v9, s6, v17, v9
	v_accvgpr_read_b32 v17, a136
	v_bfi_b32 v13, s6, v13, v5
	v_bfi_b32 v5, s6, v11, v3
	v_and_b32_e32 v3, 64, v17
	v_bfi_b32 v6, s6, v14, v6
	v_bfi_b32 v12, s6, v12, v4
	;; [unrolled: 1-line block ×3, first 2 shown]
	v_add_u32_e32 v2, 0x8400, v219
	v_add_u32_e32 v14, 64, v3
	v_xor_b32_e32 v3, 32, v17
	v_bfi_b32 v7, s6, v15, v7
	v_bfi_b32 v8, s6, v16, v8
	ds_read2_b32 v[10:11], v2 offset1:1
	ds_read_b32 v2, v187 offset:33792
	ds_read_b32 v16, v188 offset:33792
	v_cmp_lt_i32_e32 vcc, v3, v14
	v_xor_b32_e32 v15, 16, v17
	v_cndmask_b32_e32 v3, v17, v3, vcc
	v_cmp_lt_i32_e32 vcc, v15, v14
	v_cndmask_b32_e32 v14, v17, v15, vcc
	v_lshlrev_b32_e32 v37, 2, v14
	s_waitcnt lgkmcnt(2)
	v_cvt_f32_f16_e32 v14, v10
	v_cvt_f32_f16_sdwa v15, v10 dst_sel:DWORD dst_unused:UNUSED_PAD src0_sel:WORD_1
	v_lshlrev_b32_e32 v3, 2, v3
	s_mul_hi_i32 s9, s8, s30
	s_mul_i32 s8, s8, s30
	v_pk_fma_f32 v[14:15], v[4:5], s[34:35], v[14:15]
	v_add_f32_e32 v4, 0x40051340, v14
	v_add_f32_e32 v5, 0x40051340, v15
	v_max3_f32 v10, v34, v4, v5
	s_waitcnt lgkmcnt(0)
	v_cvt_f32_f16_sdwa v5, v16 dst_sel:DWORD dst_unused:UNUSED_PAD src0_sel:WORD_1
	v_cvt_f32_f16_e32 v4, v16
	s_lshl_b64 s[8:9], s[8:9], 2
	s_add_u32 s8, s82, s8
	s_addc_u32 s9, s83, s9
	v_pk_fma_f32 v[4:5], v[8:9], s[34:35], v[4:5]
	v_cvt_f32_f16_sdwa v9, v2 dst_sel:DWORD dst_unused:UNUSED_PAD src0_sel:WORD_1
	v_cvt_f32_f16_e32 v8, v2
	v_add_f32_e32 v16, 0x40051340, v4
	v_add_f32_e32 v17, 0x40051340, v5
	s_cmp_eq_u64 s[72:73], 0
	v_pk_fma_f32 v[6:7], v[6:7], s[34:35], v[8:9]
	v_cvt_f32_f16_e32 v8, v11
	v_cvt_f32_f16_sdwa v9, v11 dst_sel:DWORD dst_unused:UNUSED_PAD src0_sel:WORD_1
	v_add_f32_e32 v2, 0x40051340, v6
	v_add_f32_e32 v18, 0x40051340, v7
	v_pk_fma_f32 v[8:9], v[12:13], s[34:35], v[8:9]
	v_add_f32_e32 v11, 0x40051340, v8
	v_add_f32_e32 v12, 0x40051340, v9
	v_max3_f32 v10, v10, v11, v12
	v_max3_f32 v2, v10, v2, v18
	;; [unrolled: 1-line block ×3, first 2 shown]
	ds_bpermute_b32 v10, v3, v2
	s_waitcnt lgkmcnt(0)
	v_max_f32_e32 v10, v10, v10
	v_max_f32_e32 v2, v2, v10
	ds_bpermute_b32 v10, v37, v2
	s_waitcnt lgkmcnt(0)
	v_max_f32_e32 v10, v10, v10
	v_max_f32_e32 v2, v2, v10
	v_pk_add_f32 v[10:11], v[14:15], v[2:3] op_sel_hi:[1,0] neg_lo:[0,1] neg_hi:[0,1]
	v_mul_f32_e32 v12, 0x3fb8aa3b, v11
	v_fma_f32 v13, v11, s67, -v12
	v_rndne_f32_e32 v14, v12
	v_fmac_f32_e32 v13, 0x32a5705f, v11
	v_sub_f32_e32 v12, v12, v14
	v_add_f32_e32 v12, v12, v13
	v_exp_f32_e32 v12, v12
	v_cvt_i32_f32_e32 v13, v14
	v_cmp_ngt_f32_e32 vcc, s55, v11
	v_pk_add_f32 v[8:9], v[8:9], v[2:3] op_sel_hi:[1,0] neg_lo:[0,1] neg_hi:[0,1]
	v_pk_add_f32 v[6:7], v[6:7], v[2:3] op_sel_hi:[1,0] neg_lo:[0,1] neg_hi:[0,1]
	v_ldexp_f32 v12, v12, v13
	v_cndmask_b32_e32 v12, 0, v12, vcc
	v_cmp_nlt_f32_e32 vcc, s7, v11
	v_mul_f32_e32 v11, 0x3fb8aa3b, v10
	v_cndmask_b32_e32 v32, v237, v12, vcc
	v_fma_f32 v12, v10, s67, -v11
	v_rndne_f32_e32 v13, v11
	v_fmac_f32_e32 v12, 0x32a5705f, v10
	v_sub_f32_e32 v11, v11, v13
	v_add_f32_e32 v11, v11, v12
	v_exp_f32_e32 v11, v11
	v_cvt_i32_f32_e32 v12, v13
	v_cmp_ngt_f32_e32 vcc, s55, v10
	v_pk_add_f32 v[4:5], v[4:5], v[2:3] op_sel_hi:[1,0] neg_lo:[0,1] neg_hi:[0,1]
	v_ldexp_f32 v11, v11, v12
	v_cndmask_b32_e32 v11, 0, v11, vcc
	v_cmp_nlt_f32_e32 vcc, s7, v10
	v_mul_f32_e32 v10, 0x3fb8aa3b, v9
	v_cndmask_b32_e32 v33, v237, v11, vcc
	v_fma_f32 v11, v9, s67, -v10
	v_rndne_f32_e32 v12, v10
	v_fmac_f32_e32 v11, 0x32a5705f, v9
	v_sub_f32_e32 v10, v10, v12
	v_add_f32_e32 v10, v10, v11
	v_exp_f32_e32 v10, v10
	v_cvt_i32_f32_e32 v11, v12
	v_cmp_ngt_f32_e32 vcc, s55, v9
	v_ldexp_f32 v10, v10, v11
	v_cndmask_b32_e32 v10, 0, v10, vcc
	v_cmp_nlt_f32_e32 vcc, s7, v9
	v_cndmask_b32_e32 v9, v237, v10, vcc
	v_mul_f32_e32 v10, 0x3fb8aa3b, v8
	v_fma_f32 v11, v8, s67, -v10
	v_rndne_f32_e32 v12, v10
	v_fmac_f32_e32 v11, 0x32a5705f, v8
	v_sub_f32_e32 v10, v10, v12
	v_add_f32_e32 v10, v10, v11
	v_exp_f32_e32 v10, v10
	v_cvt_i32_f32_e32 v11, v12
	v_cmp_ngt_f32_e32 vcc, s55, v8
	v_ldexp_f32 v10, v10, v11
	v_cndmask_b32_e32 v10, 0, v10, vcc
	v_cmp_nlt_f32_e32 vcc, s7, v8
	v_cndmask_b32_e32 v8, v237, v10, vcc
	v_mul_f32_e32 v10, 0x3fb8aa3b, v7
	v_fma_f32 v11, v7, s67, -v10
	v_rndne_f32_e32 v12, v10
	v_fmac_f32_e32 v11, 0x32a5705f, v7
	v_sub_f32_e32 v10, v10, v12
	v_add_f32_e32 v10, v10, v11
	v_exp_f32_e32 v10, v10
	v_cvt_i32_f32_e32 v11, v12
	v_cmp_ngt_f32_e32 vcc, s55, v7
	v_ldexp_f32 v10, v10, v11
	v_cndmask_b32_e32 v10, 0, v10, vcc
	v_cmp_nlt_f32_e32 vcc, s7, v7
	v_mul_f32_e32 v7, 0x3fb8aa3b, v6
	v_cndmask_b32_e32 v41, v237, v10, vcc
	v_fma_f32 v10, v6, s67, -v7
	v_rndne_f32_e32 v11, v7
	v_fmac_f32_e32 v10, 0x32a5705f, v6
	v_sub_f32_e32 v7, v7, v11
	v_add_f32_e32 v7, v7, v10
	v_exp_f32_e32 v7, v7
	v_cvt_i32_f32_e32 v10, v11
	v_cmp_ngt_f32_e32 vcc, s55, v6
	v_ldexp_f32 v7, v7, v10
	v_cndmask_b32_e32 v7, 0, v7, vcc
	v_cmp_nlt_f32_e32 vcc, s7, v6
	v_mul_f32_e32 v6, 0x3fb8aa3b, v5
	v_cndmask_b32_e32 v86, v237, v7, vcc
	v_fma_f32 v7, v5, s67, -v6
	v_rndne_f32_e32 v10, v6
	v_fmac_f32_e32 v7, 0x32a5705f, v5
	v_sub_f32_e32 v6, v6, v10
	v_add_f32_e32 v6, v6, v7
	v_exp_f32_e32 v6, v6
	v_cvt_i32_f32_e32 v7, v10
	v_cmp_ngt_f32_e32 vcc, s55, v5
	v_ldexp_f32 v6, v6, v7
	v_cndmask_b32_e32 v6, 0, v6, vcc
	v_cmp_nlt_f32_e32 vcc, s7, v5
	v_mul_f32_e32 v5, 0x3fb8aa3b, v4
	v_cndmask_b32_e32 v87, v237, v6, vcc
	v_fma_f32 v6, v4, s67, -v5
	v_rndne_f32_e32 v7, v5
	v_fmac_f32_e32 v6, 0x32a5705f, v4
	v_sub_f32_e32 v5, v5, v7
	v_add_f32_e32 v5, v5, v6
	v_exp_f32_e32 v5, v5
	v_cvt_i32_f32_e32 v6, v7
	v_cmp_ngt_f32_e32 vcc, s55, v4
	v_ldexp_f32 v5, v5, v6
	v_cndmask_b32_e32 v5, 0, v5, vcc
	v_cmp_nlt_f32_e32 vcc, s7, v4
	v_add_f32_e32 v4, v33, v32
	v_add_f32_e32 v4, v8, v4
	;; [unrolled: 1-line block ×4, first 2 shown]
	v_cndmask_b32_e32 v88, v237, v5, vcc
	v_add_f32_e32 v4, v41, v4
	v_add_f32_e32 v4, v88, v4
	;; [unrolled: 1-line block ×3, first 2 shown]
	v_sub_f32_e32 v4, v34, v2
	v_mul_f32_e32 v5, 0x3fb8aa3b, v4
	v_fma_f32 v6, v4, s67, -v5
	v_rndne_f32_e32 v7, v5
	v_fmac_f32_e32 v6, 0x32a5705f, v4
	v_sub_f32_e32 v5, v5, v7
	v_add_f32_e32 v5, v5, v6
	v_exp_f32_e32 v5, v5
	v_cvt_i32_f32_e32 v6, v7
	v_cvt_f16_f32_e32 v33, v33
	v_cvt_f16_f32_e32 v32, v32
	;; [unrolled: 1-line block ×4, first 2 shown]
	v_ldexp_f32 v5, v5, v6
	v_cmp_ngt_f32_e32 vcc, s55, v4
	v_pack_b32_f16 v32, v33, v32
	v_pack_b32_f16 v33, v8, v9
	v_cvt_f16_f32_e32 v8, v41
	v_cvt_f16_f32_e32 v9, v86
	v_cndmask_b32_e32 v5, 0, v5, vcc
	v_cmp_nlt_f32_e32 vcc, s7, v4
	v_cndmask_b32_e32 v5, v237, v5, vcc
	v_cmp_le_f32_e32 vcc, s89, v4
	v_cndmask_b32_e32 v4, 0, v5, vcc
	v_cvt_f16_f32_e32 v39, v4
	v_pack_b32_f16 v8, v9, v8
	v_cvt_f16_f32_e32 v9, v87
	v_cvt_f16_f32_e32 v41, v88
	v_pk_mul_f16 v40, v39, v76 op_sel_hi:[0,1]
	v_mov_b32_e32 v76, s9
	v_pk_mul_f16 v17, v39, v80 op_sel_hi:[0,1]
	v_pack_b32_f16 v9, v41, v9
	v_add_co_u32_e32 v41, vcc, s8, v44
	v_addc_co_u32_e32 v76, vcc, v76, v45, vcc
	v_add_co_u32_e32 v80, vcc, v41, v186
	v_pk_mul_f16 v5, v39, v81 op_sel_hi:[0,1]
	v_addc_co_u32_e32 v81, vcc, 0, v76, vcc
	v_pk_mul_f16 v6, v39, v83 op_sel_hi:[0,1]
	v_pk_mul_f16 v31, v39, v82 op_sel_hi:[0,1]
	global_load_dwordx4 v[80:83], v[80:81], off
	v_add_co_u32_e32 v41, vcc, s8, v46
	v_mov_b32_e32 v76, s9
	v_addc_co_u32_e32 v76, vcc, v76, v47, vcc
	v_add_co_u32_e32 v86, vcc, v41, v186
	v_addc_co_u32_e32 v87, vcc, 0, v76, vcc
	v_add_co_u32_e32 v41, vcc, s8, v48
	v_mov_b32_e32 v76, s9
	v_addc_co_u32_e32 v76, vcc, v76, v49, vcc
	v_add_co_u32_e32 v88, vcc, v41, v186
	v_addc_co_u32_e32 v89, vcc, 0, v76, vcc
	v_add_co_u32_e32 v41, vcc, s8, v50
	v_mov_b32_e32 v76, s9
	v_addc_co_u32_e32 v76, vcc, v76, v51, vcc
	v_pk_mul_f16 v7, v39, v90 op_sel_hi:[0,1]
	v_add_co_u32_e32 v90, vcc, v41, v186
	v_pk_mul_f16 v10, v39, v91 op_sel_hi:[0,1]
	v_addc_co_u32_e32 v91, vcc, 0, v76, vcc
	v_add_co_u32_e32 v41, vcc, s8, v52
	v_mov_b32_e32 v76, s9
	v_addc_co_u32_e32 v76, vcc, v76, v53, vcc
	v_pk_mul_f16 v11, v39, v92 op_sel_hi:[0,1]
	v_add_co_u32_e32 v92, vcc, v41, v186
	v_pk_mul_f16 v12, v39, v93 op_sel_hi:[0,1]
	;; [unrolled: 7-line block ×3, first 2 shown]
	v_addc_co_u32_e32 v95, vcc, 0, v76, vcc
	v_add_co_u32_e32 v41, vcc, s8, v56
	v_mov_b32_e32 v76, s9
	v_addc_co_u32_e32 v76, vcc, v76, v57, vcc
	v_add_co_u32_e32 v96, vcc, v41, v186
	v_addc_co_u32_e32 v97, vcc, 0, v76, vcc
	v_add_co_u32_e32 v41, vcc, s8, v58
	v_mov_b32_e32 v76, s9
	v_addc_co_u32_e32 v76, vcc, v76, v59, vcc
	v_add_co_u32_e32 v98, vcc, v41, v186
	v_addc_co_u32_e32 v99, vcc, 0, v76, vcc
	v_pk_mul_f16 v1, v39, v1 op_sel_hi:[0,1]
	v_fmac_f32_e32 v38, v35, v4
	v_pk_mul_f16 v4, v39, v79 op_sel_hi:[0,1]
	v_pk_mul_f16 v16, v39, v101 op_sel_hi:[0,1]
	;; [unrolled: 1-line block ×8, first 2 shown]
	s_waitcnt vmcnt(0)
	ds_write_b128 v134, v[80:83]
	global_load_dwordx4 v[80:83], v[86:87], off
	v_pk_mul_f16 v24, v39, v108 op_sel_hi:[0,1]
	v_pk_mul_f16 v23, v39, v107 op_sel_hi:[0,1]
	;; [unrolled: 1-line block ×12, first 2 shown]
	ds_bpermute_b32 v3, v3, v38
	s_cselect_b64 s[8:9], -1, 0
	s_xor_b64 s[74:75], s[0:1], -1
	s_or_b64 s[8:9], s[74:75], s[8:9]
	s_waitcnt lgkmcnt(0)
	v_add_f32_e32 v3, v38, v3
	s_waitcnt vmcnt(0)
	ds_write_b128 v216, v[80:83]
	global_load_dwordx4 v[80:83], v[88:89], off
	s_waitcnt vmcnt(0)
	ds_write_b128 v217, v[80:83]
	global_load_dwordx4 v[80:83], v[90:91], off
	;; [unrolled: 3-line block ×6, first 2 shown]
	s_waitcnt vmcnt(0)
	ds_write_b128 v206, v[80:83]
	s_waitcnt lgkmcnt(0)
	s_barrier
	ds_read_u16 v41, v138 offset:528
	ds_read_u16 v76, v138 offset:1056
	v_cvt_f32_f16_e32 v82, v1
	v_cvt_f32_f16_sdwa v83, v1 dst_sel:DWORD dst_unused:UNUSED_PAD src0_sel:WORD_1
	ds_read_u16 v1, v139
	ds_read_u16 v79, v139 offset:32
	v_cvt_f32_f16_e32 v80, v4
	v_cvt_f32_f16_sdwa v81, v4 dst_sel:DWORD dst_unused:UNUSED_PAD src0_sel:WORD_1
	s_waitcnt lgkmcnt(1)
	v_perm_b32 v87, v1, v76, s66
	ds_read_u16 v1, v137
	ds_read_u16 v76, v137 offset:32
	v_accvgpr_write_b32 a0, v80
	v_accvgpr_write_b32 a1, v81
	;; [unrolled: 1-line block ×3, first 2 shown]
	s_waitcnt lgkmcnt(1)
	v_perm_b32 v86, v41, v1, s66
	v_accvgpr_write_b32 a3, v83
	s_nop 1
	v_mfma_f32_16x16x16f16 a[0:3], v[86:87], v[32:33], a[0:3]
	ds_read_u16 v86, v137 offset:16896
	ds_read_u16 v88, v207 offset:528
	;; [unrolled: 1-line block ×4, first 2 shown]
	s_waitcnt lgkmcnt(2)
	v_perm_b32 v86, v88, v86, s66
	s_waitcnt lgkmcnt(0)
	v_perm_b32 v87, v89, v87, s66
	s_nop 2
	v_accvgpr_read_b32 v1, a0
	v_cvt_f16_f32_e32 v1, v1
	v_accvgpr_read_b32 v4, a1
	v_accvgpr_read_b32 v41, a2
	;; [unrolled: 1-line block ×3, first 2 shown]
	v_cvt_f16_f32_e32 v4, v4
	v_cvt_f16_f32_e32 v41, v41
	;; [unrolled: 1-line block ×3, first 2 shown]
	v_cvt_f32_f16_e32 v80, v1
	v_cvt_f32_f16_e32 v81, v4
	;; [unrolled: 1-line block ×4, first 2 shown]
	v_accvgpr_write_b32 a0, v80
	v_accvgpr_write_b32 a1, v81
	;; [unrolled: 1-line block ×4, first 2 shown]
	v_cvt_f32_f16_sdwa v81, v6 dst_sel:DWORD dst_unused:UNUSED_PAD src0_sel:WORD_1
	v_cvt_f32_f16_e32 v82, v5
	v_mfma_f32_16x16x16f16 a[0:3], v[86:87], v[8:9], a[0:3]
	v_cvt_f32_f16_sdwa v83, v5 dst_sel:DWORD dst_unused:UNUSED_PAD src0_sel:WORD_1
	s_nop 7
	s_nop 1
	v_accvgpr_read_b32 v1, a0
	v_accvgpr_read_b32 v4, a1
	;; [unrolled: 1-line block ×4, first 2 shown]
	v_cvt_f16_f32_e32 v1, v1
	v_cvt_f16_f32_e32 v4, v4
	;; [unrolled: 1-line block ×4, first 2 shown]
	v_pack_b32_f16 v4, v1, v4
	v_pack_b32_f16 v1, v41, v80
	ds_read_u16 v41, v208 offset:528
	ds_read_u16 v86, v208 offset:1056
	v_cvt_f32_f16_e32 v80, v6
	s_waitcnt lgkmcnt(0)
	v_perm_b32 v87, v79, v86, s66
	v_perm_b32 v86, v41, v76, s66
	v_accvgpr_write_b32 a0, v80
	v_accvgpr_write_b32 a1, v81
	;; [unrolled: 1-line block ×4, first 2 shown]
	s_nop 1
	v_mfma_f32_16x16x16f16 a[0:3], v[86:87], v[32:33], a[0:3]
	ds_read_u16 v79, v220 offset:16896
	ds_read_u16 v86, v170 offset:528
	ds_read_u16 v87, v209 offset:1056
	ds_read_u16 v88, v230 offset:16896
	s_waitcnt lgkmcnt(2)
	v_perm_b32 v86, v86, v79, s66
	s_waitcnt lgkmcnt(0)
	v_perm_b32 v87, v88, v87, s66
	s_nop 2
	v_accvgpr_read_b32 v5, a0
	v_cvt_f16_f32_e32 v5, v5
	v_accvgpr_read_b32 v6, a1
	v_accvgpr_read_b32 v41, a2
	v_accvgpr_read_b32 v76, a3
	v_cvt_f16_f32_e32 v6, v6
	v_cvt_f16_f32_e32 v41, v41
	v_cvt_f16_f32_e32 v76, v76
	v_cvt_f32_f16_e32 v80, v5
	v_cvt_f32_f16_e32 v81, v6
	v_cvt_f32_f16_e32 v82, v41
	v_cvt_f32_f16_e32 v83, v76
	v_accvgpr_write_b32 a0, v80
	v_accvgpr_write_b32 a1, v81
	v_accvgpr_write_b32 a2, v82
	v_accvgpr_write_b32 a3, v83
	v_cvt_f32_f16_e32 v80, v10
	v_cvt_f32_f16_sdwa v81, v10 dst_sel:DWORD dst_unused:UNUSED_PAD src0_sel:WORD_1
	v_mfma_f32_16x16x16f16 a[0:3], v[86:87], v[8:9], a[0:3]
	v_cvt_f32_f16_e32 v82, v7
	v_cvt_f32_f16_sdwa v83, v7 dst_sel:DWORD dst_unused:UNUSED_PAD src0_sel:WORD_1
	s_nop 7
	s_nop 0
	v_accvgpr_read_b32 v5, a0
	v_accvgpr_read_b32 v6, a1
	v_accvgpr_read_b32 v41, a2
	v_accvgpr_read_b32 v76, a3
	v_cvt_f16_f32_e32 v5, v5
	v_cvt_f16_f32_e32 v6, v6
	v_cvt_f16_f32_e32 v41, v41
	v_cvt_f16_f32_e32 v76, v76
	v_accvgpr_write_b32 a0, v80
	v_pack_b32_f16 v6, v5, v6
	v_accvgpr_write_b32 a1, v81
	v_pack_b32_f16 v5, v41, v76
	ds_read_u16 v41, v137 offset:64
	ds_read_u16 v76, v202 offset:528
	ds_read_u16 v79, v202 offset:1056
	ds_read_u16 v86, v139 offset:64
	v_accvgpr_write_b32 a2, v82
	v_accvgpr_write_b32 a3, v83
	s_waitcnt lgkmcnt(0)
	v_perm_b32 v87, v86, v79, s66
	v_perm_b32 v86, v76, v41, s66
	s_nop 1
	v_mfma_f32_16x16x16f16 a[0:3], v[86:87], v[32:33], a[0:3]
	ds_read_u16 v79, v136 offset:16896
	ds_read_u16 v86, v171 offset:528
	ds_read_u16 v87, v203 offset:1056
	ds_read_u16 v88, v193 offset:16896
	s_waitcnt lgkmcnt(2)
	v_perm_b32 v86, v86, v79, s66
	s_waitcnt lgkmcnt(0)
	v_perm_b32 v87, v88, v87, s66
	s_nop 2
	v_accvgpr_read_b32 v7, a0
	v_cvt_f16_f32_e32 v7, v7
	v_accvgpr_read_b32 v10, a1
	v_accvgpr_read_b32 v41, a2
	v_accvgpr_read_b32 v76, a3
	v_cvt_f16_f32_e32 v10, v10
	v_cvt_f16_f32_e32 v41, v41
	v_cvt_f16_f32_e32 v76, v76
	v_cvt_f32_f16_e32 v80, v7
	v_cvt_f32_f16_e32 v81, v10
	v_cvt_f32_f16_e32 v82, v41
	v_cvt_f32_f16_e32 v83, v76
	v_accvgpr_write_b32 a0, v80
	v_accvgpr_write_b32 a1, v81
	v_accvgpr_write_b32 a2, v82
	v_accvgpr_write_b32 a3, v83
	v_cvt_f32_f16_e32 v80, v12
	v_cvt_f32_f16_sdwa v81, v12 dst_sel:DWORD dst_unused:UNUSED_PAD src0_sel:WORD_1
	v_mfma_f32_16x16x16f16 a[0:3], v[86:87], v[8:9], a[0:3]
	v_cvt_f32_f16_e32 v82, v11
	v_cvt_f32_f16_sdwa v83, v11 dst_sel:DWORD dst_unused:UNUSED_PAD src0_sel:WORD_1
	s_nop 7
	s_nop 0
	v_accvgpr_read_b32 v7, a0
	v_accvgpr_read_b32 v10, a1
	v_accvgpr_read_b32 v41, a2
	v_accvgpr_read_b32 v76, a3
	v_cvt_f16_f32_e32 v7, v7
	v_cvt_f16_f32_e32 v10, v10
	v_cvt_f16_f32_e32 v41, v41
	v_cvt_f16_f32_e32 v76, v76
	v_accvgpr_write_b32 a0, v80
	v_pack_b32_f16 v10, v7, v10
	v_accvgpr_write_b32 a1, v81
	v_pack_b32_f16 v7, v41, v76
	ds_read_u16 v41, v137 offset:96
	ds_read_u16 v76, v204 offset:528
	ds_read_u16 v79, v204 offset:1056
	ds_read_u16 v86, v139 offset:96
	v_accvgpr_write_b32 a2, v82
	v_accvgpr_write_b32 a3, v83
	s_waitcnt lgkmcnt(0)
	v_perm_b32 v87, v86, v79, s66
	v_perm_b32 v86, v76, v41, s66
	;; [unrolled: 55-line block ×13, first 2 shown]
	s_nop 1
	v_mfma_f32_16x16x16f16 a[0:3], v[86:87], v[32:33], a[0:3]
	ds_read_u16 v79, v166 offset:16896
	ds_read_u16 v86, v183 offset:528
	ds_read_u16 v87, v254 offset:1056
	ds_read_u16 v88, v167 offset:16896
	s_waitcnt lgkmcnt(2)
	v_perm_b32 v86, v86, v79, s66
	s_waitcnt lgkmcnt(0)
	v_perm_b32 v87, v88, v87, s66
	s_nop 2
	v_accvgpr_read_b32 v35, a0
	v_cvt_f16_f32_e32 v35, v35
	v_accvgpr_read_b32 v36, a1
	v_accvgpr_read_b32 v41, a2
	;; [unrolled: 1-line block ×3, first 2 shown]
	v_cvt_f16_f32_e32 v36, v36
	v_cvt_f16_f32_e32 v41, v41
	v_cvt_f16_f32_e32 v76, v76
	v_cvt_f32_f16_e32 v80, v35
	v_cvt_f32_f16_e32 v81, v36
	;; [unrolled: 1-line block ×4, first 2 shown]
	v_accvgpr_write_b32 a0, v80
	v_accvgpr_write_b32 a1, v81
	;; [unrolled: 1-line block ×4, first 2 shown]
	v_cvt_f32_f16_e32 v80, v40
	v_cvt_f32_f16_sdwa v81, v40 dst_sel:DWORD dst_unused:UNUSED_PAD src0_sel:WORD_1
	v_mfma_f32_16x16x16f16 a[0:3], v[86:87], v[8:9], a[0:3]
	v_cvt_f32_f16_e32 v82, v39
	v_cvt_f32_f16_sdwa v83, v39 dst_sel:DWORD dst_unused:UNUSED_PAD src0_sel:WORD_1
	s_nop 7
	s_nop 0
	v_accvgpr_read_b32 v35, a0
	v_accvgpr_read_b32 v36, a1
	;; [unrolled: 1-line block ×4, first 2 shown]
	v_cvt_f16_f32_e32 v35, v35
	v_cvt_f16_f32_e32 v36, v36
	;; [unrolled: 1-line block ×4, first 2 shown]
	v_accvgpr_write_b32 a0, v80
	v_pack_b32_f16 v36, v35, v36
	v_accvgpr_write_b32 a1, v81
	v_pack_b32_f16 v35, v41, v76
	ds_read_u16 v76, v137 offset:480
	ds_read_u16 v79, v246 offset:528
	;; [unrolled: 1-line block ×4, first 2 shown]
	v_accvgpr_write_b32 a2, v82
	v_accvgpr_write_b32 a3, v83
	s_waitcnt lgkmcnt(2)
	v_perm_b32 v40, v79, v76, s66
	s_waitcnt lgkmcnt(0)
	v_perm_b32 v41, v86, v41, s66
	s_nop 1
	v_mfma_f32_16x16x16f16 a[0:3], v[40:41], v[32:33], a[0:3]
	ds_read_u16 v41, v168 offset:16896
	ds_read_u16 v76, v184 offset:528
	;; [unrolled: 1-line block ×4, first 2 shown]
	s_waitcnt lgkmcnt(0)
	s_barrier
	s_nop 4
	v_accvgpr_read_b32 v32, a0
	v_cvt_f16_f32_e32 v32, v32
	v_accvgpr_read_b32 v33, a1
	v_accvgpr_read_b32 v39, a2
	;; [unrolled: 1-line block ×3, first 2 shown]
	v_cvt_f16_f32_e32 v33, v33
	v_cvt_f16_f32_e32 v39, v39
	;; [unrolled: 1-line block ×3, first 2 shown]
	v_cvt_f32_f16_e32 v80, v32
	v_cvt_f32_f16_e32 v81, v33
	;; [unrolled: 1-line block ×4, first 2 shown]
	v_perm_b32 v33, v86, v79, s66
	v_perm_b32 v32, v76, v41, s66
	v_accvgpr_write_b32 a0, v80
	v_accvgpr_write_b32 a1, v81
	;; [unrolled: 1-line block ×4, first 2 shown]
	s_nop 1
	v_mfma_f32_16x16x16f16 a[0:3], v[32:33], v[8:9], a[0:3]
	s_nop 7
	s_nop 2
	v_accvgpr_read_b32 v8, a0
	v_accvgpr_read_b32 v9, a1
	;; [unrolled: 1-line block ×4, first 2 shown]
	v_cvt_f16_f32_e32 v8, v8
	v_cvt_f16_f32_e32 v9, v9
	;; [unrolled: 1-line block ×4, first 2 shown]
	v_pack_b32_f16 v8, v8, v9
	v_pack_b32_f16 v9, v32, v33
	ds_bpermute_b32 v32, v37, v3
	s_waitcnt lgkmcnt(0)
	v_add_f32_e32 v3, v3, v32
	s_and_saveexec_b64 s[74:75], s[8:9]
	s_xor_b64 s[8:9], exec, s[74:75]
	s_andn2_saveexec_b64 s[8:9], s[8:9]
	s_cbranch_execz .LBB30_123
; %bb.122:                              ;   in Loop: Header=BB30_14 Depth=1
	v_accvgpr_read_b32 v32, a150
	v_lshlrev_b32_e32 v32, 2, v32
	global_load_dword v33, v32, s[72:73]
	v_max_f32_e32 v38, v2, v2
	s_waitcnt vmcnt(0)
	v_max_f32_e32 v32, v33, v33
	v_max_f32_e32 v32, v38, v32
	v_sub_f32_e32 v2, v2, v32
	v_mul_f32_e32 v38, 0x3fb8aa3b, v2
	v_fma_f32 v39, v2, s67, -v38
	v_rndne_f32_e32 v40, v38
	v_fmac_f32_e32 v39, 0x32a5705f, v2
	v_sub_f32_e32 v38, v38, v40
	v_add_f32_e32 v38, v38, v39
	v_exp_f32_e32 v38, v38
	v_cvt_i32_f32_e32 v39, v40
	v_cmp_ngt_f32_e32 vcc, s55, v2
	v_sub_f32_e32 v33, v33, v32
	v_ldexp_f32 v38, v38, v39
	v_cndmask_b32_e32 v38, 0, v38, vcc
	v_cmp_nlt_f32_e32 vcc, s7, v2
	v_cndmask_b32_e32 v38, v237, v38, vcc
	v_cmp_le_f32_e32 vcc, s89, v2
	v_cndmask_b32_e32 v2, 0, v38, vcc
	v_cvt_f16_f32_e32 v38, v2
	v_cmp_ngt_f32_e32 vcc, s55, v33
	v_pk_mul_f16 v4, v38, v4 op_sel_hi:[0,1]
	v_pk_mul_f16 v1, v38, v1 op_sel_hi:[0,1]
	v_pk_mul_f16 v6, v38, v6 op_sel_hi:[0,1]
	v_pk_mul_f16 v5, v38, v5 op_sel_hi:[0,1]
	v_pk_mul_f16 v10, v38, v10 op_sel_hi:[0,1]
	v_pk_mul_f16 v7, v38, v7 op_sel_hi:[0,1]
	v_pk_mul_f16 v12, v38, v12 op_sel_hi:[0,1]
	v_pk_mul_f16 v11, v38, v11 op_sel_hi:[0,1]
	v_pk_mul_f16 v14, v38, v14 op_sel_hi:[0,1]
	v_pk_mul_f16 v13, v38, v13 op_sel_hi:[0,1]
	v_pk_mul_f16 v16, v38, v16 op_sel_hi:[0,1]
	v_pk_mul_f16 v15, v38, v15 op_sel_hi:[0,1]
	v_pk_mul_f16 v18, v38, v18 op_sel_hi:[0,1]
	v_pk_mul_f16 v17, v38, v17 op_sel_hi:[0,1]
	v_pk_mul_f16 v20, v38, v20 op_sel_hi:[0,1]
	v_pk_mul_f16 v19, v38, v19 op_sel_hi:[0,1]
	v_pk_mul_f16 v22, v38, v22 op_sel_hi:[0,1]
	v_pk_mul_f16 v21, v38, v21 op_sel_hi:[0,1]
	v_pk_mul_f16 v24, v38, v24 op_sel_hi:[0,1]
	v_pk_mul_f16 v23, v38, v23 op_sel_hi:[0,1]
	v_pk_mul_f16 v26, v38, v26 op_sel_hi:[0,1]
	v_pk_mul_f16 v25, v38, v25 op_sel_hi:[0,1]
	v_pk_mul_f16 v28, v38, v28 op_sel_hi:[0,1]
	v_pk_mul_f16 v27, v38, v27 op_sel_hi:[0,1]
	v_pk_mul_f16 v30, v38, v30 op_sel_hi:[0,1]
	v_pk_mul_f16 v29, v38, v29 op_sel_hi:[0,1]
	v_pk_mul_f16 v34, v38, v34 op_sel_hi:[0,1]
	v_pk_mul_f16 v31, v38, v31 op_sel_hi:[0,1]
	v_pk_mul_f16 v36, v38, v36 op_sel_hi:[0,1]
	v_pk_mul_f16 v35, v38, v35 op_sel_hi:[0,1]
	v_pk_mul_f16 v8, v38, v8 op_sel_hi:[0,1]
	v_pk_mul_f16 v9, v38, v9 op_sel_hi:[0,1]
	v_mul_f32_e32 v38, 0x3fb8aa3b, v33
	v_fma_f32 v39, v33, s67, -v38
	v_rndne_f32_e32 v40, v38
	v_fmac_f32_e32 v39, 0x32a5705f, v33
	v_sub_f32_e32 v38, v38, v40
	v_add_f32_e32 v38, v38, v39
	v_exp_f32_e32 v38, v38
	v_cvt_i32_f32_e32 v39, v40
	v_ldexp_f32 v38, v38, v39
	v_cndmask_b32_e32 v38, 0, v38, vcc
	v_cmp_nlt_f32_e32 vcc, s7, v33
	v_cndmask_b32_e32 v33, v237, v38, vcc
	v_fmac_f32_e32 v33, v3, v2
	v_pk_mov_b32 v[2:3], v[32:33], v[32:33] op_sel:[0,1]
.LBB30_123:                             ;   in Loop: Header=BB30_14 Depth=1
	s_or_b64 exec, exec, s[8:9]
	s_and_saveexec_b64 s[8:9], s[4:5]
	s_cbranch_execz .LBB30_125
; %bb.124:                              ;   in Loop: Header=BB30_14 Depth=1
	v_accvgpr_read_b32 v32, a36
	v_add_u32_e32 v32, 0, v32
	ds_write2_b32 v32, v2, v3 offset0:128 offset1:129
.LBB30_125:                             ;   in Loop: Header=BB30_14 Depth=1
	s_or_b64 exec, exec, s[8:9]
	s_waitcnt lgkmcnt(0)
	s_barrier
	s_and_saveexec_b64 s[8:9], s[2:3]
	s_xor_b64 s[8:9], exec, s[8:9]
	s_cbranch_execz .LBB30_127
; %bb.126:                              ;   in Loop: Header=BB30_14 Depth=1
	s_barrier
	s_waitcnt lgkmcnt(0)
                                        ; implicit-def: $vgpr37
.LBB30_127:                             ;   in Loop: Header=BB30_14 Depth=1
	s_andn2_saveexec_b64 s[8:9], s[8:9]
	s_cbranch_execz .LBB30_133
; %bb.128:                              ;   in Loop: Header=BB30_14 Depth=1
	v_accvgpr_read_b32 v2, a37
	v_add_u32_e32 v3, 0, v2
	ds_read_b64 v[38:39], v3 offset:512
	s_waitcnt lgkmcnt(0)
	s_barrier
	ds_bpermute_b32 v2, v37, v38
	v_max_f32_e32 v32, v38, v38
	s_waitcnt lgkmcnt(0)
	v_max_f32_e32 v2, v2, v2
	v_max_f32_e32 v2, v32, v2
	v_sub_f32_e32 v32, v38, v2
	v_mul_f32_e32 v33, 0x3fb8aa3b, v32
	v_fma_f32 v38, v32, s67, -v33
	v_rndne_f32_e32 v40, v33
	v_fmac_f32_e32 v38, 0x32a5705f, v32
	v_sub_f32_e32 v33, v33, v40
	v_add_f32_e32 v33, v33, v38
	v_cvt_i32_f32_e32 v40, v40
	v_exp_f32_e32 v33, v33
	v_cmp_ngt_f32_e32 vcc, s55, v32
	v_ldexp_f32 v33, v33, v40
	v_cndmask_b32_e32 v33, 0, v33, vcc
	v_cmp_nlt_f32_e32 vcc, s7, v32
	v_cndmask_b32_e32 v32, v237, v33, vcc
	v_mul_f32_e32 v33, v39, v32
	ds_bpermute_b32 v33, v37, v33
	s_waitcnt lgkmcnt(0)
	v_fmac_f32_e32 v33, v39, v32
	s_mov_b64 s[74:75], exec
	v_readlane_b32 s76, v255, 16
	v_readlane_b32 s77, v255, 17
	s_and_b64 s[76:77], s[74:75], s[76:77]
	s_mov_b64 exec, s[76:77]
	s_cbranch_execz .LBB30_130
; %bb.129:                              ;   in Loop: Header=BB30_14 Depth=1
	ds_write_b64 v3, v[32:33] offset:512
.LBB30_130:                             ;   in Loop: Header=BB30_14 Depth=1
	s_or_b64 exec, exec, s[74:75]
	s_and_saveexec_b64 s[74:75], s[4:5]
	s_cbranch_execz .LBB30_132
; %bb.131:                              ;   in Loop: Header=BB30_14 Depth=1
	v_mov_b32_e32 v3, v33
	v_accvgpr_read_b32 v32, a32
	v_accvgpr_read_b32 v33, a33
	global_store_dwordx2 v[32:33], v[2:3], off
.LBB30_132:                             ;   in Loop: Header=BB30_14 Depth=1
	s_or_b64 exec, exec, s[74:75]
.LBB30_133:                             ;   in Loop: Header=BB30_14 Depth=1
	s_or_b64 exec, exec, s[8:9]
	v_accvgpr_read_b32 v2, a38
	ds_write2_b32 v2, v4, v1 offset1:1
	ds_write2_b32 v2, v6, v5 offset0:8 offset1:9
	ds_write2_b32 v2, v10, v7 offset0:16 offset1:17
	;; [unrolled: 1-line block ×15, first 2 shown]
	s_waitcnt lgkmcnt(0)
	s_barrier
	s_and_saveexec_b64 s[74:75], s[0:1]
	s_cbranch_execz .LBB30_211
; %bb.134:                              ;   in Loop: Header=BB30_14 Depth=1
	v_accvgpr_read_b32 v1, a148
	v_accvgpr_read_b32 v4, a152
	v_add_u32_e32 v2, s53, v1
	v_or_b32_e32 v1, s11, v4
	v_cmp_gt_i32_e64 s[8:9], s28, v2
	v_cmp_gt_i32_e32 vcc, s80, v1
	s_and_b64 s[8:9], s[8:9], vcc
	v_mov_b32_e32 v1, 0x47
	s_and_saveexec_b64 s[76:77], s[8:9]
	s_cbranch_execz .LBB30_136
; %bb.135:                              ;   in Loop: Header=BB30_14 Depth=1
	v_accvgpr_read_b32 v4, a152
	v_accvgpr_read_b32 v1, a40
	v_mad_u64_u32 v[2:3], s[8:9], v2, s29, v[4:5]
	v_add_u32_e32 v1, 0, v1
	ds_read2st64_b32 v[4:5], v1 offset0:2 offset1:35
	v_accvgpr_read_b32 v1, a39
	v_accvgpr_read_b32 v3, a21
	ds_read2st64_b32 v[6:7], v1 offset1:1
	ds_read_b32 v1, v1 offset:8448
	v_lshl_add_u32 v2, v2, 7, v3
	v_ashrrev_i32_e32 v3, 31, v2
	v_lshlrev_b64 v[2:3], 3, v[2:3]
	v_add_co_u32_e64 v2, s[8:9], s51, v2
	v_mov_b32_e32 v8, s10
	v_addc_co_u32_e64 v3, s[8:9], v8, v3, s[8:9]
	s_waitcnt lgkmcnt(1)
	v_cvt_f32_f16_sdwa v9, v6 dst_sel:DWORD dst_unused:UNUSED_PAD src0_sel:WORD_1
	v_cvt_f32_f16_e32 v8, v6
	s_waitcnt lgkmcnt(0)
	v_cvt_f32_f16_sdwa v11, v1 dst_sel:DWORD dst_unused:UNUSED_PAD src0_sel:WORD_1
	v_cvt_f32_f16_e32 v10, v1
	v_mov_b32_e32 v6, v5
	v_pk_fma_f32 v[8:9], v[4:5], v[8:9], 0 op_sel_hi:[0,1,0]
	v_accvgpr_read_b32 v1, a41
	v_pk_fma_f32 v[8:9], v[6:7], v[10:11], v[8:9] op_sel_hi:[0,1,1]
	ds_read_b32 v1, v1 offset:8448
	global_store_dwordx2 v[2:3], v[8:9], off
	v_cvt_f32_f16_sdwa v9, v7 dst_sel:DWORD dst_unused:UNUSED_PAD src0_sel:WORD_1
	v_cvt_f32_f16_e32 v8, v7
	v_pk_fma_f32 v[4:5], v[4:5], v[8:9], 0 op_sel_hi:[0,1,0]
	s_waitcnt lgkmcnt(0)
	v_cvt_f32_f16_sdwa v9, v1 dst_sel:DWORD dst_unused:UNUSED_PAD src0_sel:WORD_1
	v_cvt_f32_f16_e32 v8, v1
	v_mov_b32_e32 v1, 0
	v_pk_fma_f32 v[4:5], v[6:7], v[8:9], v[4:5] op_sel_hi:[0,1,1]
	global_store_dwordx2 v[2:3], v[4:5], off offset:512
.LBB30_136:                             ;   in Loop: Header=BB30_14 Depth=1
	s_or_b64 exec, exec, s[76:77]
	s_movk_i32 s8, 0x47
	v_cmp_gt_i32_e64 s[8:9], s8, v1
	s_mov_b64 s[76:77], -1
	s_and_saveexec_b64 s[78:79], s[8:9]
; %bb.137:                              ;   in Loop: Header=BB30_14 Depth=1
	v_cmp_eq_u32_e64 s[8:9], 0, v1
	s_orn2_b64 s[76:77], s[8:9], exec
; %bb.138:                              ;   in Loop: Header=BB30_14 Depth=1
	s_or_b64 exec, exec, s[78:79]
	s_and_b64 exec, exec, s[76:77]
	s_cbranch_execz .LBB30_211
; %bb.139:                              ;   in Loop: Header=BB30_14 Depth=1
	v_accvgpr_read_b32 v1, a42
	v_add_u32_e32 v2, s53, v1
	v_cmp_gt_i32_e64 s[8:9], s28, v2
	s_and_b64 s[8:9], s[8:9], vcc
	v_mov_b32_e32 v1, 0x47
	s_and_saveexec_b64 s[76:77], s[8:9]
	s_cbranch_execz .LBB30_141
; %bb.140:                              ;   in Loop: Header=BB30_14 Depth=1
	v_accvgpr_read_b32 v4, a152
	v_accvgpr_read_b32 v1, a44
	v_mad_u64_u32 v[2:3], s[8:9], v2, s29, v[4:5]
	v_add_u32_e32 v1, 0, v1
	ds_read2st64_b32 v[4:5], v1 offset0:2 offset1:35
	v_accvgpr_read_b32 v1, a43
	v_accvgpr_read_b32 v3, a21
	ds_read2st64_b32 v[6:7], v1 offset1:1
	ds_read_b32 v1, v1 offset:8448
	v_lshl_add_u32 v2, v2, 7, v3
	v_ashrrev_i32_e32 v3, 31, v2
	v_lshlrev_b64 v[2:3], 3, v[2:3]
	v_add_co_u32_e64 v2, s[8:9], s51, v2
	v_mov_b32_e32 v8, s10
	v_addc_co_u32_e64 v3, s[8:9], v8, v3, s[8:9]
	s_waitcnt lgkmcnt(1)
	v_cvt_f32_f16_sdwa v9, v6 dst_sel:DWORD dst_unused:UNUSED_PAD src0_sel:WORD_1
	v_cvt_f32_f16_e32 v8, v6
	s_waitcnt lgkmcnt(0)
	v_cvt_f32_f16_sdwa v11, v1 dst_sel:DWORD dst_unused:UNUSED_PAD src0_sel:WORD_1
	v_cvt_f32_f16_e32 v10, v1
	v_mov_b32_e32 v6, v5
	v_pk_fma_f32 v[8:9], v[4:5], v[8:9], 0 op_sel_hi:[0,1,0]
	v_accvgpr_read_b32 v1, a45
	v_pk_fma_f32 v[8:9], v[6:7], v[10:11], v[8:9] op_sel_hi:[0,1,1]
	ds_read_b32 v1, v1 offset:8448
	global_store_dwordx2 v[2:3], v[8:9], off
	v_cvt_f32_f16_sdwa v9, v7 dst_sel:DWORD dst_unused:UNUSED_PAD src0_sel:WORD_1
	v_cvt_f32_f16_e32 v8, v7
	v_pk_fma_f32 v[4:5], v[4:5], v[8:9], 0 op_sel_hi:[0,1,0]
	s_waitcnt lgkmcnt(0)
	v_cvt_f32_f16_sdwa v9, v1 dst_sel:DWORD dst_unused:UNUSED_PAD src0_sel:WORD_1
	v_cvt_f32_f16_e32 v8, v1
	v_mov_b32_e32 v1, 0
	v_pk_fma_f32 v[4:5], v[6:7], v[8:9], v[4:5] op_sel_hi:[0,1,1]
	global_store_dwordx2 v[2:3], v[4:5], off offset:512
.LBB30_141:                             ;   in Loop: Header=BB30_14 Depth=1
	s_or_b64 exec, exec, s[76:77]
	s_movk_i32 s8, 0x47
	v_cmp_gt_i32_e64 s[8:9], s8, v1
	s_mov_b64 s[76:77], -1
	s_and_saveexec_b64 s[78:79], s[8:9]
; %bb.142:                              ;   in Loop: Header=BB30_14 Depth=1
	v_cmp_eq_u32_e64 s[8:9], 0, v1
	s_orn2_b64 s[76:77], s[8:9], exec
; %bb.143:                              ;   in Loop: Header=BB30_14 Depth=1
	s_or_b64 exec, exec, s[78:79]
	s_and_b64 exec, exec, s[76:77]
	s_cbranch_execz .LBB30_211
; %bb.144:                              ;   in Loop: Header=BB30_14 Depth=1
	v_accvgpr_read_b32 v1, a46
	v_add_u32_e32 v2, s53, v1
	v_cmp_gt_i32_e64 s[8:9], s28, v2
	;; [unrolled: 58-line block ×15, first 2 shown]
	s_and_b64 s[8:9], s[8:9], vcc
	s_and_b64 exec, exec, s[8:9]
	s_cbranch_execz .LBB30_211
; %bb.210:                              ;   in Loop: Header=BB30_14 Depth=1
	v_accvgpr_read_b32 v2, a152
	v_mad_u64_u32 v[2:3], s[8:9], v1, s29, v[2:3]
	v_accvgpr_read_b32 v1, a99
	v_add_u32_e32 v1, 0, v1
	ds_read2st64_b32 v[4:5], v1 offset0:2 offset1:35
	v_accvgpr_read_b32 v1, a100
	v_accvgpr_read_b32 v3, a21
	ds_read2st64_b32 v[6:7], v1 offset1:1
	ds_read_b32 v1, v1 offset:8448
	v_lshl_add_u32 v2, v2, 7, v3
	v_ashrrev_i32_e32 v3, 31, v2
	v_lshlrev_b64 v[2:3], 3, v[2:3]
	v_add_co_u32_e32 v2, vcc, s51, v2
	v_mov_b32_e32 v8, s10
	v_addc_co_u32_e32 v3, vcc, v8, v3, vcc
	s_waitcnt lgkmcnt(1)
	v_cvt_f32_f16_sdwa v9, v6 dst_sel:DWORD dst_unused:UNUSED_PAD src0_sel:WORD_1
	v_cvt_f32_f16_e32 v8, v6
	s_waitcnt lgkmcnt(0)
	v_cvt_f32_f16_sdwa v11, v1 dst_sel:DWORD dst_unused:UNUSED_PAD src0_sel:WORD_1
	v_cvt_f32_f16_e32 v10, v1
	v_mov_b32_e32 v6, v5
	v_pk_fma_f32 v[8:9], v[4:5], v[8:9], 0 op_sel_hi:[0,1,0]
	v_accvgpr_read_b32 v1, a101
	v_pk_fma_f32 v[8:9], v[6:7], v[10:11], v[8:9] op_sel_hi:[0,1,1]
	ds_read_b32 v1, v1 offset:8448
	global_store_dwordx2 v[2:3], v[8:9], off
	v_cvt_f32_f16_sdwa v9, v7 dst_sel:DWORD dst_unused:UNUSED_PAD src0_sel:WORD_1
	v_cvt_f32_f16_e32 v8, v7
	v_pk_fma_f32 v[4:5], v[4:5], v[8:9], 0 op_sel_hi:[0,1,0]
	s_waitcnt lgkmcnt(0)
	v_cvt_f32_f16_sdwa v9, v1 dst_sel:DWORD dst_unused:UNUSED_PAD src0_sel:WORD_1
	v_cvt_f32_f16_e32 v8, v1
	v_pk_fma_f32 v[4:5], v[6:7], v[8:9], v[4:5] op_sel_hi:[0,1,1]
	global_store_dwordx2 v[2:3], v[4:5], off offset:512
.LBB30_211:                             ;   in Loop: Header=BB30_14 Depth=1
	s_or_b64 exec, exec, s[74:75]
	s_barrier
	s_branch .LBB30_13
.LBB30_212:                             ;   in Loop: Header=BB30_14 Depth=1
	s_lshl_b32 s78, s52, 4
	v_accvgpr_read_b32 v1, a12
	v_add_u32_e32 v1, s78, v1
	v_cmp_gt_i32_e64 s[8:9], s80, v77
	v_cmp_le_i32_e32 vcc, s28, v1
	s_xor_b64 s[8:9], s[8:9], -1
	s_or_b64 s[52:53], vcc, s[8:9]
	s_and_saveexec_b64 s[74:75], s[52:53]
	s_xor_b64 s[74:75], exec, s[74:75]
	s_cbranch_execz .LBB30_214
; %bb.213:                              ;   in Loop: Header=BB30_14 Depth=1
	v_accvgpr_read_b32 v1, a35
	v_mov_b32_e32 v2, 0
	ds_write2st64_b32 v1, v2, v2 offset1:1
                                        ; implicit-def: $vgpr1
.LBB30_214:                             ;   in Loop: Header=BB30_14 Depth=1
	s_andn2_saveexec_b64 s[74:75], s[74:75]
	s_cbranch_execz .LBB30_216
; %bb.215:                              ;   in Loop: Header=BB30_14 Depth=1
	v_mul_lo_u32 v1, v1, s33
	v_accvgpr_read_b32 v2, a21
	v_accvgpr_read_b32 v3, a139
	v_add3_u32 v2, v1, v3, v2
	v_ashrrev_i32_e32 v3, 31, v2
	v_lshlrev_b64 v[2:3], 3, v[2:3]
	v_add_co_u32_e32 v2, vcc, s56, v2
	v_mov_b32_e32 v1, s95
	v_addc_co_u32_e32 v3, vcc, v1, v3, vcc
	global_load_dwordx2 v[4:5], v[2:3], off
	s_waitcnt vmcnt(0)
	v_cvt_f16_f32_e32 v1, v4
	global_load_dwordx2 v[2:3], v[2:3], off offset:512
	v_cvt_f16_f32_e32 v4, v5
	v_pack_b32_f16 v1, v1, v4
	v_accvgpr_read_b32 v4, a9
	v_pk_mul_f16 v1, v4, v1
	s_waitcnt vmcnt(0)
	v_cvt_f16_f32_e32 v2, v2
	v_cvt_f16_f32_e32 v3, v3
	v_pack_b32_f16 v2, v2, v3
	v_pk_mul_f16 v2, v4, v2
	v_accvgpr_read_b32 v3, a35
	ds_write2st64_b32 v3, v1, v2 offset1:1
.LBB30_216:                             ;   in Loop: Header=BB30_14 Depth=1
	s_or_b64 exec, exec, s[74:75]
	v_accvgpr_read_b32 v1, a140
	v_add_u32_e32 v1, s78, v1
	v_cmp_le_i32_e32 vcc, s28, v1
	s_or_b64 s[52:53], vcc, s[8:9]
	s_and_saveexec_b64 s[74:75], s[52:53]
	s_xor_b64 s[74:75], exec, s[74:75]
	s_cbranch_execz .LBB30_218
; %bb.217:                              ;   in Loop: Header=BB30_14 Depth=1
	v_mov_b32_e32 v1, 0
	v_accvgpr_read_b32 v2, a141
	ds_write2st64_b32 v2, v1, v1 offset1:1
                                        ; implicit-def: $vgpr1
.LBB30_218:                             ;   in Loop: Header=BB30_14 Depth=1
	s_andn2_saveexec_b64 s[74:75], s[74:75]
	s_cbranch_execz .LBB30_220
; %bb.219:                              ;   in Loop: Header=BB30_14 Depth=1
	v_mul_lo_u32 v1, v1, s33
	v_accvgpr_read_b32 v2, a21
	v_accvgpr_read_b32 v3, a139
	v_add3_u32 v2, v1, v3, v2
	v_ashrrev_i32_e32 v3, 31, v2
	v_lshlrev_b64 v[2:3], 3, v[2:3]
	v_add_co_u32_e32 v2, vcc, s56, v2
	v_mov_b32_e32 v1, s95
	v_addc_co_u32_e32 v3, vcc, v1, v3, vcc
	global_load_dwordx2 v[4:5], v[2:3], off
	s_waitcnt vmcnt(0)
	v_cvt_f16_f32_e32 v1, v4
	global_load_dwordx2 v[2:3], v[2:3], off offset:512
	v_cvt_f16_f32_e32 v4, v5
	v_pack_b32_f16 v1, v1, v4
	v_accvgpr_read_b32 v4, a9
	v_pk_mul_f16 v1, v4, v1
	s_waitcnt vmcnt(0)
	v_cvt_f16_f32_e32 v2, v2
	v_cvt_f16_f32_e32 v3, v3
	v_pack_b32_f16 v2, v2, v3
	v_pk_mul_f16 v2, v4, v2
	v_accvgpr_read_b32 v3, a141
	ds_write2st64_b32 v3, v1, v2 offset1:1
.LBB30_220:                             ;   in Loop: Header=BB30_14 Depth=1
	s_or_b64 exec, exec, s[74:75]
	v_accvgpr_read_b32 v1, a142
	v_add_u32_e32 v1, s78, v1
	v_cmp_le_i32_e32 vcc, s28, v1
	s_or_b64 s[52:53], vcc, s[8:9]
	s_and_saveexec_b64 s[74:75], s[52:53]
	s_xor_b64 s[74:75], exec, s[74:75]
	s_cbranch_execz .LBB30_222
; %bb.221:                              ;   in Loop: Header=BB30_14 Depth=1
	v_accvgpr_read_b32 v1, a141
	v_add_u32_e32 v1, 64, v1
	v_mov_b32_e32 v2, 0
	ds_write2st64_b32 v1, v2, v2 offset0:8 offset1:9
                                        ; implicit-def: $vgpr1
.LBB30_222:                             ;   in Loop: Header=BB30_14 Depth=1
	s_andn2_saveexec_b64 s[74:75], s[74:75]
	s_cbranch_execz .LBB30_224
; %bb.223:                              ;   in Loop: Header=BB30_14 Depth=1
	v_mul_lo_u32 v1, v1, s33
	v_accvgpr_read_b32 v2, a21
	v_accvgpr_read_b32 v3, a139
	v_add3_u32 v2, v1, v3, v2
	v_ashrrev_i32_e32 v3, 31, v2
	v_lshlrev_b64 v[2:3], 3, v[2:3]
	v_add_co_u32_e32 v2, vcc, s56, v2
	v_mov_b32_e32 v1, s95
	v_addc_co_u32_e32 v3, vcc, v1, v3, vcc
	global_load_dwordx2 v[4:5], v[2:3], off
	s_waitcnt vmcnt(0)
	v_cvt_f16_f32_e32 v1, v4
	global_load_dwordx2 v[2:3], v[2:3], off offset:512
	v_cvt_f16_f32_e32 v4, v5
	v_pack_b32_f16 v1, v1, v4
	v_accvgpr_read_b32 v4, a9
	v_pk_mul_f16 v1, v4, v1
	s_waitcnt vmcnt(0)
	v_cvt_f16_f32_e32 v2, v2
	v_cvt_f16_f32_e32 v3, v3
	v_pack_b32_f16 v2, v2, v3
	v_accvgpr_read_b32 v3, a141
	v_pk_mul_f16 v2, v4, v2
	v_add_u32_e32 v3, 64, v3
	ds_write2st64_b32 v3, v1, v2 offset0:8 offset1:9
.LBB30_224:                             ;   in Loop: Header=BB30_14 Depth=1
	s_or_b64 exec, exec, s[74:75]
	v_accvgpr_read_b32 v1, a143
	v_add_u32_e32 v1, s78, v1
	v_cmp_le_i32_e32 vcc, s28, v1
	s_or_b64 s[52:53], vcc, s[8:9]
	s_and_saveexec_b64 s[74:75], s[52:53]
	s_xor_b64 s[74:75], exec, s[74:75]
	s_cbranch_execz .LBB30_226
; %bb.225:                              ;   in Loop: Header=BB30_14 Depth=1
	v_accvgpr_read_b32 v1, a141
	v_add_u32_e32 v1, 0x80, v1
	v_mov_b32_e32 v2, 0
	ds_write2st64_b32 v1, v2, v2 offset0:16 offset1:17
                                        ; implicit-def: $vgpr1
.LBB30_226:                             ;   in Loop: Header=BB30_14 Depth=1
	s_andn2_saveexec_b64 s[74:75], s[74:75]
	s_cbranch_execz .LBB30_228
; %bb.227:                              ;   in Loop: Header=BB30_14 Depth=1
	v_mul_lo_u32 v1, v1, s33
	v_accvgpr_read_b32 v2, a21
	v_accvgpr_read_b32 v3, a139
	v_add3_u32 v2, v1, v3, v2
	v_ashrrev_i32_e32 v3, 31, v2
	v_lshlrev_b64 v[2:3], 3, v[2:3]
	v_add_co_u32_e32 v2, vcc, s56, v2
	v_mov_b32_e32 v1, s95
	v_addc_co_u32_e32 v3, vcc, v1, v3, vcc
	global_load_dwordx2 v[4:5], v[2:3], off
	s_waitcnt vmcnt(0)
	v_cvt_f16_f32_e32 v1, v4
	global_load_dwordx2 v[2:3], v[2:3], off offset:512
	v_cvt_f16_f32_e32 v4, v5
	v_pack_b32_f16 v1, v1, v4
	v_accvgpr_read_b32 v4, a9
	v_pk_mul_f16 v1, v4, v1
	s_waitcnt vmcnt(0)
	v_cvt_f16_f32_e32 v2, v2
	v_cvt_f16_f32_e32 v3, v3
	v_pack_b32_f16 v2, v2, v3
	v_accvgpr_read_b32 v3, a141
	v_pk_mul_f16 v2, v4, v2
	v_add_u32_e32 v3, 0x80, v3
	ds_write2st64_b32 v3, v1, v2 offset0:16 offset1:17
.LBB30_228:                             ;   in Loop: Header=BB30_14 Depth=1
	;; [unrolled: 44-line block ×3, first 2 shown]
	s_or_b64 exec, exec, s[74:75]
	v_accvgpr_read_b32 v1, a145
	v_add_u32_e32 v1, s78, v1
	v_cmp_le_i32_e32 vcc, s28, v1
	s_or_b64 s[52:53], vcc, s[8:9]
	s_and_saveexec_b64 s[74:75], s[52:53]
	s_xor_b64 s[74:75], exec, s[74:75]
	s_cbranch_execz .LBB30_234
; %bb.233:                              ;   in Loop: Header=BB30_14 Depth=1
	v_mov_b32_e32 v1, 0
	v_accvgpr_read_b32 v2, a141
	ds_write2st64_b32 v2, v1, v1 offset0:33 offset1:34
                                        ; implicit-def: $vgpr1
.LBB30_234:                             ;   in Loop: Header=BB30_14 Depth=1
	s_andn2_saveexec_b64 s[74:75], s[74:75]
	s_cbranch_execz .LBB30_236
; %bb.235:                              ;   in Loop: Header=BB30_14 Depth=1
	v_mul_lo_u32 v1, v1, s33
	v_accvgpr_read_b32 v2, a21
	v_accvgpr_read_b32 v3, a139
	v_add3_u32 v2, v1, v3, v2
	v_ashrrev_i32_e32 v3, 31, v2
	v_lshlrev_b64 v[2:3], 3, v[2:3]
	v_add_co_u32_e32 v2, vcc, s56, v2
	v_mov_b32_e32 v1, s95
	v_addc_co_u32_e32 v3, vcc, v1, v3, vcc
	global_load_dwordx2 v[4:5], v[2:3], off
	s_waitcnt vmcnt(0)
	v_cvt_f16_f32_e32 v1, v4
	global_load_dwordx2 v[2:3], v[2:3], off offset:512
	v_cvt_f16_f32_e32 v4, v5
	v_pack_b32_f16 v1, v1, v4
	v_accvgpr_read_b32 v4, a9
	v_pk_mul_f16 v1, v4, v1
	s_waitcnt vmcnt(0)
	v_cvt_f16_f32_e32 v2, v2
	v_cvt_f16_f32_e32 v3, v3
	v_pack_b32_f16 v2, v2, v3
	v_pk_mul_f16 v2, v4, v2
	v_accvgpr_read_b32 v3, a141
	ds_write2st64_b32 v3, v1, v2 offset0:33 offset1:34
.LBB30_236:                             ;   in Loop: Header=BB30_14 Depth=1
	s_or_b64 exec, exec, s[74:75]
	v_accvgpr_read_b32 v1, a146
	v_add_u32_e32 v1, s78, v1
	v_cmp_le_i32_e32 vcc, s28, v1
	s_or_b64 s[52:53], vcc, s[8:9]
	s_and_saveexec_b64 s[74:75], s[52:53]
	s_xor_b64 s[74:75], exec, s[74:75]
	s_cbranch_execz .LBB30_238
; %bb.237:                              ;   in Loop: Header=BB30_14 Depth=1
	v_accvgpr_read_b32 v1, a141
	v_add_u32_e32 v1, 64, v1
	v_mov_b32_e32 v2, 0
	ds_write2st64_b32 v1, v2, v2 offset0:41 offset1:42
                                        ; implicit-def: $vgpr1
.LBB30_238:                             ;   in Loop: Header=BB30_14 Depth=1
	s_andn2_saveexec_b64 s[74:75], s[74:75]
	s_cbranch_execz .LBB30_240
; %bb.239:                              ;   in Loop: Header=BB30_14 Depth=1
	v_mul_lo_u32 v1, v1, s33
	v_accvgpr_read_b32 v2, a21
	v_accvgpr_read_b32 v3, a139
	v_add3_u32 v2, v1, v3, v2
	v_ashrrev_i32_e32 v3, 31, v2
	v_lshlrev_b64 v[2:3], 3, v[2:3]
	v_add_co_u32_e32 v2, vcc, s56, v2
	v_mov_b32_e32 v1, s95
	v_addc_co_u32_e32 v3, vcc, v1, v3, vcc
	global_load_dwordx2 v[4:5], v[2:3], off
	s_waitcnt vmcnt(0)
	v_cvt_f16_f32_e32 v1, v4
	global_load_dwordx2 v[2:3], v[2:3], off offset:512
	v_cvt_f16_f32_e32 v4, v5
	v_pack_b32_f16 v1, v1, v4
	v_accvgpr_read_b32 v4, a9
	v_pk_mul_f16 v1, v4, v1
	s_waitcnt vmcnt(0)
	v_cvt_f16_f32_e32 v2, v2
	v_cvt_f16_f32_e32 v3, v3
	v_pack_b32_f16 v2, v2, v3
	v_accvgpr_read_b32 v3, a141
	v_pk_mul_f16 v2, v4, v2
	v_add_u32_e32 v3, 64, v3
	ds_write2st64_b32 v3, v1, v2 offset0:41 offset1:42
.LBB30_240:                             ;   in Loop: Header=BB30_14 Depth=1
	s_or_b64 exec, exec, s[74:75]
	v_accvgpr_read_b32 v1, a147
	v_add_u32_e32 v1, s78, v1
	v_cmp_le_i32_e32 vcc, s28, v1
	s_or_b64 s[8:9], vcc, s[8:9]
	s_and_saveexec_b64 s[52:53], s[8:9]
	s_xor_b64 s[8:9], exec, s[52:53]
	s_cbranch_execz .LBB30_242
; %bb.241:                              ;   in Loop: Header=BB30_14 Depth=1
	v_accvgpr_read_b32 v1, a141
	v_add_u32_e32 v1, 0x80, v1
	v_mov_b32_e32 v2, 0
	ds_write2st64_b32 v1, v2, v2 offset0:49 offset1:50
                                        ; implicit-def: $vgpr1
.LBB30_242:                             ;   in Loop: Header=BB30_14 Depth=1
	s_andn2_saveexec_b64 s[8:9], s[8:9]
	s_cbranch_execz .LBB30_244
; %bb.243:                              ;   in Loop: Header=BB30_14 Depth=1
	v_mul_lo_u32 v1, v1, s33
	v_accvgpr_read_b32 v2, a21
	v_accvgpr_read_b32 v3, a139
	v_add3_u32 v2, v1, v3, v2
	v_ashrrev_i32_e32 v3, 31, v2
	v_lshlrev_b64 v[2:3], 3, v[2:3]
	v_add_co_u32_e32 v2, vcc, s56, v2
	v_mov_b32_e32 v1, s95
	v_addc_co_u32_e32 v3, vcc, v1, v3, vcc
	global_load_dwordx2 v[4:5], v[2:3], off
	s_waitcnt vmcnt(0)
	v_cvt_f16_f32_e32 v1, v4
	global_load_dwordx2 v[2:3], v[2:3], off offset:512
	v_cvt_f16_f32_e32 v4, v5
	v_pack_b32_f16 v1, v1, v4
	v_accvgpr_read_b32 v4, a9
	v_pk_mul_f16 v1, v4, v1
	s_waitcnt vmcnt(0)
	v_cvt_f16_f32_e32 v2, v2
	v_cvt_f16_f32_e32 v3, v3
	v_pack_b32_f16 v2, v2, v3
	v_accvgpr_read_b32 v3, a141
	v_pk_mul_f16 v2, v4, v2
	v_add_u32_e32 v3, 0x80, v3
	ds_write2st64_b32 v3, v1, v2 offset0:49 offset1:50
.LBB30_244:                             ;   in Loop: Header=BB30_14 Depth=1
	s_or_b64 exec, exec, s[8:9]
	v_accvgpr_read_b32 v1, a22
	s_waitcnt lgkmcnt(0)
	s_barrier
	ds_read2_b64 v[30:33], v1 offset1:4
	ds_read2_b64 v[26:29], v1 offset0:8 offset1:12
	ds_read2_b64 v[22:25], v1 offset0:16 offset1:20
	;; [unrolled: 1-line block ×7, first 2 shown]
	s_cmp_gt_i32 s62, 1
	v_accvgpr_write_b32 a151, v229
	v_accvgpr_write_b32 a149, v228
	s_waitcnt lgkmcnt(0)
	s_barrier
	s_cbranch_scc1 .LBB30_246
; %bb.245:                              ;   in Loop: Header=BB30_14 Depth=1
	v_accvgpr_read_b32 v1, a23
	v_add_u32_e32 v1, s78, v1
	v_mul_hi_u32 v34, s42, v1
	v_add_u32_e32 v34, v1, v34
	v_lshrrev_b32_e32 v34, s43, v34
	v_mul_lo_u32 v34, v34, s28
	v_sub_u32_e32 v1, v1, v34
	v_mad_i64_i32 v[34:35], s[8:9], v1, s44, 0
	v_accvgpr_read_b32 v1, a137
	v_accvgpr_write_b32 a155, v35
	v_add_u32_e32 v1, s78, v1
	v_accvgpr_write_b32 a154, v34
	v_mul_hi_u32 v34, s42, v1
	v_add_u32_e32 v34, v1, v34
	v_lshrrev_b32_e32 v34, s43, v34
	v_mul_lo_u32 v34, v34, s28
	v_sub_u32_e32 v1, v1, v34
	v_mad_i64_i32 v[34:35], s[8:9], v1, s44, 0
	v_accvgpr_write_b32 a157, v35
	v_accvgpr_write_b32 a156, v34
	s_mov_b64 s[8:9], 0
	s_mov_b32 s53, 0xfeffffff
	s_mov_b32 s56, 0
	;; [unrolled: 1-line block ×3, first 2 shown]
	s_branch .LBB30_247
.LBB30_246:                             ;   in Loop: Header=BB30_14 Depth=1
	s_mov_b64 s[8:9], -1
                                        ; implicit-def: $sgpr52
                                        ; implicit-def: $sgpr56
                                        ; implicit-def: $sgpr53
                                        ; implicit-def: $agpr154_agpr155
                                        ; implicit-def: $agpr156_agpr157
.LBB30_247:                             ;   in Loop: Header=BB30_14 Depth=1
	s_andn2_b64 vcc, exec, s[8:9]
	v_mov_b32_e32 v115, s52
	v_mov_b32_e32 v35, s56
	;; [unrolled: 1-line block ×34, first 2 shown]
	s_cbranch_vccnz .LBB30_284
; %bb.248:                              ;   in Loop: Header=BB30_14 Depth=1
	v_accvgpr_read_b32 v1, a23
	v_add_u32_e32 v1, s78, v1
	v_mul_hi_u32 v34, s42, v1
	v_add_u32_e32 v34, v1, v34
	v_lshrrev_b32_e32 v34, s43, v34
	v_mul_lo_u32 v34, v34, s28
	v_sub_u32_e32 v1, v1, v34
	v_mad_i64_i32 v[34:35], s[8:9], v1, s44, 0
	v_accvgpr_write_b32 a155, v35
	v_accvgpr_write_b32 a154, v34
	v_accvgpr_read_b32 v34, a137
	v_add_u32_e32 v34, s78, v34
	v_mul_hi_u32 v35, s42, v34
	v_add_u32_e32 v35, v34, v35
	v_lshrrev_b32_e32 v35, s43, v35
	v_mul_lo_u32 v35, v35, s28
	v_sub_u32_e32 v36, v34, v35
	v_mad_i64_i32 v[34:35], s[8:9], v36, s44, 0
	v_accvgpr_write_b32 a157, v35
	v_accvgpr_read_b32 v37, a136
	v_accvgpr_write_b32 a156, v34
	v_and_b32_e32 v34, 64, v37
	v_add_u32_e32 v34, 64, v34
	v_xor_b32_e32 v35, 32, v37
	v_cmp_lt_i32_e32 vcc, v35, v34
	v_cndmask_b32_e32 v35, v37, v35, vcc
	v_lshlrev_b32_e32 v224, 2, v35
	v_xor_b32_e32 v35, 16, v37
	v_cmp_lt_i32_e32 vcc, v35, v34
	v_readlane_b32 s8, v255, 24
	v_cndmask_b32_e32 v34, v37, v35, vcc
	v_readlane_b32 s9, v255, 25
	s_mov_b32 s56, s8
	v_lshlrev_b32_e32 v190, 2, v34
	v_mad_i64_i32 v[34:35], s[8:9], s56, v1, v[84:85]
	v_accvgpr_read_b32 v1, a102
	v_add_co_u32_e32 v90, vcc, v1, v34
	v_accvgpr_read_b32 v37, a103
	s_add_i32 s52, s62, -1
	v_addc_co_u32_e32 v91, vcc, v37, v35, vcc
	v_mad_i64_i32 v[34:35], s[8:9], s56, v36, v[84:85]
	v_add_co_u32_e32 v84, vcc, v1, v34
	s_add_u32 s8, s92, s93
	v_addc_co_u32_e32 v85, vcc, v37, v35, vcc
	s_addc_u32 s9, s60, s94
	v_accvgpr_read_b32 v34, a104
	v_mov_b32_e32 v1, s9
	v_add_co_u32_e32 v92, vcc, s8, v34
	v_accvgpr_read_b32 v34, a105
	v_addc_co_u32_e32 v1, vcc, v34, v1, vcc
	v_accvgpr_read_b32 v35, a106
	v_mov_b32_e32 v34, s9
	v_add_co_u32_e32 v94, vcc, s8, v35
	v_accvgpr_read_b32 v35, a107
	v_addc_co_u32_e32 v77, vcc, v35, v34, vcc
	v_accvgpr_read_b32 v35, a108
	v_add_co_u32_e32 v96, vcc, s8, v35
	v_accvgpr_read_b32 v35, a109
	v_addc_co_u32_e32 v79, vcc, v35, v34, vcc
	v_accvgpr_read_b32 v35, a110
	;; [unrolled: 4-line block ×6, first 2 shown]
	v_add_co_u32_e32 v106, vcc, s8, v35
	v_accvgpr_read_b32 v35, a119
	s_add_u32 s8, s64, s65
	v_addc_co_u32_e32 v97, vcc, v35, v34, vcc
	s_addc_u32 s9, s63, s91
	v_accvgpr_read_b32 v35, a120
	v_mov_b32_e32 v34, s9
	v_add_co_u32_e32 v108, vcc, s8, v35
	v_accvgpr_read_b32 v35, a121
	v_addc_co_u32_e32 v99, vcc, v35, v34, vcc
	v_accvgpr_read_b32 v35, a122
	v_add_co_u32_e32 v110, vcc, s8, v35
	v_accvgpr_read_b32 v35, a123
	v_addc_co_u32_e32 v101, vcc, v35, v34, vcc
	v_accvgpr_read_b32 v35, a124
	;; [unrolled: 4-line block ×7, first 2 shown]
	v_add_co_u32_e32 v122, vcc, s8, v35
	v_accvgpr_read_b32 v35, a135
	v_accvgpr_write_b32 a26, v230
	v_accvgpr_write_b32 a25, v220
	;; [unrolled: 1-line block ×3, first 2 shown]
	v_mov_b32_e32 v189, 0
	v_addc_co_u32_e32 v113, vcc, v35, v34, vcc
	v_mov_b32_e32 v131, 0
	v_mov_b32_e32 v220, 0xfeffffff
	s_mov_b32 s53, s52
	v_mov_b32_e32 v133, 0
	v_mov_b32_e32 v233, 0
	;; [unrolled: 1-line block ×31, first 2 shown]
.LBB30_249:                             ;   Parent Loop BB30_14 Depth=1
                                        ; =>  This Inner Loop Header: Depth=2
	global_load_dword v34, v[90:91], off
	v_add_u32_e32 v35, v215, v221
	v_add_u32_e32 v38, 0x4000, v135
                                        ; implicit-def: $vgpr230
	s_waitcnt vmcnt(0)
	ds_write_b32 v35, v34 offset:33792
	global_load_dword v34, v[84:85], off
	s_waitcnt vmcnt(0)
	ds_write_b32 v35, v34 offset:34944
	v_add_co_u32_e32 v34, vcc, v108, v78
	v_addc_co_u32_e32 v35, vcc, 0, v99, vcc
	global_load_dwordx4 v[34:37], v[34:35], off
	s_waitcnt vmcnt(0)
	ds_write_b128 v134, v[34:37]
	v_add_co_u32_e32 v34, vcc, v110, v78
	v_addc_co_u32_e32 v35, vcc, 0, v101, vcc
	global_load_dwordx4 v[34:37], v[34:35], off
	s_waitcnt vmcnt(0)
	ds_write_b128 v216, v[34:37]
	;; [unrolled: 5-line block ×8, first 2 shown]
	s_waitcnt lgkmcnt(0)
	s_barrier
	ds_read2_b64 v[34:37], v135 offset1:4
	s_waitcnt lgkmcnt(0)
	v_mfma_f32_16x16x16f16 a[0:3], v[34:35], v[30:31], 0
	v_mfma_f32_16x16x16f16 a[0:3], v[36:37], v[32:33], a[0:3]
	ds_read2_b64 v[34:37], v135 offset0:8 offset1:12
	s_waitcnt lgkmcnt(0)
	v_mfma_f32_16x16x16f16 a[0:3], v[34:35], v[26:27], a[0:3]
	v_mfma_f32_16x16x16f16 a[0:3], v[36:37], v[28:29], a[0:3]
	ds_read2_b64 v[34:37], v135 offset0:16 offset1:20
	;; [unrolled: 4-line block ×15, first 2 shown]
	s_waitcnt lgkmcnt(0)
	s_barrier
	v_mfma_f32_16x16x16f16 a[4:7], v[34:35], v[2:3], a[4:7]
	v_accvgpr_read_b32 v34, a0
	v_cmp_nlt_f32_e64 s[8:9], |v34|, s45
	v_mfma_f32_16x16x16f16 a[4:7], v[36:37], v[4:5], a[4:7]
	s_and_saveexec_b64 s[62:63], s[8:9]
	s_xor_b64 s[8:9], exec, s[62:63]
	s_cbranch_execz .LBB30_251
; %bb.250:                              ;   in Loop: Header=BB30_249 Depth=2
	v_add_f32_e64 v34, |v34|, |v34|
	v_mul_f32_e32 v35, 0x3fb8aa3b, v34
	v_rndne_f32_e32 v36, v35
	v_sub_f32_e32 v37, v35, v36
	v_fma_f32 v35, v34, s67, -v35
	v_fmac_f32_e32 v35, 0x32a5705f, v34
	v_add_f32_e32 v35, v37, v35
	v_cvt_i32_f32_e32 v36, v36
	v_exp_f32_e32 v35, v35
	v_cmp_ngt_f32_e32 vcc, s55, v34
	v_ldexp_f32 v35, v35, v36
	v_cndmask_b32_e32 v35, 0, v35, vcc
	v_cmp_nlt_f32_e32 vcc, s7, v34
	v_cndmask_b32_e32 v34, v237, v35, vcc
	v_add_f32_e32 v34, 1.0, v34
	v_rcp_f32_e32 v34, v34
	v_fma_f32 v230, v34, -2.0, 1.0
                                        ; implicit-def: $vgpr34
.LBB30_251:                             ;   in Loop: Header=BB30_249 Depth=2
	s_andn2_saveexec_b64 s[8:9], s[8:9]
; %bb.252:                              ;   in Loop: Header=BB30_249 Depth=2
	v_mul_f32_e32 v35, v34, v34
	v_mov_b32_e32 v36, 0x3ca908c9
	v_fmac_f32_e32 v36, 0xbbbac73d, v35
	v_fma_f32 v36, v35, v36, v234
	v_fma_f32 v36, v35, v36, v235
	;; [unrolled: 1-line block ×3, first 2 shown]
	v_mul_f32_e64 v36, |v34|, v36
	v_fma_f32 v230, v35, v36, |v34|
; %bb.253:                              ;   in Loop: Header=BB30_249 Depth=2
	s_or_b64 exec, exec, s[8:9]
	v_accvgpr_read_b32 v37, a3
	v_accvgpr_read_b32 v35, a1
	;; [unrolled: 1-line block ×4, first 2 shown]
	v_cmp_nlt_f32_e64 s[8:9], |v35|, s45
                                        ; implicit-def: $vgpr231
	s_and_saveexec_b64 s[62:63], s[8:9]
	s_xor_b64 s[8:9], exec, s[62:63]
	s_cbranch_execz .LBB30_255
; %bb.254:                              ;   in Loop: Header=BB30_249 Depth=2
	v_add_f32_e64 v38, |v35|, |v35|
	v_mul_f32_e32 v39, 0x3fb8aa3b, v38
	v_rndne_f32_e32 v40, v39
	v_sub_f32_e32 v41, v39, v40
	v_fma_f32 v39, v38, s67, -v39
	v_fmac_f32_e32 v39, 0x32a5705f, v38
	v_add_f32_e32 v39, v41, v39
	v_cvt_i32_f32_e32 v40, v40
	v_exp_f32_e32 v39, v39
	v_cmp_ngt_f32_e32 vcc, s55, v38
	v_ldexp_f32 v39, v39, v40
	v_cndmask_b32_e32 v39, 0, v39, vcc
	v_cmp_nlt_f32_e32 vcc, s7, v38
	v_cndmask_b32_e32 v38, v237, v39, vcc
	v_add_f32_e32 v38, 1.0, v38
	v_rcp_f32_e32 v38, v38
	v_fma_f32 v231, v38, -2.0, 1.0
.LBB30_255:                             ;   in Loop: Header=BB30_249 Depth=2
	s_andn2_saveexec_b64 s[8:9], s[8:9]
; %bb.256:                              ;   in Loop: Header=BB30_249 Depth=2
	v_mul_f32_e32 v38, v35, v35
	v_mov_b32_e32 v39, 0x3ca908c9
	v_fmac_f32_e32 v39, 0xbbbac73d, v38
	v_fma_f32 v39, v38, v39, v234
	v_fma_f32 v39, v38, v39, v235
	;; [unrolled: 1-line block ×3, first 2 shown]
	v_mul_f32_e64 v39, |v35|, v39
	v_fma_f32 v231, v38, v39, |v35|
; %bb.257:                              ;   in Loop: Header=BB30_249 Depth=2
	s_or_b64 exec, exec, s[8:9]
	v_cmp_nlt_f32_e64 s[8:9], |v36|, s45
                                        ; implicit-def: $vgpr242
	s_and_saveexec_b64 s[62:63], s[8:9]
	s_xor_b64 s[8:9], exec, s[62:63]
	s_cbranch_execz .LBB30_259
; %bb.258:                              ;   in Loop: Header=BB30_249 Depth=2
	v_add_f32_e64 v38, |v36|, |v36|
	v_mul_f32_e32 v39, 0x3fb8aa3b, v38
	v_rndne_f32_e32 v40, v39
	v_sub_f32_e32 v41, v39, v40
	v_fma_f32 v39, v38, s67, -v39
	v_fmac_f32_e32 v39, 0x32a5705f, v38
	v_add_f32_e32 v39, v41, v39
	v_cvt_i32_f32_e32 v40, v40
	v_exp_f32_e32 v39, v39
	v_cmp_ngt_f32_e32 vcc, s55, v38
	v_ldexp_f32 v39, v39, v40
	v_cndmask_b32_e32 v39, 0, v39, vcc
	v_cmp_nlt_f32_e32 vcc, s7, v38
	v_cndmask_b32_e32 v38, v237, v39, vcc
	v_add_f32_e32 v38, 1.0, v38
	v_rcp_f32_e32 v38, v38
	v_fma_f32 v242, v38, -2.0, 1.0
.LBB30_259:                             ;   in Loop: Header=BB30_249 Depth=2
	s_andn2_saveexec_b64 s[8:9], s[8:9]
; %bb.260:                              ;   in Loop: Header=BB30_249 Depth=2
	v_mul_f32_e32 v38, v36, v36
	v_mov_b32_e32 v39, 0x3ca908c9
	v_fmac_f32_e32 v39, 0xbbbac73d, v38
	v_fma_f32 v39, v38, v39, v234
	v_fma_f32 v39, v38, v39, v235
	;; [unrolled: 1-line block ×3, first 2 shown]
	v_mul_f32_e64 v39, |v36|, v39
	v_fma_f32 v242, v38, v39, |v36|
; %bb.261:                              ;   in Loop: Header=BB30_249 Depth=2
	s_or_b64 exec, exec, s[8:9]
	v_cmp_nlt_f32_e64 s[8:9], |v37|, s45
                                        ; implicit-def: $vgpr248
	s_and_saveexec_b64 s[62:63], s[8:9]
	s_xor_b64 s[8:9], exec, s[62:63]
	s_cbranch_execz .LBB30_263
; %bb.262:                              ;   in Loop: Header=BB30_249 Depth=2
	v_add_f32_e64 v38, |v37|, |v37|
	v_mul_f32_e32 v39, 0x3fb8aa3b, v38
	v_rndne_f32_e32 v40, v39
	v_sub_f32_e32 v41, v39, v40
	v_fma_f32 v39, v38, s67, -v39
	v_fmac_f32_e32 v39, 0x32a5705f, v38
	v_add_f32_e32 v39, v41, v39
	v_cvt_i32_f32_e32 v40, v40
	v_exp_f32_e32 v39, v39
	v_cmp_ngt_f32_e32 vcc, s55, v38
	v_ldexp_f32 v39, v39, v40
	v_cndmask_b32_e32 v39, 0, v39, vcc
	v_cmp_nlt_f32_e32 vcc, s7, v38
	v_cndmask_b32_e32 v38, v237, v39, vcc
	v_add_f32_e32 v38, 1.0, v38
	v_rcp_f32_e32 v38, v38
	v_fma_f32 v248, v38, -2.0, 1.0
.LBB30_263:                             ;   in Loop: Header=BB30_249 Depth=2
	s_andn2_saveexec_b64 s[8:9], s[8:9]
; %bb.264:                              ;   in Loop: Header=BB30_249 Depth=2
	v_mul_f32_e32 v38, v37, v37
	v_mov_b32_e32 v39, 0x3ca908c9
	v_fmac_f32_e32 v39, 0xbbbac73d, v38
	v_fma_f32 v39, v38, v39, v234
	v_fma_f32 v39, v38, v39, v235
	;; [unrolled: 1-line block ×3, first 2 shown]
	v_mul_f32_e64 v39, |v37|, v39
	v_fma_f32 v248, v38, v39, |v37|
; %bb.265:                              ;   in Loop: Header=BB30_249 Depth=2
	s_or_b64 exec, exec, s[8:9]
	v_accvgpr_read_b32 v41, a7
	v_accvgpr_read_b32 v38, a4
	;; [unrolled: 1-line block ×4, first 2 shown]
	v_cmp_nlt_f32_e64 s[8:9], |v38|, s45
                                        ; implicit-def: $vgpr219
	s_and_saveexec_b64 s[62:63], s[8:9]
	s_xor_b64 s[8:9], exec, s[62:63]
	s_cbranch_execz .LBB30_267
; %bb.266:                              ;   in Loop: Header=BB30_249 Depth=2
	v_add_f32_e64 v86, |v38|, |v38|
	v_mul_f32_e32 v87, 0x3fb8aa3b, v86
	v_rndne_f32_e32 v88, v87
	v_sub_f32_e32 v89, v87, v88
	v_fma_f32 v87, v86, s67, -v87
	v_fmac_f32_e32 v87, 0x32a5705f, v86
	v_add_f32_e32 v87, v89, v87
	v_cvt_i32_f32_e32 v88, v88
	v_exp_f32_e32 v87, v87
	v_cmp_ngt_f32_e32 vcc, s55, v86
	v_ldexp_f32 v87, v87, v88
	v_cndmask_b32_e32 v87, 0, v87, vcc
	v_cmp_nlt_f32_e32 vcc, s7, v86
	v_cndmask_b32_e32 v86, v237, v87, vcc
	v_add_f32_e32 v86, 1.0, v86
	v_rcp_f32_e32 v86, v86
	v_fma_f32 v219, v86, -2.0, 1.0
.LBB30_267:                             ;   in Loop: Header=BB30_249 Depth=2
	s_andn2_saveexec_b64 s[8:9], s[8:9]
; %bb.268:                              ;   in Loop: Header=BB30_249 Depth=2
	v_mul_f32_e32 v86, v38, v38
	v_mov_b32_e32 v87, 0x3ca908c9
	v_fmac_f32_e32 v87, 0xbbbac73d, v86
	v_fma_f32 v87, v86, v87, v234
	v_fma_f32 v87, v86, v87, v235
	;; [unrolled: 1-line block ×3, first 2 shown]
	v_mul_f32_e64 v87, |v38|, v87
	v_fma_f32 v219, v86, v87, |v38|
; %bb.269:                              ;   in Loop: Header=BB30_249 Depth=2
	s_or_b64 exec, exec, s[8:9]
	v_cmp_nlt_f32_e64 s[8:9], |v39|, s45
                                        ; implicit-def: $vgpr132
	s_and_saveexec_b64 s[62:63], s[8:9]
	s_xor_b64 s[8:9], exec, s[62:63]
	s_cbranch_execz .LBB30_271
; %bb.270:                              ;   in Loop: Header=BB30_249 Depth=2
	v_add_f32_e64 v86, |v39|, |v39|
	v_mul_f32_e32 v87, 0x3fb8aa3b, v86
	v_rndne_f32_e32 v88, v87
	v_sub_f32_e32 v89, v87, v88
	v_fma_f32 v87, v86, s67, -v87
	v_fmac_f32_e32 v87, 0x32a5705f, v86
	v_add_f32_e32 v87, v89, v87
	v_cvt_i32_f32_e32 v88, v88
	v_exp_f32_e32 v87, v87
	v_cmp_ngt_f32_e32 vcc, s55, v86
	v_ldexp_f32 v87, v87, v88
	v_cndmask_b32_e32 v87, 0, v87, vcc
	v_cmp_nlt_f32_e32 vcc, s7, v86
	v_cndmask_b32_e32 v86, v237, v87, vcc
	v_add_f32_e32 v86, 1.0, v86
	v_rcp_f32_e32 v86, v86
	v_fma_f32 v132, v86, -2.0, 1.0
.LBB30_271:                             ;   in Loop: Header=BB30_249 Depth=2
	s_andn2_saveexec_b64 s[8:9], s[8:9]
; %bb.272:                              ;   in Loop: Header=BB30_249 Depth=2
	v_mul_f32_e32 v86, v39, v39
	v_mov_b32_e32 v87, 0x3ca908c9
	v_fmac_f32_e32 v87, 0xbbbac73d, v86
	v_fma_f32 v87, v86, v87, v234
	v_fma_f32 v87, v86, v87, v235
	;; [unrolled: 1-line block ×3, first 2 shown]
	v_mul_f32_e64 v87, |v39|, v87
	v_fma_f32 v132, v86, v87, |v39|
; %bb.273:                              ;   in Loop: Header=BB30_249 Depth=2
	s_or_b64 exec, exec, s[8:9]
	v_cmp_nlt_f32_e64 s[8:9], |v40|, s45
                                        ; implicit-def: $vgpr86
	s_and_saveexec_b64 s[62:63], s[8:9]
	s_xor_b64 s[8:9], exec, s[62:63]
	s_cbranch_execz .LBB30_275
; %bb.274:                              ;   in Loop: Header=BB30_249 Depth=2
	v_add_f32_e64 v86, |v40|, |v40|
	v_mul_f32_e32 v87, 0x3fb8aa3b, v86
	v_rndne_f32_e32 v88, v87
	v_sub_f32_e32 v89, v87, v88
	v_fma_f32 v87, v86, s67, -v87
	v_fmac_f32_e32 v87, 0x32a5705f, v86
	v_add_f32_e32 v87, v89, v87
	v_cvt_i32_f32_e32 v88, v88
	v_exp_f32_e32 v87, v87
	v_cmp_ngt_f32_e32 vcc, s55, v86
	v_ldexp_f32 v87, v87, v88
	v_cndmask_b32_e32 v87, 0, v87, vcc
	v_cmp_nlt_f32_e32 vcc, s7, v86
	v_cndmask_b32_e32 v86, v237, v87, vcc
	v_add_f32_e32 v86, 1.0, v86
	v_rcp_f32_e32 v86, v86
	v_fma_f32 v86, v86, -2.0, 1.0
.LBB30_275:                             ;   in Loop: Header=BB30_249 Depth=2
	s_andn2_saveexec_b64 s[8:9], s[8:9]
; %bb.276:                              ;   in Loop: Header=BB30_249 Depth=2
	v_mul_f32_e32 v86, v40, v40
	v_mov_b32_e32 v87, 0x3ca908c9
	v_fmac_f32_e32 v87, 0xbbbac73d, v86
	v_fma_f32 v87, v86, v87, v234
	v_fma_f32 v87, v86, v87, v235
	;; [unrolled: 1-line block ×3, first 2 shown]
	v_mul_f32_e64 v87, |v40|, v87
	v_fma_f32 v86, v86, v87, |v40|
; %bb.277:                              ;   in Loop: Header=BB30_249 Depth=2
	s_or_b64 exec, exec, s[8:9]
	v_cmp_nlt_f32_e64 s[8:9], |v41|, s45
                                        ; implicit-def: $vgpr87
	s_and_saveexec_b64 s[62:63], s[8:9]
	s_xor_b64 s[8:9], exec, s[62:63]
	s_cbranch_execz .LBB30_279
; %bb.278:                              ;   in Loop: Header=BB30_249 Depth=2
	v_add_f32_e64 v87, |v41|, |v41|
	v_mul_f32_e32 v88, 0x3fb8aa3b, v87
	v_rndne_f32_e32 v89, v88
	v_sub_f32_e32 v140, v88, v89
	v_fma_f32 v88, v87, s67, -v88
	v_fmac_f32_e32 v88, 0x32a5705f, v87
	v_add_f32_e32 v88, v140, v88
	v_cvt_i32_f32_e32 v89, v89
	v_exp_f32_e32 v88, v88
	v_cmp_ngt_f32_e32 vcc, s55, v87
	v_ldexp_f32 v88, v88, v89
	v_cndmask_b32_e32 v88, 0, v88, vcc
	v_cmp_nlt_f32_e32 vcc, s7, v87
	v_cndmask_b32_e32 v87, v237, v88, vcc
	v_add_f32_e32 v87, 1.0, v87
	v_rcp_f32_e32 v87, v87
	v_fma_f32 v87, v87, -2.0, 1.0
.LBB30_279:                             ;   in Loop: Header=BB30_249 Depth=2
	s_andn2_saveexec_b64 s[8:9], s[8:9]
; %bb.280:                              ;   in Loop: Header=BB30_249 Depth=2
	v_mul_f32_e32 v87, v41, v41
	v_mov_b32_e32 v88, 0x3ca908c9
	v_fmac_f32_e32 v88, 0xbbbac73d, v87
	v_fma_f32 v88, v87, v88, v234
	v_fma_f32 v88, v87, v88, v235
	;; [unrolled: 1-line block ×3, first 2 shown]
	v_mul_f32_e64 v88, |v41|, v88
	v_fma_f32 v87, v87, v88, |v41|
; %bb.281:                              ;   in Loop: Header=BB30_249 Depth=2
	s_or_b64 exec, exec, s[8:9]
	v_bfi_b32 v40, s6, v86, v40
	v_bfi_b32 v86, s6, v242, v36
	v_accvgpr_read_b32 v36, a24
	v_add_u32_e32 v36, 0x8400, v36
	v_bfi_b32 v39, s6, v132, v39
	ds_read2_b32 v[88:89], v36 offset1:1
	ds_read_b32 v132, v187 offset:33792
	ds_read_b32 v140, v188 offset:33792
	v_bfi_b32 v41, s6, v87, v41
	v_bfi_b32 v87, s6, v248, v37
	s_waitcnt lgkmcnt(2)
	v_cvt_f32_f16_e32 v36, v88
	v_cvt_f32_f16_sdwa v37, v88 dst_sel:DWORD dst_unused:UNUSED_PAD src0_sel:WORD_1
	v_bfi_b32 v35, s6, v231, v35
	v_bfi_b32 v34, s6, v230, v34
	;; [unrolled: 1-line block ×3, first 2 shown]
	v_pk_fma_f32 v[230:231], v[34:35], s[34:35], v[36:37]
	v_add_f32_e32 v34, 0x40051340, v230
	v_add_f32_e32 v35, 0x40051340, v231
	v_max3_f32 v88, v220, v34, v35
	s_waitcnt lgkmcnt(0)
	v_cvt_f32_f16_sdwa v35, v140 dst_sel:DWORD dst_unused:UNUSED_PAD src0_sel:WORD_1
	v_cvt_f32_f16_e32 v34, v140
	s_add_i32 s53, s53, -1
	s_cmp_lg_u32 s53, 0
	v_pk_fma_f32 v[36:37], v[40:41], s[34:35], v[34:35]
	v_cvt_f32_f16_sdwa v35, v132 dst_sel:DWORD dst_unused:UNUSED_PAD src0_sel:WORD_1
	v_cvt_f32_f16_e32 v34, v132
	v_add_f32_e32 v140, 0x40051340, v36
	v_add_f32_e32 v141, 0x40051340, v37
	v_pk_fma_f32 v[38:39], v[38:39], s[34:35], v[34:35]
	v_cvt_f32_f16_e32 v34, v89
	v_cvt_f32_f16_sdwa v35, v89 dst_sel:DWORD dst_unused:UNUSED_PAD src0_sel:WORD_1
	v_add_f32_e32 v132, 0x40051340, v38
	v_add_f32_e32 v142, 0x40051340, v39
	v_pk_fma_f32 v[40:41], v[86:87], s[34:35], v[34:35]
	v_add_f32_e32 v34, 0x40051340, v40
	v_add_f32_e32 v35, 0x40051340, v41
	v_max3_f32 v34, v88, v34, v35
	v_max3_f32 v34, v34, v132, v142
	;; [unrolled: 1-line block ×3, first 2 shown]
	ds_bpermute_b32 v35, v224, v34
	s_waitcnt lgkmcnt(0)
	v_max_f32_e32 v35, v35, v35
	v_max_f32_e32 v34, v34, v35
	ds_bpermute_b32 v35, v190, v34
	s_waitcnt lgkmcnt(0)
	v_max_f32_e32 v35, v35, v35
	v_max_f32_e32 v34, v34, v35
	v_pk_add_f32 v[86:87], v[230:231], v[34:35] op_sel_hi:[1,0] neg_lo:[0,1] neg_hi:[0,1]
	v_mul_f32_e32 v35, 0x3fb8aa3b, v87
	v_fma_f32 v88, v87, s67, -v35
	v_rndne_f32_e32 v89, v35
	v_fmac_f32_e32 v88, 0x32a5705f, v87
	v_sub_f32_e32 v35, v35, v89
	v_add_f32_e32 v35, v35, v88
	v_exp_f32_e32 v35, v35
	v_cvt_i32_f32_e32 v88, v89
	v_cmp_ngt_f32_e32 vcc, s55, v87
	v_ldexp_f32 v35, v35, v88
	v_cndmask_b32_e32 v35, 0, v35, vcc
	v_cmp_nlt_f32_e32 vcc, s7, v87
	v_cndmask_b32_e32 v87, v237, v35, vcc
	v_mul_f32_e32 v35, 0x3fb8aa3b, v86
	v_fma_f32 v88, v86, s67, -v35
	v_rndne_f32_e32 v89, v35
	v_fmac_f32_e32 v88, 0x32a5705f, v86
	v_sub_f32_e32 v35, v35, v89
	v_add_f32_e32 v35, v35, v88
	v_exp_f32_e32 v35, v35
	v_cvt_i32_f32_e32 v88, v89
	v_cmp_ngt_f32_e32 vcc, s55, v86
	v_ldexp_f32 v35, v35, v88
	v_cndmask_b32_e32 v35, 0, v35, vcc
	v_cmp_nlt_f32_e32 vcc, s7, v86
	v_pk_add_f32 v[40:41], v[40:41], v[34:35] op_sel_hi:[1,0] neg_lo:[0,1] neg_hi:[0,1]
	v_cndmask_b32_e32 v86, v237, v35, vcc
	v_mul_f32_e32 v35, 0x3fb8aa3b, v41
	v_fma_f32 v88, v41, s67, -v35
	v_rndne_f32_e32 v89, v35
	v_fmac_f32_e32 v88, 0x32a5705f, v41
	v_sub_f32_e32 v35, v35, v89
	v_add_f32_e32 v35, v35, v88
	v_exp_f32_e32 v35, v35
	v_cvt_i32_f32_e32 v88, v89
	v_cmp_ngt_f32_e32 vcc, s55, v41
	v_ldexp_f32 v35, v35, v88
	v_cndmask_b32_e32 v35, 0, v35, vcc
	v_cmp_nlt_f32_e32 vcc, s7, v41
	v_cndmask_b32_e32 v88, v237, v35, vcc
	v_mul_f32_e32 v35, 0x3fb8aa3b, v40
	v_fma_f32 v41, v40, s67, -v35
	v_rndne_f32_e32 v89, v35
	v_fmac_f32_e32 v41, 0x32a5705f, v40
	v_sub_f32_e32 v35, v35, v89
	v_add_f32_e32 v35, v35, v41
	v_exp_f32_e32 v35, v35
	v_cvt_i32_f32_e32 v41, v89
	v_cmp_ngt_f32_e32 vcc, s55, v40
	v_ldexp_f32 v35, v35, v41
	v_cndmask_b32_e32 v35, 0, v35, vcc
	v_cmp_nlt_f32_e32 vcc, s7, v40
	v_pk_add_f32 v[38:39], v[38:39], v[34:35] op_sel_hi:[1,0] neg_lo:[0,1] neg_hi:[0,1]
	v_cndmask_b32_e32 v89, v237, v35, vcc
	;; [unrolled: 27-line block ×3, first 2 shown]
	v_mul_f32_e32 v35, 0x3fb8aa3b, v37
	v_fma_f32 v38, v37, s67, -v35
	v_rndne_f32_e32 v39, v35
	v_fmac_f32_e32 v38, 0x32a5705f, v37
	v_sub_f32_e32 v35, v35, v39
	v_add_f32_e32 v35, v35, v38
	v_exp_f32_e32 v35, v35
	v_cvt_i32_f32_e32 v38, v39
	v_cmp_ngt_f32_e32 vcc, s55, v37
	v_ldexp_f32 v35, v35, v38
	v_cndmask_b32_e32 v35, 0, v35, vcc
	v_cmp_nlt_f32_e32 vcc, s7, v37
	v_cndmask_b32_e32 v37, v237, v35, vcc
	v_mul_f32_e32 v35, 0x3fb8aa3b, v36
	v_fma_f32 v38, v36, s67, -v35
	v_rndne_f32_e32 v39, v35
	v_fmac_f32_e32 v38, 0x32a5705f, v36
	v_sub_f32_e32 v35, v35, v39
	v_add_f32_e32 v35, v35, v38
	v_exp_f32_e32 v35, v35
	v_cvt_i32_f32_e32 v38, v39
	v_cmp_ngt_f32_e32 vcc, s55, v36
	v_ldexp_f32 v35, v35, v38
	v_cndmask_b32_e32 v35, 0, v35, vcc
	v_cmp_nlt_f32_e32 vcc, s7, v36
	v_sub_f32_e32 v36, v220, v34
	v_mul_f32_e32 v38, 0x3fb8aa3b, v36
	v_fma_f32 v39, v36, s67, -v38
	v_rndne_f32_e32 v40, v38
	v_fmac_f32_e32 v39, 0x32a5705f, v36
	v_sub_f32_e32 v38, v38, v40
	v_add_f32_e32 v38, v38, v39
	v_exp_f32_e32 v38, v38
	v_cvt_i32_f32_e32 v39, v40
	v_cndmask_b32_e32 v141, v237, v35, vcc
	v_add_f32_e32 v35, v86, v87
	v_add_f32_e32 v35, v89, v35
	;; [unrolled: 1-line block ×4, first 2 shown]
	v_ldexp_f32 v38, v38, v39
	v_cmp_ngt_f32_e32 vcc, s55, v36
	v_add_f32_e32 v35, v132, v35
	v_cndmask_b32_e32 v38, 0, v38, vcc
	v_cmp_nlt_f32_e32 vcc, s7, v36
	v_add_f32_e32 v35, v141, v35
	v_cndmask_b32_e32 v38, v237, v38, vcc
	v_cmp_le_f32_e32 vcc, s89, v36
	v_add_f32_e32 v35, v37, v35
	v_cndmask_b32_e32 v36, 0, v38, vcc
	v_fmac_f32_e32 v35, v131, v36
	v_cvt_f16_f32_e32 v36, v36
	v_cvt_f16_f32_e32 v38, v87
	;; [unrolled: 1-line block ×4, first 2 shown]
	v_pk_mul_f16 v242, v36, v76 op_sel_hi:[0,1]
	v_pk_mul_f16 v76, v36, v115 op_sel_hi:[0,1]
	;; [unrolled: 1-line block ×32, first 2 shown]
	v_cvt_f16_f32_e32 v36, v86
	v_cvt_f16_f32_e32 v86, v140
	v_pack_b32_f16 v38, v36, v38
	v_cvt_f16_f32_e32 v36, v88
	v_pack_b32_f16 v39, v39, v36
	;; [unrolled: 2-line block ×4, first 2 shown]
	v_add_co_u32_e32 v86, vcc, v92, v78
	v_addc_co_u32_e32 v87, vcc, 0, v1, vcc
	global_load_dwordx4 v[86:89], v[86:87], off
	v_add_co_u32_e32 v132, vcc, v94, v78
	v_addc_co_u32_e32 v133, vcc, 0, v77, vcc
	v_add_co_u32_e32 v240, vcc, v96, v78
	v_addc_co_u32_e32 v241, vcc, 0, v79, vcc
	;; [unrolled: 2-line block ×9, first 2 shown]
	v_add_co_u32_e32 v92, vcc, s68, v92
	s_waitcnt vmcnt(0)
	ds_write_b128 v134, v[86:89]
	global_load_dwordx4 v[86:89], v[132:133], off
	s_waitcnt vmcnt(0)
	ds_write_b128 v216, v[86:89]
	global_load_dwordx4 v[86:89], v[240:241], off
	;; [unrolled: 3-line block ×7, first 2 shown]
	s_waitcnt vmcnt(0)
	ds_write_b128 v206, v[86:89]
	s_waitcnt lgkmcnt(0)
	s_barrier
	ds_read_u16 v115, v138 offset:528
	ds_read_u16 v132, v138 offset:1056
	v_cvt_f32_f16_e32 v88, v76
	v_cvt_f32_f16_sdwa v89, v76 dst_sel:DWORD dst_unused:UNUSED_PAD src0_sel:WORD_1
	ds_read_u16 v76, v139
	ds_read_u16 v140, v139 offset:32
	v_cvt_f32_f16_e32 v86, v242
	v_cvt_f32_f16_sdwa v87, v242 dst_sel:DWORD dst_unused:UNUSED_PAD src0_sel:WORD_1
	s_waitcnt lgkmcnt(1)
	v_perm_b32 v133, v76, v132, s66
	ds_read_u16 v76, v137
	ds_read_u16 v141, v137 offset:32
	v_accvgpr_write_b32 a0, v86
	v_accvgpr_write_b32 a1, v87
	;; [unrolled: 1-line block ×3, first 2 shown]
	s_waitcnt lgkmcnt(1)
	v_perm_b32 v132, v115, v76, s66
	v_accvgpr_write_b32 a3, v89
	s_nop 1
	v_mfma_f32_16x16x16f16 a[0:3], v[132:133], v[38:39], a[0:3]
	ds_read_u16 v115, v137 offset:16896
	ds_read_u16 v132, v207 offset:528
	;; [unrolled: 1-line block ×4, first 2 shown]
	s_waitcnt lgkmcnt(2)
	v_perm_b32 v132, v132, v115, s66
	s_waitcnt lgkmcnt(0)
	v_perm_b32 v133, v142, v133, s66
	s_nop 2
	v_accvgpr_read_b32 v86, a1
	v_accvgpr_read_b32 v76, a0
	v_cvt_f16_f32_e32 v87, v86
	v_accvgpr_read_b32 v86, a2
	v_cvt_f16_f32_e32 v76, v76
	v_cvt_f16_f32_e32 v88, v86
	v_accvgpr_read_b32 v86, a3
	v_cvt_f16_f32_e32 v89, v86
	v_cvt_f32_f16_e32 v86, v76
	v_cvt_f32_f16_e32 v87, v87
	;; [unrolled: 1-line block ×4, first 2 shown]
	v_accvgpr_write_b32 a0, v86
	v_accvgpr_write_b32 a1, v87
	;; [unrolled: 1-line block ×4, first 2 shown]
	v_cvt_f32_f16_sdwa v89, v226 dst_sel:DWORD dst_unused:UNUSED_PAD src0_sel:WORD_1
	s_nop 0
	v_mfma_f32_16x16x16f16 a[0:3], v[132:133], v[36:37], a[0:3]
	ds_read_u16 v132, v208 offset:528
	ds_read_u16 v133, v208 offset:1056
	s_waitcnt lgkmcnt(1)
	v_perm_b32 v132, v132, v141, s66
	s_waitcnt lgkmcnt(0)
	v_perm_b32 v133, v140, v133, s66
	v_accvgpr_read_b32 v141, a26
	s_nop 3
	v_accvgpr_read_b32 v76, a0
	v_accvgpr_read_b32 v86, a1
	v_cvt_f16_f32_e32 v76, v76
	v_cvt_f16_f32_e32 v86, v86
	v_accvgpr_read_b32 v87, a2
	v_accvgpr_read_b32 v88, a3
	v_cvt_f16_f32_e32 v87, v87
	v_cvt_f16_f32_e32 v88, v88
	v_pack_b32_f16 v76, v76, v86
	v_cvt_f32_f16_e32 v86, v227
	v_pack_b32_f16 v115, v87, v88
	v_cvt_f32_f16_sdwa v87, v227 dst_sel:DWORD dst_unused:UNUSED_PAD src0_sel:WORD_1
	v_cvt_f32_f16_e32 v88, v226
	v_accvgpr_write_b32 a0, v86
	v_accvgpr_write_b32 a3, v89
	;; [unrolled: 1-line block ×4, first 2 shown]
	s_nop 1
	v_mfma_f32_16x16x16f16 a[0:3], v[132:133], v[38:39], a[0:3]
	v_accvgpr_read_b32 v132, a25
	ds_read_u16 v132, v132 offset:16896
	ds_read_u16 v140, v170 offset:528
	ds_read_u16 v133, v209 offset:1056
	ds_read_u16 v141, v141 offset:16896
	s_waitcnt lgkmcnt(2)
	v_perm_b32 v132, v140, v132, s66
	s_waitcnt lgkmcnt(0)
	v_perm_b32 v133, v141, v133, s66
	s_nop 1
	v_accvgpr_read_b32 v86, a0
	v_cvt_f16_f32_e32 v86, v86
	v_accvgpr_read_b32 v87, a1
	v_accvgpr_read_b32 v88, a2
	v_accvgpr_read_b32 v89, a3
	v_cvt_f16_f32_e32 v87, v87
	v_cvt_f16_f32_e32 v88, v88
	v_cvt_f16_f32_e32 v89, v89
	v_cvt_f32_f16_e32 v86, v86
	v_cvt_f32_f16_e32 v87, v87
	v_cvt_f32_f16_e32 v88, v88
	v_cvt_f32_f16_e32 v89, v89
	v_accvgpr_write_b32 a0, v86
	v_accvgpr_write_b32 a1, v87
	v_accvgpr_write_b32 a2, v88
	v_accvgpr_write_b32 a3, v89
	s_nop 1
	v_mfma_f32_16x16x16f16 a[0:3], v[132:133], v[36:37], a[0:3]
	ds_read_u16 v132, v137 offset:64
	ds_read_u16 v140, v202 offset:528
	ds_read_u16 v133, v202 offset:1056
	ds_read_u16 v141, v139 offset:64
	s_waitcnt lgkmcnt(2)
	v_perm_b32 v132, v140, v132, s66
	s_waitcnt lgkmcnt(0)
	v_perm_b32 v133, v141, v133, s66
	v_accvgpr_read_b32 v141, a27
	s_nop 1
	v_accvgpr_read_b32 v86, a0
	v_accvgpr_read_b32 v87, a1
	v_cvt_f16_f32_e32 v86, v86
	v_cvt_f16_f32_e32 v87, v87
	v_accvgpr_read_b32 v88, a2
	v_accvgpr_read_b32 v89, a3
	v_cvt_f16_f32_e32 v88, v88
	v_cvt_f16_f32_e32 v89, v89
	v_pack_b32_f16 v227, v86, v87
	v_cvt_f32_f16_e32 v86, v229
	v_cvt_f32_f16_sdwa v87, v229 dst_sel:DWORD dst_unused:UNUSED_PAD src0_sel:WORD_1
	v_pack_b32_f16 v226, v88, v89
	v_cvt_f32_f16_e32 v88, v228
	v_cvt_f32_f16_sdwa v89, v228 dst_sel:DWORD dst_unused:UNUSED_PAD src0_sel:WORD_1
	v_accvgpr_write_b32 a0, v86
	v_accvgpr_write_b32 a1, v87
	v_accvgpr_write_b32 a2, v88
	v_accvgpr_write_b32 a3, v89
	s_nop 1
	v_mfma_f32_16x16x16f16 a[0:3], v[132:133], v[38:39], a[0:3]
	ds_read_u16 v132, v136 offset:16896
	ds_read_u16 v140, v171 offset:528
	ds_read_u16 v133, v203 offset:1056
	ds_read_u16 v141, v141 offset:16896
	s_waitcnt lgkmcnt(2)
	v_perm_b32 v132, v140, v132, s66
	s_waitcnt lgkmcnt(0)
	v_perm_b32 v133, v141, v133, s66
	s_nop 2
	v_accvgpr_read_b32 v86, a0
	v_cvt_f16_f32_e32 v86, v86
	v_accvgpr_read_b32 v87, a1
	v_accvgpr_read_b32 v88, a2
	v_accvgpr_read_b32 v89, a3
	v_cvt_f16_f32_e32 v87, v87
	v_cvt_f16_f32_e32 v88, v88
	v_cvt_f16_f32_e32 v89, v89
	v_cvt_f32_f16_e32 v86, v86
	v_cvt_f32_f16_e32 v87, v87
	v_cvt_f32_f16_e32 v88, v88
	v_cvt_f32_f16_e32 v89, v89
	v_accvgpr_write_b32 a0, v86
	v_accvgpr_write_b32 a1, v87
	v_accvgpr_write_b32 a2, v88
	v_accvgpr_write_b32 a3, v89
	s_nop 1
	v_mfma_f32_16x16x16f16 a[0:3], v[132:133], v[36:37], a[0:3]
	ds_read_u16 v132, v137 offset:96
	ds_read_u16 v140, v204 offset:528
	ds_read_u16 v133, v204 offset:1056
	ds_read_u16 v141, v139 offset:96
	s_waitcnt lgkmcnt(2)
	v_perm_b32 v132, v140, v132, s66
	s_waitcnt lgkmcnt(0)
	v_perm_b32 v133, v141, v133, s66
	v_accvgpr_read_b32 v141, a28
	s_nop 1
	v_accvgpr_read_b32 v86, a0
	v_accvgpr_read_b32 v87, a1
	v_cvt_f16_f32_e32 v86, v86
	v_cvt_f16_f32_e32 v87, v87
	v_accvgpr_read_b32 v88, a2
	v_accvgpr_read_b32 v89, a3
	v_cvt_f16_f32_e32 v88, v88
	v_cvt_f16_f32_e32 v89, v89
	v_pack_b32_f16 v229, v86, v87
	v_cvt_f32_f16_e32 v86, v223
	v_cvt_f32_f16_sdwa v87, v223 dst_sel:DWORD dst_unused:UNUSED_PAD src0_sel:WORD_1
	v_pack_b32_f16 v228, v88, v89
	v_cvt_f32_f16_e32 v88, v222
	v_cvt_f32_f16_sdwa v89, v222 dst_sel:DWORD dst_unused:UNUSED_PAD src0_sel:WORD_1
	v_accvgpr_write_b32 a0, v86
	v_accvgpr_write_b32 a1, v87
	v_accvgpr_write_b32 a2, v88
	v_accvgpr_write_b32 a3, v89
	s_nop 1
	v_mfma_f32_16x16x16f16 a[0:3], v[132:133], v[38:39], a[0:3]
	;; [unrolled: 57-line block ×4, first 2 shown]
	ds_read_u16 v132, v123 offset:16896
	ds_read_u16 v140, v174 offset:528
	;; [unrolled: 1-line block ×4, first 2 shown]
	s_waitcnt lgkmcnt(2)
	v_perm_b32 v132, v140, v132, s66
	s_waitcnt lgkmcnt(0)
	v_perm_b32 v133, v141, v133, s66
	s_nop 2
	v_accvgpr_read_b32 v86, a0
	v_cvt_f16_f32_e32 v86, v86
	v_accvgpr_read_b32 v87, a1
	v_accvgpr_read_b32 v88, a2
	;; [unrolled: 1-line block ×3, first 2 shown]
	v_cvt_f16_f32_e32 v87, v87
	v_cvt_f16_f32_e32 v88, v88
	;; [unrolled: 1-line block ×3, first 2 shown]
	v_cvt_f32_f16_e32 v86, v86
	v_cvt_f32_f16_e32 v87, v87
	;; [unrolled: 1-line block ×4, first 2 shown]
	v_accvgpr_write_b32 a0, v86
	v_accvgpr_write_b32 a1, v87
	;; [unrolled: 1-line block ×4, first 2 shown]
	s_nop 1
	v_mfma_f32_16x16x16f16 a[0:3], v[132:133], v[36:37], a[0:3]
	ds_read_u16 v132, v137 offset:192
	ds_read_u16 v140, v124 offset:528
	;; [unrolled: 1-line block ×4, first 2 shown]
	s_waitcnt lgkmcnt(2)
	v_perm_b32 v132, v140, v132, s66
	s_waitcnt lgkmcnt(0)
	v_perm_b32 v133, v141, v133, s66
	s_nop 2
	v_accvgpr_read_b32 v86, a0
	v_accvgpr_read_b32 v87, a1
	v_cvt_f16_f32_e32 v86, v86
	v_cvt_f16_f32_e32 v87, v87
	v_accvgpr_read_b32 v88, a2
	v_accvgpr_read_b32 v89, a3
	v_cvt_f16_f32_e32 v88, v88
	v_cvt_f16_f32_e32 v89, v89
	v_pack_b32_f16 v193, v86, v87
	v_cvt_f32_f16_e32 v86, v230
	v_cvt_f32_f16_sdwa v87, v230 dst_sel:DWORD dst_unused:UNUSED_PAD src0_sel:WORD_1
	v_pack_b32_f16 v191, v88, v89
	v_cvt_f32_f16_e32 v88, v80
	v_cvt_f32_f16_sdwa v89, v80 dst_sel:DWORD dst_unused:UNUSED_PAD src0_sel:WORD_1
	v_accvgpr_write_b32 a0, v86
	v_accvgpr_write_b32 a1, v87
	;; [unrolled: 1-line block ×4, first 2 shown]
	s_nop 1
	v_mfma_f32_16x16x16f16 a[0:3], v[132:133], v[38:39], a[0:3]
	ds_read_u16 v132, v150 offset:16896
	ds_read_u16 v140, v175 offset:528
	;; [unrolled: 1-line block ×3, first 2 shown]
	s_waitcnt lgkmcnt(1)
	v_perm_b32 v132, v140, v132, s66
	s_nop 5
	v_accvgpr_read_b32 v86, a1
	v_cvt_f16_f32_e32 v87, v86
	v_accvgpr_read_b32 v86, a2
	v_cvt_f16_f32_e32 v88, v86
	v_accvgpr_read_b32 v86, a3
	v_accvgpr_read_b32 v80, a0
	v_cvt_f16_f32_e32 v89, v86
	v_accvgpr_read_b32 v86, a31
	v_cvt_f16_f32_e32 v80, v80
	ds_read_u16 v141, v86 offset:16896
	v_cvt_f32_f16_e32 v87, v87
	v_cvt_f32_f16_e32 v88, v88
	;; [unrolled: 1-line block ×4, first 2 shown]
	s_waitcnt lgkmcnt(0)
	v_perm_b32 v133, v141, v133, s66
	v_accvgpr_write_b32 a0, v86
	v_accvgpr_write_b32 a1, v87
	;; [unrolled: 1-line block ×4, first 2 shown]
	v_cvt_f32_f16_sdwa v89, v117 dst_sel:DWORD dst_unused:UNUSED_PAD src0_sel:WORD_1
	s_nop 0
	v_mfma_f32_16x16x16f16 a[0:3], v[132:133], v[36:37], a[0:3]
	ds_read_u16 v132, v137 offset:224
	ds_read_u16 v140, v126 offset:528
	;; [unrolled: 1-line block ×4, first 2 shown]
	s_waitcnt lgkmcnt(2)
	v_perm_b32 v132, v140, v132, s66
	s_waitcnt lgkmcnt(0)
	v_perm_b32 v133, v141, v133, s66
	s_nop 2
	v_accvgpr_read_b32 v80, a0
	v_accvgpr_read_b32 v86, a1
	v_cvt_f16_f32_e32 v80, v80
	v_cvt_f16_f32_e32 v86, v86
	v_accvgpr_read_b32 v87, a2
	v_accvgpr_read_b32 v88, a3
	v_cvt_f16_f32_e32 v87, v87
	v_cvt_f16_f32_e32 v88, v88
	v_pack_b32_f16 v80, v80, v86
	v_cvt_f32_f16_e32 v86, v185
	v_pack_b32_f16 v241, v87, v88
	v_cvt_f32_f16_sdwa v87, v185 dst_sel:DWORD dst_unused:UNUSED_PAD src0_sel:WORD_1
	v_cvt_f32_f16_e32 v88, v117
	v_accvgpr_write_b32 a0, v86
	v_accvgpr_write_b32 a3, v89
	v_accvgpr_write_b32 a1, v87
	v_accvgpr_write_b32 a2, v88
	s_nop 1
	v_mfma_f32_16x16x16f16 a[0:3], v[132:133], v[38:39], a[0:3]
	ds_read_u16 v117, v152 offset:16896
	ds_read_u16 v132, v176 offset:528
	ds_read_u16 v133, v127 offset:1056
	ds_read_u16 v140, v153 offset:16896
	s_waitcnt lgkmcnt(2)
	v_perm_b32 v132, v132, v117, s66
	s_waitcnt lgkmcnt(0)
	v_perm_b32 v133, v140, v133, s66
	s_nop 2
	v_accvgpr_read_b32 v86, a0
	v_cvt_f16_f32_e32 v86, v86
	v_accvgpr_read_b32 v87, a1
	v_accvgpr_read_b32 v88, a2
	v_accvgpr_read_b32 v89, a3
	v_cvt_f16_f32_e32 v87, v87
	v_cvt_f16_f32_e32 v88, v88
	v_cvt_f16_f32_e32 v89, v89
	v_cvt_f32_f16_e32 v86, v86
	v_cvt_f32_f16_e32 v87, v87
	v_cvt_f32_f16_e32 v88, v88
	v_cvt_f32_f16_e32 v89, v89
	v_accvgpr_write_b32 a0, v86
	v_accvgpr_write_b32 a1, v87
	v_accvgpr_write_b32 a2, v88
	v_accvgpr_write_b32 a3, v89
	s_nop 1
	v_mfma_f32_16x16x16f16 a[0:3], v[132:133], v[36:37], a[0:3]
	ds_read_u16 v132, v137 offset:256
	ds_read_u16 v140, v128 offset:528
	ds_read_u16 v133, v128 offset:1056
	ds_read_u16 v141, v139 offset:256
	s_waitcnt lgkmcnt(2)
	v_perm_b32 v132, v140, v132, s66
	s_waitcnt lgkmcnt(0)
	v_perm_b32 v133, v141, v133, s66
	s_nop 2
	v_accvgpr_read_b32 v86, a0
	v_accvgpr_read_b32 v87, a1
	v_cvt_f16_f32_e32 v86, v86
	v_cvt_f16_f32_e32 v87, v87
	v_accvgpr_read_b32 v88, a2
	v_accvgpr_read_b32 v89, a3
	v_cvt_f16_f32_e32 v88, v88
	v_cvt_f16_f32_e32 v89, v89
	v_pack_b32_f16 v185, v86, v87
	v_cvt_f32_f16_e32 v86, v253
	v_cvt_f32_f16_sdwa v87, v253 dst_sel:DWORD dst_unused:UNUSED_PAD src0_sel:WORD_1
	v_pack_b32_f16 v117, v88, v89
	v_cvt_f32_f16_e32 v88, v121
	v_cvt_f32_f16_sdwa v89, v121 dst_sel:DWORD dst_unused:UNUSED_PAD src0_sel:WORD_1
	v_accvgpr_write_b32 a0, v86
	v_accvgpr_write_b32 a1, v87
	v_accvgpr_write_b32 a2, v88
	v_accvgpr_write_b32 a3, v89
	s_nop 1
	v_mfma_f32_16x16x16f16 a[0:3], v[132:133], v[38:39], a[0:3]
	ds_read_u16 v121, v154 offset:16896
	ds_read_u16 v132, v177 offset:528
	ds_read_u16 v133, v129 offset:1056
	ds_read_u16 v140, v155 offset:16896
	s_waitcnt lgkmcnt(2)
	v_perm_b32 v132, v132, v121, s66
	s_waitcnt lgkmcnt(0)
	v_perm_b32 v133, v140, v133, s66
	s_nop 2
	v_accvgpr_read_b32 v86, a0
	v_cvt_f16_f32_e32 v86, v86
	v_accvgpr_read_b32 v87, a1
	v_accvgpr_read_b32 v88, a2
	v_accvgpr_read_b32 v89, a3
	v_cvt_f16_f32_e32 v87, v87
	v_cvt_f16_f32_e32 v88, v88
	v_cvt_f16_f32_e32 v89, v89
	v_cvt_f32_f16_e32 v86, v86
	v_cvt_f32_f16_e32 v87, v87
	v_cvt_f32_f16_e32 v88, v88
	v_cvt_f32_f16_e32 v89, v89
	v_accvgpr_write_b32 a0, v86
	v_accvgpr_write_b32 a1, v87
	v_accvgpr_write_b32 a2, v88
	v_accvgpr_write_b32 a3, v89
	s_nop 1
	v_mfma_f32_16x16x16f16 a[0:3], v[132:133], v[36:37], a[0:3]
	ds_read_u16 v132, v137 offset:288
	ds_read_u16 v140, v130 offset:528
	ds_read_u16 v133, v130 offset:1056
	ds_read_u16 v141, v139 offset:288
	s_waitcnt lgkmcnt(2)
	v_perm_b32 v132, v140, v132, s66
	s_waitcnt lgkmcnt(0)
	v_perm_b32 v133, v141, v133, s66
	s_nop 2
	v_accvgpr_read_b32 v86, a0
	v_accvgpr_read_b32 v87, a1
	v_cvt_f16_f32_e32 v86, v86
	v_cvt_f16_f32_e32 v87, v87
	v_accvgpr_read_b32 v88, a2
	v_accvgpr_read_b32 v89, a3
	v_cvt_f16_f32_e32 v88, v88
	v_cvt_f16_f32_e32 v89, v89
	v_pack_b32_f16 v253, v86, v87
	v_cvt_f32_f16_e32 v86, v131
	v_cvt_f32_f16_sdwa v87, v131 dst_sel:DWORD dst_unused:UNUSED_PAD src0_sel:WORD_1
	v_pack_b32_f16 v121, v88, v89
	v_cvt_f32_f16_e32 v88, v214
	v_cvt_f32_f16_sdwa v89, v214 dst_sel:DWORD dst_unused:UNUSED_PAD src0_sel:WORD_1
	;; [unrolled: 56-line block ×6, first 2 shown]
	v_accvgpr_write_b32 a0, v86
	v_accvgpr_write_b32 a1, v87
	;; [unrolled: 1-line block ×4, first 2 shown]
	s_nop 1
	v_mfma_f32_16x16x16f16 a[0:3], v[140:141], v[38:39], a[0:3]
	ds_read_u16 v131, v164 offset:16896
	ds_read_u16 v132, v182 offset:528
	;; [unrolled: 1-line block ×4, first 2 shown]
	s_waitcnt lgkmcnt(2)
	v_perm_b32 v132, v132, v131, s66
	s_waitcnt lgkmcnt(0)
	v_perm_b32 v133, v140, v133, s66
	s_nop 2
	v_accvgpr_read_b32 v86, a1
	v_accvgpr_read_b32 v82, a0
	v_cvt_f16_f32_e32 v87, v86
	v_accvgpr_read_b32 v86, a2
	v_cvt_f16_f32_e32 v82, v82
	v_cvt_f16_f32_e32 v88, v86
	v_accvgpr_read_b32 v86, a3
	v_cvt_f16_f32_e32 v89, v86
	v_cvt_f32_f16_e32 v86, v82
	v_cvt_f32_f16_e32 v87, v87
	;; [unrolled: 1-line block ×4, first 2 shown]
	v_accvgpr_write_b32 a0, v86
	v_accvgpr_write_b32 a1, v87
	;; [unrolled: 1-line block ×4, first 2 shown]
	v_cvt_f32_f16_sdwa v89, v232 dst_sel:DWORD dst_unused:UNUSED_PAD src0_sel:WORD_1
	s_nop 0
	v_mfma_f32_16x16x16f16 a[0:3], v[132:133], v[36:37], a[0:3]
	ds_read_u16 v131, v137 offset:448
	ds_read_u16 v132, v252 offset:528
	ds_read_u16 v133, v252 offset:1056
	ds_read_u16 v140, v139 offset:448
	s_waitcnt lgkmcnt(2)
	v_perm_b32 v132, v132, v131, s66
	s_waitcnt lgkmcnt(0)
	v_perm_b32 v133, v140, v133, s66
	s_nop 2
	v_accvgpr_read_b32 v82, a0
	v_accvgpr_read_b32 v86, a1
	v_cvt_f16_f32_e32 v82, v82
	v_cvt_f16_f32_e32 v86, v86
	v_accvgpr_read_b32 v87, a2
	v_accvgpr_read_b32 v88, a3
	v_cvt_f16_f32_e32 v87, v87
	v_cvt_f16_f32_e32 v88, v88
	v_pack_b32_f16 v82, v82, v86
	v_cvt_f32_f16_e32 v86, v233
	v_pack_b32_f16 v240, v87, v88
	v_cvt_f32_f16_sdwa v87, v233 dst_sel:DWORD dst_unused:UNUSED_PAD src0_sel:WORD_1
	v_cvt_f32_f16_e32 v88, v232
	v_accvgpr_write_b32 a0, v86
	v_accvgpr_write_b32 a3, v89
	;; [unrolled: 1-line block ×4, first 2 shown]
	s_nop 1
	v_mfma_f32_16x16x16f16 a[0:3], v[132:133], v[38:39], a[0:3]
	ds_read_u16 v131, v166 offset:16896
	ds_read_u16 v132, v183 offset:528
	ds_read_u16 v133, v254 offset:1056
	ds_read_u16 v140, v167 offset:16896
	s_waitcnt lgkmcnt(2)
	v_perm_b32 v132, v132, v131, s66
	s_waitcnt lgkmcnt(0)
	v_perm_b32 v133, v140, v133, s66
	s_nop 2
	v_accvgpr_read_b32 v86, a0
	v_cvt_f16_f32_e32 v86, v86
	v_accvgpr_read_b32 v87, a1
	v_accvgpr_read_b32 v88, a2
	;; [unrolled: 1-line block ×3, first 2 shown]
	v_cvt_f16_f32_e32 v87, v87
	v_cvt_f16_f32_e32 v88, v88
	;; [unrolled: 1-line block ×3, first 2 shown]
	v_cvt_f32_f16_e32 v86, v86
	v_cvt_f32_f16_e32 v87, v87
	;; [unrolled: 1-line block ×4, first 2 shown]
	v_accvgpr_write_b32 a0, v86
	v_accvgpr_write_b32 a1, v87
	;; [unrolled: 1-line block ×4, first 2 shown]
	s_nop 1
	v_mfma_f32_16x16x16f16 a[0:3], v[132:133], v[36:37], a[0:3]
	ds_read_u16 v131, v137 offset:480
	ds_read_u16 v132, v246 offset:528
	;; [unrolled: 1-line block ×4, first 2 shown]
	s_nop 6
	v_accvgpr_read_b32 v86, a0
	v_accvgpr_read_b32 v87, a1
	v_cvt_f16_f32_e32 v86, v86
	v_cvt_f16_f32_e32 v87, v87
	v_accvgpr_read_b32 v88, a2
	v_accvgpr_read_b32 v89, a3
	v_cvt_f16_f32_e32 v88, v88
	v_cvt_f16_f32_e32 v89, v89
	v_pack_b32_f16 v233, v86, v87
	v_cvt_f32_f16_e32 v86, v41
	v_cvt_f32_f16_sdwa v87, v41 dst_sel:DWORD dst_unused:UNUSED_PAD src0_sel:WORD_1
	v_pack_b32_f16 v232, v88, v89
	v_cvt_f32_f16_e32 v88, v40
	v_cvt_f32_f16_sdwa v89, v40 dst_sel:DWORD dst_unused:UNUSED_PAD src0_sel:WORD_1
	s_waitcnt lgkmcnt(0)
	v_perm_b32 v41, v140, v133, s66
	v_perm_b32 v40, v132, v131, s66
	v_accvgpr_write_b32 a0, v86
	v_accvgpr_write_b32 a1, v87
	;; [unrolled: 1-line block ×4, first 2 shown]
	ds_read_u16 v86, v168 offset:16896
	ds_read_u16 v88, v184 offset:528
	;; [unrolled: 1-line block ×4, first 2 shown]
	v_mfma_f32_16x16x16f16 a[0:3], v[40:41], v[38:39], a[0:3]
	s_waitcnt lgkmcnt(0)
	v_perm_b32 v86, v88, v86, s66
	s_barrier
	v_perm_b32 v87, v89, v87, s66
	s_nop 6
	v_accvgpr_read_b32 v38, a0
	v_cvt_f16_f32_e32 v38, v38
	v_accvgpr_read_b32 v39, a1
	v_accvgpr_read_b32 v40, a2
	;; [unrolled: 1-line block ×3, first 2 shown]
	v_cvt_f16_f32_e32 v39, v39
	v_cvt_f16_f32_e32 v40, v40
	;; [unrolled: 1-line block ×3, first 2 shown]
	v_cvt_f32_f16_e32 v38, v38
	v_cvt_f32_f16_e32 v39, v39
	;; [unrolled: 1-line block ×4, first 2 shown]
	v_accvgpr_write_b32 a0, v38
	v_accvgpr_write_b32 a1, v39
	;; [unrolled: 1-line block ×4, first 2 shown]
	s_nop 1
	v_mfma_f32_16x16x16f16 a[0:3], v[86:87], v[36:37], a[0:3]
	s_nop 7
	s_nop 2
	v_accvgpr_read_b32 v36, a0
	v_accvgpr_read_b32 v37, a1
	v_cvt_f16_f32_e32 v36, v36
	v_cvt_f16_f32_e32 v37, v37
	v_accvgpr_read_b32 v38, a2
	v_accvgpr_read_b32 v39, a3
	v_cvt_f16_f32_e32 v38, v38
	v_pack_b32_f16 v189, v36, v37
	v_mov_b32_e32 v36, s69
	v_addc_co_u32_e32 v1, vcc, v1, v36, vcc
	v_add_co_u32_e32 v94, vcc, s68, v94
	v_addc_co_u32_e32 v77, vcc, v77, v36, vcc
	v_add_co_u32_e32 v96, vcc, s68, v96
	;; [unrolled: 2-line block ×8, first 2 shown]
	v_mov_b32_e32 v36, s71
	v_addc_co_u32_e32 v99, vcc, v99, v36, vcc
	v_add_co_u32_e32 v110, vcc, s70, v110
	v_addc_co_u32_e32 v101, vcc, v101, v36, vcc
	v_add_co_u32_e32 v112, vcc, s70, v112
	;; [unrolled: 2-line block ×5, first 2 shown]
	v_cvt_f16_f32_e32 v39, v39
	v_addc_co_u32_e32 v109, vcc, v109, v36, vcc
	v_add_co_u32_e32 v120, vcc, s70, v120
	v_addc_co_u32_e32 v111, vcc, v111, v36, vcc
	v_add_co_u32_e32 v122, vcc, s70, v122
	v_pack_b32_f16 v133, v38, v39
	v_addc_co_u32_e32 v113, vcc, v113, v36, vcc
	s_cbranch_scc0 .LBB30_283
; %bb.282:                              ;   in Loop: Header=BB30_249 Depth=2
	v_mov_b32_e32 v131, v35
	v_mov_b32_e32 v220, v34
	s_branch .LBB30_249
.LBB30_283:                             ;   in Loop: Header=BB30_14 Depth=1
	v_accvgpr_read_b32 v219, a24
	v_accvgpr_read_b32 v220, a25
	;; [unrolled: 1-line block ×3, first 2 shown]
.LBB30_284:                             ;   in Loop: Header=BB30_14 Depth=1
	s_lshl_b32 s60, s52, 6
	s_lshl_b64 s[8:9], s[60:61], 1
	v_accvgpr_read_b32 v1, a151
	v_add_co_u32_e32 v1, vcc, s8, v1
	v_mov_b32_e32 v36, s9
	v_accvgpr_read_b32 v37, a149
	v_accvgpr_read_b32 v38, a138
	v_addc_co_u32_e32 v36, vcc, v37, v36, vcc
	v_lshlrev_b32_e32 v37, 1, v38
	v_add_co_u32_e32 v1, vcc, v1, v37
	v_addc_co_u32_e32 v38, vcc, 0, v36, vcc
	v_accvgpr_read_b32 v36, a154
	v_accvgpr_read_b32 v37, a155
	v_lshlrev_b64 v[36:37], 1, v[36:37]
	v_add_co_u32_e32 v36, vcc, v1, v36
	v_addc_co_u32_e32 v37, vcc, v38, v37, vcc
	global_load_dword v36, v[36:37], off
	v_add_u32_e32 v39, v215, v221
	s_mul_i32 s8, s41, s60
	s_mul_hi_u32 s9, s40, s60
	s_add_i32 s9, s9, s8
	s_mul_i32 s8, s40, s60
	s_lshl_b64 s[8:9], s[8:9], 2
	s_add_u32 s8, s84, s8
	s_addc_u32 s9, s81, s9
	s_waitcnt vmcnt(0)
	ds_write_b32 v39, v36 offset:33792
	v_accvgpr_read_b32 v36, a156
	v_accvgpr_read_b32 v37, a157
	v_lshlrev_b64 v[36:37], 1, v[36:37]
	v_add_co_u32_e32 v36, vcc, v1, v36
	v_addc_co_u32_e32 v37, vcc, v38, v37, vcc
	global_load_dword v1, v[36:37], off
	v_mov_b32_e32 v36, s9
	s_waitcnt vmcnt(0)
	ds_write_b32 v39, v1 offset:34944
	v_add_co_u32_e32 v1, vcc, s8, v60
	v_addc_co_u32_e32 v37, vcc, v36, v61, vcc
	v_add_co_u32_e32 v36, vcc, v1, v186
	v_addc_co_u32_e32 v37, vcc, 0, v37, vcc
	global_load_dwordx4 v[36:39], v[36:37], off
	v_add_co_u32_e32 v1, vcc, s8, v62
	s_waitcnt vmcnt(0)
	ds_write_b128 v134, v[36:39]
	v_mov_b32_e32 v36, s9
	v_addc_co_u32_e32 v37, vcc, v36, v63, vcc
	v_add_co_u32_e32 v36, vcc, v1, v186
	v_addc_co_u32_e32 v37, vcc, 0, v37, vcc
	global_load_dwordx4 v[36:39], v[36:37], off
	v_add_co_u32_e32 v1, vcc, s8, v64
	s_waitcnt vmcnt(0)
	ds_write_b128 v216, v[36:39]
	v_mov_b32_e32 v36, s9
	;; [unrolled: 8-line block ×7, first 2 shown]
	v_addc_co_u32_e32 v37, vcc, v36, v75, vcc
	v_add_co_u32_e32 v36, vcc, v1, v186
	v_addc_co_u32_e32 v37, vcc, 0, v37, vcc
	global_load_dwordx4 v[36:39], v[36:37], off
	v_add_u32_e32 v1, 0x4000, v135
	s_waitcnt vmcnt(0)
	ds_write_b128 v206, v[36:39]
	s_waitcnt lgkmcnt(0)
	s_barrier
	ds_read2_b64 v[36:39], v135 offset1:4
	s_waitcnt lgkmcnt(0)
	v_mfma_f32_16x16x16f16 a[0:3], v[36:37], v[30:31], 0
	v_mfma_f32_16x16x16f16 a[0:3], v[38:39], v[32:33], a[0:3]
	ds_read2_b64 v[36:39], v135 offset0:8 offset1:12
	s_waitcnt lgkmcnt(0)
	v_mfma_f32_16x16x16f16 a[0:3], v[36:37], v[26:27], a[0:3]
	v_mfma_f32_16x16x16f16 a[0:3], v[38:39], v[28:29], a[0:3]
	ds_read2_b64 v[36:39], v135 offset0:16 offset1:20
	;; [unrolled: 4-line block ×15, first 2 shown]
	s_waitcnt lgkmcnt(0)
	s_barrier
	s_waitcnt lgkmcnt(0)
                                        ; implicit-def: $vgpr1
	v_mfma_f32_16x16x16f16 a[0:3], v[6:7], v[2:3], a[0:3]
	v_accvgpr_read_b32 v2, a4
	v_cmp_nlt_f32_e64 s[8:9], |v2|, s45
	v_mfma_f32_16x16x16f16 a[0:3], v[8:9], v[4:5], a[0:3]
	s_and_saveexec_b64 s[52:53], s[8:9]
	s_xor_b64 s[8:9], exec, s[52:53]
	s_cbranch_execz .LBB30_286
; %bb.285:                              ;   in Loop: Header=BB30_14 Depth=1
	v_add_f32_e64 v1, |v2|, |v2|
	v_mul_f32_e32 v2, 0x3fb8aa3b, v1
	v_rndne_f32_e32 v3, v2
	v_sub_f32_e32 v4, v2, v3
	v_fma_f32 v2, v1, s67, -v2
	v_fmac_f32_e32 v2, 0x32a5705f, v1
	v_add_f32_e32 v2, v4, v2
	v_cvt_i32_f32_e32 v3, v3
	v_exp_f32_e32 v2, v2
	v_cmp_ngt_f32_e32 vcc, s55, v1
	v_ldexp_f32 v2, v2, v3
	v_cndmask_b32_e32 v2, 0, v2, vcc
	v_cmp_nlt_f32_e32 vcc, s7, v1
	v_cndmask_b32_e32 v1, v237, v2, vcc
	v_add_f32_e32 v1, 1.0, v1
	v_rcp_f32_e32 v1, v1
                                        ; implicit-def: $vgpr2
	v_fma_f32 v1, v1, -2.0, 1.0
.LBB30_286:                             ;   in Loop: Header=BB30_14 Depth=1
	s_andn2_saveexec_b64 s[8:9], s[8:9]
; %bb.287:                              ;   in Loop: Header=BB30_14 Depth=1
	v_mul_f32_e32 v1, v2, v2
	v_mov_b32_e32 v3, 0x3ca908c9
	v_fmac_f32_e32 v3, 0xbbbac73d, v1
	v_fma_f32 v3, v1, v3, v234
	v_fma_f32 v3, v1, v3, v235
	v_fma_f32 v3, v1, v3, v236
	v_mul_f32_e64 v3, |v2|, v3
	v_fma_f32 v1, v1, v3, |v2|
; %bb.288:                              ;   in Loop: Header=BB30_14 Depth=1
	s_or_b64 exec, exec, s[8:9]
	v_accvgpr_read_b32 v2, a4
	v_accvgpr_read_b32 v3, a5
	;; [unrolled: 1-line block ×4, first 2 shown]
	v_cmp_nlt_f32_e64 s[8:9], |v3|, s45
                                        ; implicit-def: $vgpr10
	s_and_saveexec_b64 s[52:53], s[8:9]
	s_xor_b64 s[8:9], exec, s[52:53]
	s_cbranch_execz .LBB30_290
; %bb.289:                              ;   in Loop: Header=BB30_14 Depth=1
	v_add_f32_e64 v6, |v3|, |v3|
	v_mul_f32_e32 v7, 0x3fb8aa3b, v6
	v_rndne_f32_e32 v8, v7
	v_sub_f32_e32 v9, v7, v8
	v_fma_f32 v7, v6, s67, -v7
	v_fmac_f32_e32 v7, 0x32a5705f, v6
	v_add_f32_e32 v7, v9, v7
	v_cvt_i32_f32_e32 v8, v8
	v_exp_f32_e32 v7, v7
	v_cmp_ngt_f32_e32 vcc, s55, v6
	v_ldexp_f32 v7, v7, v8
	v_cndmask_b32_e32 v7, 0, v7, vcc
	v_cmp_nlt_f32_e32 vcc, s7, v6
	v_cndmask_b32_e32 v6, v237, v7, vcc
	v_add_f32_e32 v6, 1.0, v6
	v_rcp_f32_e32 v6, v6
	v_fma_f32 v10, v6, -2.0, 1.0
.LBB30_290:                             ;   in Loop: Header=BB30_14 Depth=1
	s_andn2_saveexec_b64 s[8:9], s[8:9]
; %bb.291:                              ;   in Loop: Header=BB30_14 Depth=1
	v_mul_f32_e32 v6, v3, v3
	v_mov_b32_e32 v7, 0x3ca908c9
	v_fmac_f32_e32 v7, 0xbbbac73d, v6
	v_fma_f32 v7, v6, v7, v234
	v_fma_f32 v7, v6, v7, v235
	;; [unrolled: 1-line block ×3, first 2 shown]
	v_mul_f32_e64 v7, |v3|, v7
	v_fma_f32 v10, v6, v7, |v3|
; %bb.292:                              ;   in Loop: Header=BB30_14 Depth=1
	s_or_b64 exec, exec, s[8:9]
	v_cmp_nlt_f32_e64 s[8:9], |v4|, s45
                                        ; implicit-def: $vgpr11
	s_and_saveexec_b64 s[52:53], s[8:9]
	s_xor_b64 s[8:9], exec, s[52:53]
	s_cbranch_execz .LBB30_294
; %bb.293:                              ;   in Loop: Header=BB30_14 Depth=1
	v_add_f32_e64 v6, |v4|, |v4|
	v_mul_f32_e32 v7, 0x3fb8aa3b, v6
	v_rndne_f32_e32 v8, v7
	v_sub_f32_e32 v9, v7, v8
	v_fma_f32 v7, v6, s67, -v7
	v_fmac_f32_e32 v7, 0x32a5705f, v6
	v_add_f32_e32 v7, v9, v7
	v_cvt_i32_f32_e32 v8, v8
	v_exp_f32_e32 v7, v7
	v_cmp_ngt_f32_e32 vcc, s55, v6
	v_ldexp_f32 v7, v7, v8
	v_cndmask_b32_e32 v7, 0, v7, vcc
	v_cmp_nlt_f32_e32 vcc, s7, v6
	v_cndmask_b32_e32 v6, v237, v7, vcc
	v_add_f32_e32 v6, 1.0, v6
	v_rcp_f32_e32 v6, v6
	v_fma_f32 v11, v6, -2.0, 1.0
.LBB30_294:                             ;   in Loop: Header=BB30_14 Depth=1
	s_andn2_saveexec_b64 s[8:9], s[8:9]
; %bb.295:                              ;   in Loop: Header=BB30_14 Depth=1
	v_mul_f32_e32 v6, v4, v4
	v_mov_b32_e32 v7, 0x3ca908c9
	v_fmac_f32_e32 v7, 0xbbbac73d, v6
	v_fma_f32 v7, v6, v7, v234
	v_fma_f32 v7, v6, v7, v235
	;; [unrolled: 1-line block ×3, first 2 shown]
	v_mul_f32_e64 v7, |v4|, v7
	v_fma_f32 v11, v6, v7, |v4|
; %bb.296:                              ;   in Loop: Header=BB30_14 Depth=1
	s_or_b64 exec, exec, s[8:9]
	v_cmp_nlt_f32_e64 s[8:9], |v5|, s45
                                        ; implicit-def: $vgpr12
	s_and_saveexec_b64 s[52:53], s[8:9]
	s_xor_b64 s[8:9], exec, s[52:53]
	s_cbranch_execz .LBB30_298
; %bb.297:                              ;   in Loop: Header=BB30_14 Depth=1
	v_add_f32_e64 v6, |v5|, |v5|
	v_mul_f32_e32 v7, 0x3fb8aa3b, v6
	v_rndne_f32_e32 v8, v7
	v_sub_f32_e32 v9, v7, v8
	v_fma_f32 v7, v6, s67, -v7
	v_fmac_f32_e32 v7, 0x32a5705f, v6
	v_add_f32_e32 v7, v9, v7
	v_cvt_i32_f32_e32 v8, v8
	v_exp_f32_e32 v7, v7
	v_cmp_ngt_f32_e32 vcc, s55, v6
	v_ldexp_f32 v7, v7, v8
	v_cndmask_b32_e32 v7, 0, v7, vcc
	v_cmp_nlt_f32_e32 vcc, s7, v6
	v_cndmask_b32_e32 v6, v237, v7, vcc
	v_add_f32_e32 v6, 1.0, v6
	v_rcp_f32_e32 v6, v6
	v_fma_f32 v12, v6, -2.0, 1.0
.LBB30_298:                             ;   in Loop: Header=BB30_14 Depth=1
	s_andn2_saveexec_b64 s[8:9], s[8:9]
; %bb.299:                              ;   in Loop: Header=BB30_14 Depth=1
	v_mul_f32_e32 v6, v5, v5
	v_mov_b32_e32 v7, 0x3ca908c9
	v_fmac_f32_e32 v7, 0xbbbac73d, v6
	v_fma_f32 v7, v6, v7, v234
	v_fma_f32 v7, v6, v7, v235
	;; [unrolled: 1-line block ×3, first 2 shown]
	v_mul_f32_e64 v7, |v5|, v7
	v_fma_f32 v12, v6, v7, |v5|
; %bb.300:                              ;   in Loop: Header=BB30_14 Depth=1
	s_or_b64 exec, exec, s[8:9]
	v_accvgpr_read_b32 v9, a3
	v_accvgpr_read_b32 v6, a0
	;; [unrolled: 1-line block ×4, first 2 shown]
	v_cmp_nlt_f32_e64 s[8:9], |v6|, s45
                                        ; implicit-def: $vgpr13
	s_and_saveexec_b64 s[52:53], s[8:9]
	s_xor_b64 s[8:9], exec, s[52:53]
	s_cbranch_execz .LBB30_302
; %bb.301:                              ;   in Loop: Header=BB30_14 Depth=1
	v_add_f32_e64 v13, |v6|, |v6|
	v_mul_f32_e32 v14, 0x3fb8aa3b, v13
	v_rndne_f32_e32 v15, v14
	v_sub_f32_e32 v16, v14, v15
	v_fma_f32 v14, v13, s67, -v14
	v_fmac_f32_e32 v14, 0x32a5705f, v13
	v_add_f32_e32 v14, v16, v14
	v_cvt_i32_f32_e32 v15, v15
	v_exp_f32_e32 v14, v14
	v_cmp_ngt_f32_e32 vcc, s55, v13
	v_ldexp_f32 v14, v14, v15
	v_cndmask_b32_e32 v14, 0, v14, vcc
	v_cmp_nlt_f32_e32 vcc, s7, v13
	v_cndmask_b32_e32 v13, v237, v14, vcc
	v_add_f32_e32 v13, 1.0, v13
	v_rcp_f32_e32 v13, v13
	v_fma_f32 v13, v13, -2.0, 1.0
.LBB30_302:                             ;   in Loop: Header=BB30_14 Depth=1
	s_andn2_saveexec_b64 s[8:9], s[8:9]
; %bb.303:                              ;   in Loop: Header=BB30_14 Depth=1
	v_mul_f32_e32 v13, v6, v6
	v_mov_b32_e32 v14, 0x3ca908c9
	v_fmac_f32_e32 v14, 0xbbbac73d, v13
	v_fma_f32 v14, v13, v14, v234
	v_fma_f32 v14, v13, v14, v235
	;; [unrolled: 1-line block ×3, first 2 shown]
	v_mul_f32_e64 v14, |v6|, v14
	v_fma_f32 v13, v13, v14, |v6|
; %bb.304:                              ;   in Loop: Header=BB30_14 Depth=1
	s_or_b64 exec, exec, s[8:9]
	v_cmp_nlt_f32_e64 s[8:9], |v7|, s45
                                        ; implicit-def: $vgpr14
	s_and_saveexec_b64 s[52:53], s[8:9]
	s_xor_b64 s[8:9], exec, s[52:53]
	s_cbranch_execz .LBB30_306
; %bb.305:                              ;   in Loop: Header=BB30_14 Depth=1
	v_add_f32_e64 v14, |v7|, |v7|
	v_mul_f32_e32 v15, 0x3fb8aa3b, v14
	v_rndne_f32_e32 v16, v15
	v_sub_f32_e32 v17, v15, v16
	v_fma_f32 v15, v14, s67, -v15
	v_fmac_f32_e32 v15, 0x32a5705f, v14
	v_add_f32_e32 v15, v17, v15
	v_cvt_i32_f32_e32 v16, v16
	v_exp_f32_e32 v15, v15
	v_cmp_ngt_f32_e32 vcc, s55, v14
	v_ldexp_f32 v15, v15, v16
	v_cndmask_b32_e32 v15, 0, v15, vcc
	v_cmp_nlt_f32_e32 vcc, s7, v14
	v_cndmask_b32_e32 v14, v237, v15, vcc
	v_add_f32_e32 v14, 1.0, v14
	v_rcp_f32_e32 v14, v14
	v_fma_f32 v14, v14, -2.0, 1.0
.LBB30_306:                             ;   in Loop: Header=BB30_14 Depth=1
	s_andn2_saveexec_b64 s[8:9], s[8:9]
; %bb.307:                              ;   in Loop: Header=BB30_14 Depth=1
	v_mul_f32_e32 v14, v7, v7
	v_mov_b32_e32 v15, 0x3ca908c9
	v_fmac_f32_e32 v15, 0xbbbac73d, v14
	v_fma_f32 v15, v14, v15, v234
	v_fma_f32 v15, v14, v15, v235
	;; [unrolled: 1-line block ×3, first 2 shown]
	v_mul_f32_e64 v15, |v7|, v15
	v_fma_f32 v14, v14, v15, |v7|
; %bb.308:                              ;   in Loop: Header=BB30_14 Depth=1
	s_or_b64 exec, exec, s[8:9]
	v_cmp_nlt_f32_e64 s[8:9], |v8|, s45
                                        ; implicit-def: $vgpr15
	s_and_saveexec_b64 s[52:53], s[8:9]
	s_xor_b64 s[8:9], exec, s[52:53]
	s_cbranch_execz .LBB30_310
; %bb.309:                              ;   in Loop: Header=BB30_14 Depth=1
	v_add_f32_e64 v15, |v8|, |v8|
	v_mul_f32_e32 v16, 0x3fb8aa3b, v15
	v_rndne_f32_e32 v17, v16
	v_sub_f32_e32 v18, v16, v17
	v_fma_f32 v16, v15, s67, -v16
	v_fmac_f32_e32 v16, 0x32a5705f, v15
	v_add_f32_e32 v16, v18, v16
	v_cvt_i32_f32_e32 v17, v17
	v_exp_f32_e32 v16, v16
	v_cmp_ngt_f32_e32 vcc, s55, v15
	v_ldexp_f32 v16, v16, v17
	v_cndmask_b32_e32 v16, 0, v16, vcc
	v_cmp_nlt_f32_e32 vcc, s7, v15
	v_cndmask_b32_e32 v15, v237, v16, vcc
	v_add_f32_e32 v15, 1.0, v15
	v_rcp_f32_e32 v15, v15
	v_fma_f32 v15, v15, -2.0, 1.0
.LBB30_310:                             ;   in Loop: Header=BB30_14 Depth=1
	s_andn2_saveexec_b64 s[8:9], s[8:9]
; %bb.311:                              ;   in Loop: Header=BB30_14 Depth=1
	v_mul_f32_e32 v15, v8, v8
	v_mov_b32_e32 v16, 0x3ca908c9
	v_fmac_f32_e32 v16, 0xbbbac73d, v15
	v_fma_f32 v16, v15, v16, v234
	v_fma_f32 v16, v15, v16, v235
	;; [unrolled: 1-line block ×3, first 2 shown]
	v_mul_f32_e64 v16, |v8|, v16
	v_fma_f32 v15, v15, v16, |v8|
; %bb.312:                              ;   in Loop: Header=BB30_14 Depth=1
	s_or_b64 exec, exec, s[8:9]
	v_cmp_nlt_f32_e64 s[8:9], |v9|, s45
                                        ; implicit-def: $vgpr16
	s_and_saveexec_b64 s[52:53], s[8:9]
	s_xor_b64 s[8:9], exec, s[52:53]
	s_cbranch_execz .LBB30_314
; %bb.313:                              ;   in Loop: Header=BB30_14 Depth=1
	v_add_f32_e64 v16, |v9|, |v9|
	v_mul_f32_e32 v17, 0x3fb8aa3b, v16
	v_rndne_f32_e32 v18, v17
	v_sub_f32_e32 v19, v17, v18
	v_fma_f32 v17, v16, s67, -v17
	v_fmac_f32_e32 v17, 0x32a5705f, v16
	v_add_f32_e32 v17, v19, v17
	v_cvt_i32_f32_e32 v18, v18
	v_exp_f32_e32 v17, v17
	v_cmp_ngt_f32_e32 vcc, s55, v16
	v_ldexp_f32 v17, v17, v18
	v_cndmask_b32_e32 v17, 0, v17, vcc
	v_cmp_nlt_f32_e32 vcc, s7, v16
	v_cndmask_b32_e32 v16, v237, v17, vcc
	v_add_f32_e32 v16, 1.0, v16
	v_rcp_f32_e32 v16, v16
	v_fma_f32 v16, v16, -2.0, 1.0
.LBB30_314:                             ;   in Loop: Header=BB30_14 Depth=1
	s_andn2_saveexec_b64 s[8:9], s[8:9]
; %bb.315:                              ;   in Loop: Header=BB30_14 Depth=1
	v_mul_f32_e32 v16, v9, v9
	v_mov_b32_e32 v17, 0x3ca908c9
	v_fmac_f32_e32 v17, 0xbbbac73d, v16
	v_fma_f32 v17, v16, v17, v234
	v_fma_f32 v17, v16, v17, v235
	;; [unrolled: 1-line block ×3, first 2 shown]
	v_mul_f32_e64 v17, |v9|, v17
	v_fma_f32 v16, v16, v17, |v9|
; %bb.316:                              ;   in Loop: Header=BB30_14 Depth=1
	s_or_b64 exec, exec, s[8:9]
	v_bfi_b32 v9, s6, v16, v9
	v_accvgpr_read_b32 v16, a136
	v_bfi_b32 v6, s6, v13, v6
	v_bfi_b32 v13, s6, v12, v5
	v_bfi_b32 v5, s6, v10, v3
	v_and_b32_e32 v3, 64, v16
	v_bfi_b32 v7, s6, v14, v7
	v_bfi_b32 v12, s6, v11, v4
	;; [unrolled: 1-line block ×3, first 2 shown]
	v_add_u32_e32 v1, 0x8400, v219
	v_add_u32_e32 v14, 64, v3
	v_xor_b32_e32 v3, 32, v16
	v_bfi_b32 v8, s6, v15, v8
	ds_read2_b32 v[10:11], v1 offset1:1
	ds_read_b32 v1, v187 offset:33792
	ds_read_b32 v2, v188 offset:33792
	v_cmp_lt_i32_e32 vcc, v3, v14
	v_xor_b32_e32 v15, 16, v16
	v_cndmask_b32_e32 v3, v16, v3, vcc
	v_cmp_lt_i32_e32 vcc, v15, v14
	v_cndmask_b32_e32 v14, v16, v15, vcc
	v_lshlrev_b32_e32 v37, 2, v14
	s_waitcnt lgkmcnt(2)
	v_cvt_f32_f16_e32 v14, v10
	v_cvt_f32_f16_sdwa v15, v10 dst_sel:DWORD dst_unused:UNUSED_PAD src0_sel:WORD_1
	v_lshlrev_b32_e32 v3, 2, v3
	s_mul_i32 s8, s60, s31
	s_mul_hi_u32 s9, s60, s30
	v_pk_fma_f32 v[14:15], v[4:5], s[34:35], v[14:15]
	v_add_f32_e32 v4, 0x40051340, v14
	v_add_f32_e32 v5, 0x40051340, v15
	v_max3_f32 v10, v34, v4, v5
	s_waitcnt lgkmcnt(0)
	v_cvt_f32_f16_sdwa v5, v2 dst_sel:DWORD dst_unused:UNUSED_PAD src0_sel:WORD_1
	v_cvt_f32_f16_e32 v4, v2
	s_add_i32 s9, s9, s8
	s_mul_i32 s8, s60, s30
	s_lshl_b64 s[8:9], s[8:9], 2
	v_pk_fma_f32 v[4:5], v[8:9], s[34:35], v[4:5]
	v_cvt_f32_f16_sdwa v9, v1 dst_sel:DWORD dst_unused:UNUSED_PAD src0_sel:WORD_1
	v_cvt_f32_f16_e32 v8, v1
	v_add_f32_e32 v2, 0x40051340, v4
	v_add_f32_e32 v16, 0x40051340, v5
	s_add_u32 s8, s82, s8
	v_pk_fma_f32 v[6:7], v[6:7], s[34:35], v[8:9]
	v_cvt_f32_f16_e32 v8, v11
	v_cvt_f32_f16_sdwa v9, v11 dst_sel:DWORD dst_unused:UNUSED_PAD src0_sel:WORD_1
	v_add_f32_e32 v1, 0x40051340, v6
	v_add_f32_e32 v17, 0x40051340, v7
	s_addc_u32 s9, s83, s9
	v_pk_fma_f32 v[8:9], v[12:13], s[34:35], v[8:9]
	v_add_f32_e32 v11, 0x40051340, v8
	v_add_f32_e32 v12, 0x40051340, v9
	v_max3_f32 v10, v10, v11, v12
	v_max3_f32 v1, v10, v1, v17
	;; [unrolled: 1-line block ×3, first 2 shown]
	ds_bpermute_b32 v2, v3, v1
	s_cmp_eq_u64 s[72:73], 0
	s_waitcnt lgkmcnt(0)
	v_max_f32_e32 v2, v2, v2
	v_max_f32_e32 v1, v1, v2
	ds_bpermute_b32 v2, v37, v1
	s_waitcnt lgkmcnt(0)
	v_max_f32_e32 v2, v2, v2
	v_max_f32_e32 v2, v1, v2
	v_pk_add_f32 v[10:11], v[14:15], v[2:3] op_sel_hi:[1,0] neg_lo:[0,1] neg_hi:[0,1]
	v_mul_f32_e32 v1, 0x3fb8aa3b, v11
	v_fma_f32 v12, v11, s67, -v1
	v_rndne_f32_e32 v13, v1
	v_fmac_f32_e32 v12, 0x32a5705f, v11
	v_sub_f32_e32 v1, v1, v13
	v_add_f32_e32 v1, v1, v12
	v_exp_f32_e32 v1, v1
	v_cvt_i32_f32_e32 v12, v13
	v_cmp_ngt_f32_e32 vcc, s55, v11
	v_pk_add_f32 v[8:9], v[8:9], v[2:3] op_sel_hi:[1,0] neg_lo:[0,1] neg_hi:[0,1]
	v_pk_add_f32 v[6:7], v[6:7], v[2:3] op_sel_hi:[1,0] neg_lo:[0,1] neg_hi:[0,1]
	v_ldexp_f32 v1, v1, v12
	v_cndmask_b32_e32 v1, 0, v1, vcc
	v_cmp_nlt_f32_e32 vcc, s7, v11
	v_cndmask_b32_e32 v32, v237, v1, vcc
	v_mul_f32_e32 v1, 0x3fb8aa3b, v10
	v_fma_f32 v11, v10, s67, -v1
	v_rndne_f32_e32 v12, v1
	v_fmac_f32_e32 v11, 0x32a5705f, v10
	v_sub_f32_e32 v1, v1, v12
	v_add_f32_e32 v1, v1, v11
	v_exp_f32_e32 v1, v1
	v_cvt_i32_f32_e32 v11, v12
	v_cmp_ngt_f32_e32 vcc, s55, v10
	v_pk_add_f32 v[4:5], v[4:5], v[2:3] op_sel_hi:[1,0] neg_lo:[0,1] neg_hi:[0,1]
	v_ldexp_f32 v1, v1, v11
	v_cndmask_b32_e32 v1, 0, v1, vcc
	v_cmp_nlt_f32_e32 vcc, s7, v10
	v_cndmask_b32_e32 v33, v237, v1, vcc
	v_mul_f32_e32 v1, 0x3fb8aa3b, v9
	v_fma_f32 v10, v9, s67, -v1
	v_rndne_f32_e32 v11, v1
	v_fmac_f32_e32 v10, 0x32a5705f, v9
	v_sub_f32_e32 v1, v1, v11
	v_add_f32_e32 v1, v1, v10
	v_exp_f32_e32 v1, v1
	v_cvt_i32_f32_e32 v10, v11
	v_cmp_ngt_f32_e32 vcc, s55, v9
	v_ldexp_f32 v1, v1, v10
	v_cndmask_b32_e32 v1, 0, v1, vcc
	v_cmp_nlt_f32_e32 vcc, s7, v9
	v_cndmask_b32_e32 v9, v237, v1, vcc
	v_mul_f32_e32 v1, 0x3fb8aa3b, v8
	v_fma_f32 v10, v8, s67, -v1
	v_rndne_f32_e32 v11, v1
	v_fmac_f32_e32 v10, 0x32a5705f, v8
	v_sub_f32_e32 v1, v1, v11
	v_add_f32_e32 v1, v1, v10
	v_exp_f32_e32 v1, v1
	v_cvt_i32_f32_e32 v10, v11
	v_cmp_ngt_f32_e32 vcc, s55, v8
	;; [unrolled: 13-line block ×6, first 2 shown]
	v_ldexp_f32 v1, v1, v5
	v_cndmask_b32_e32 v1, 0, v1, vcc
	v_cmp_nlt_f32_e32 vcc, s7, v4
	v_cndmask_b32_e32 v81, v237, v1, vcc
	v_add_f32_e32 v1, v33, v32
	v_add_f32_e32 v1, v8, v1
	v_add_f32_e32 v1, v9, v1
	v_add_f32_e32 v1, v77, v1
	v_add_f32_e32 v1, v41, v1
	v_add_f32_e32 v1, v81, v1
	v_add_f32_e32 v38, v79, v1
	v_sub_f32_e32 v1, v34, v2
	v_mul_f32_e32 v4, 0x3fb8aa3b, v1
	v_fma_f32 v5, v1, s67, -v4
	v_rndne_f32_e32 v6, v4
	v_fmac_f32_e32 v5, 0x32a5705f, v1
	v_sub_f32_e32 v4, v4, v6
	v_add_f32_e32 v4, v4, v5
	v_exp_f32_e32 v4, v4
	v_cvt_i32_f32_e32 v5, v6
	v_cvt_f16_f32_e32 v33, v33
	v_cvt_f16_f32_e32 v32, v32
	;; [unrolled: 1-line block ×4, first 2 shown]
	v_ldexp_f32 v4, v4, v5
	v_cmp_ngt_f32_e32 vcc, s55, v1
	v_pack_b32_f16 v32, v33, v32
	v_pack_b32_f16 v33, v8, v9
	v_cvt_f16_f32_e32 v8, v41
	v_cvt_f16_f32_e32 v9, v77
	v_cndmask_b32_e32 v4, 0, v4, vcc
	v_cmp_nlt_f32_e32 vcc, s7, v1
	v_cndmask_b32_e32 v4, v237, v4, vcc
	v_cmp_le_f32_e32 vcc, s89, v1
	v_cndmask_b32_e32 v1, 0, v4, vcc
	v_cvt_f16_f32_e32 v39, v1
	v_pack_b32_f16 v8, v9, v8
	v_cvt_f16_f32_e32 v9, v79
	v_cvt_f16_f32_e32 v41, v81
	v_pk_mul_f16 v4, v39, v76 op_sel_hi:[0,1]
	v_mov_b32_e32 v76, s9
	v_pk_mul_f16 v18, v39, v80 op_sel_hi:[0,1]
	v_pack_b32_f16 v9, v41, v9
	v_add_co_u32_e32 v41, vcc, s8, v44
	v_addc_co_u32_e32 v77, vcc, v76, v45, vcc
	v_add_co_u32_e32 v76, vcc, v41, v186
	v_addc_co_u32_e32 v77, vcc, 0, v77, vcc
	v_pk_mul_f16 v34, v39, v82 op_sel_hi:[0,1]
	global_load_dwordx4 v[80:83], v[76:77], off
	v_add_co_u32_e32 v41, vcc, s8, v46
	v_mov_b32_e32 v79, s9
	v_addc_co_u32_e32 v79, vcc, v79, v47, vcc
	v_add_co_u32_e32 v84, vcc, v41, v186
	v_addc_co_u32_e32 v85, vcc, 0, v79, vcc
	v_add_co_u32_e32 v41, vcc, s8, v48
	v_mov_b32_e32 v79, s9
	v_addc_co_u32_e32 v79, vcc, v79, v49, vcc
	v_add_co_u32_e32 v86, vcc, v41, v186
	v_addc_co_u32_e32 v87, vcc, 0, v79, vcc
	;; [unrolled: 5-line block ×7, first 2 shown]
	v_fmac_f32_e32 v38, v35, v1
	v_pk_mul_f16 v1, v39, v115 op_sel_hi:[0,1]
	v_pk_mul_f16 v6, v39, v227 op_sel_hi:[0,1]
	;; [unrolled: 1-line block ×6, first 2 shown]
	v_accvgpr_read_b32 v193, a27
	v_pk_mul_f16 v12, v39, v223 op_sel_hi:[0,1]
	v_pk_mul_f16 v11, v39, v222 op_sel_hi:[0,1]
	;; [unrolled: 1-line block ×3, first 2 shown]
	v_accvgpr_read_b32 v214, a28
	v_pk_mul_f16 v14, v39, v218 op_sel_hi:[0,1]
	v_pk_mul_f16 v13, v39, v225 op_sel_hi:[0,1]
	v_accvgpr_read_b32 v218, a29
	v_pk_mul_f16 v15, v39, v191 op_sel_hi:[0,1]
	s_waitcnt vmcnt(0)
	ds_write_b128 v134, v[80:83]
	global_load_dwordx4 v[80:83], v[84:85], off
	v_accvgpr_read_b32 v226, a30
	v_pk_mul_f16 v17, v39, v241 op_sel_hi:[0,1]
	v_accvgpr_read_b32 v227, a31
	v_pk_mul_f16 v20, v39, v185 op_sel_hi:[0,1]
	v_pk_mul_f16 v19, v39, v117 op_sel_hi:[0,1]
	;; [unrolled: 1-line block ×16, first 2 shown]
	ds_bpermute_b32 v3, v3, v38
	s_cselect_b64 s[8:9], -1, 0
	s_xor_b64 s[52:53], s[0:1], -1
	s_or_b64 s[8:9], s[52:53], s[8:9]
	s_waitcnt lgkmcnt(0)
	v_add_f32_e32 v3, v38, v3
	s_waitcnt vmcnt(0)
	ds_write_b128 v216, v[80:83]
	global_load_dwordx4 v[80:83], v[86:87], off
	s_waitcnt vmcnt(0)
	ds_write_b128 v217, v[80:83]
	global_load_dwordx4 v[80:83], v[88:89], off
	;; [unrolled: 3-line block ×6, first 2 shown]
	s_waitcnt vmcnt(0)
	ds_write_b128 v206, v[80:83]
	s_waitcnt lgkmcnt(0)
	s_barrier
	ds_read_u16 v41, v138 offset:528
	ds_read_u16 v76, v138 offset:1056
	v_cvt_f32_f16_e32 v82, v1
	v_cvt_f32_f16_sdwa v83, v1 dst_sel:DWORD dst_unused:UNUSED_PAD src0_sel:WORD_1
	ds_read_u16 v1, v139
	ds_read_u16 v79, v139 offset:32
	v_cvt_f32_f16_e32 v80, v4
	v_cvt_f32_f16_sdwa v81, v4 dst_sel:DWORD dst_unused:UNUSED_PAD src0_sel:WORD_1
	s_waitcnt lgkmcnt(1)
	v_perm_b32 v77, v1, v76, s66
	ds_read_u16 v1, v137
	ds_read_u16 v84, v137 offset:32
	v_accvgpr_write_b32 a0, v80
	v_accvgpr_write_b32 a1, v81
	;; [unrolled: 1-line block ×3, first 2 shown]
	s_waitcnt lgkmcnt(1)
	v_perm_b32 v76, v41, v1, s66
	v_accvgpr_write_b32 a3, v83
	s_nop 1
	v_mfma_f32_16x16x16f16 a[0:3], v[76:77], v[32:33], a[0:3]
	ds_read_u16 v85, v137 offset:16896
	ds_read_u16 v86, v207 offset:528
	;; [unrolled: 1-line block ×4, first 2 shown]
	s_waitcnt lgkmcnt(0)
	v_perm_b32 v77, v87, v77, s66
	s_nop 4
	v_accvgpr_read_b32 v1, a0
	v_cvt_f16_f32_e32 v1, v1
	v_accvgpr_read_b32 v4, a1
	v_accvgpr_read_b32 v41, a2
	;; [unrolled: 1-line block ×3, first 2 shown]
	v_cvt_f16_f32_e32 v4, v4
	v_cvt_f16_f32_e32 v41, v41
	;; [unrolled: 1-line block ×3, first 2 shown]
	v_cvt_f32_f16_e32 v80, v1
	v_cvt_f32_f16_e32 v81, v4
	v_cvt_f32_f16_e32 v82, v41
	v_cvt_f32_f16_e32 v83, v76
	v_perm_b32 v76, v86, v85, s66
	v_accvgpr_write_b32 a0, v80
	v_accvgpr_write_b32 a1, v81
	;; [unrolled: 1-line block ×4, first 2 shown]
	v_cvt_f32_f16_e32 v80, v6
	v_cvt_f32_f16_sdwa v81, v6 dst_sel:DWORD dst_unused:UNUSED_PAD src0_sel:WORD_1
	v_mfma_f32_16x16x16f16 a[0:3], v[76:77], v[8:9], a[0:3]
	v_cvt_f32_f16_e32 v82, v5
	v_cvt_f32_f16_sdwa v83, v5 dst_sel:DWORD dst_unused:UNUSED_PAD src0_sel:WORD_1
	s_nop 7
	s_nop 0
	v_accvgpr_read_b32 v1, a0
	v_accvgpr_read_b32 v4, a1
	;; [unrolled: 1-line block ×4, first 2 shown]
	v_cvt_f16_f32_e32 v1, v1
	v_cvt_f16_f32_e32 v4, v4
	;; [unrolled: 1-line block ×4, first 2 shown]
	v_accvgpr_write_b32 a0, v80
	v_pack_b32_f16 v4, v1, v4
	v_accvgpr_write_b32 a1, v81
	v_pack_b32_f16 v1, v41, v76
	ds_read_u16 v41, v208 offset:528
	ds_read_u16 v76, v208 offset:1056
	v_accvgpr_write_b32 a2, v82
	v_accvgpr_write_b32 a3, v83
	s_waitcnt lgkmcnt(0)
	v_perm_b32 v77, v79, v76, s66
	v_perm_b32 v76, v41, v84, s66
	s_nop 1
	v_mfma_f32_16x16x16f16 a[0:3], v[76:77], v[32:33], a[0:3]
	ds_read_u16 v79, v220 offset:16896
	ds_read_u16 v84, v170 offset:528
	ds_read_u16 v77, v209 offset:1056
	ds_read_u16 v85, v230 offset:16896
	s_waitcnt lgkmcnt(0)
	v_perm_b32 v77, v85, v77, s66
	s_nop 4
	v_accvgpr_read_b32 v5, a0
	v_cvt_f16_f32_e32 v5, v5
	v_accvgpr_read_b32 v6, a1
	v_accvgpr_read_b32 v41, a2
	v_accvgpr_read_b32 v76, a3
	v_cvt_f16_f32_e32 v6, v6
	v_cvt_f16_f32_e32 v41, v41
	v_cvt_f16_f32_e32 v76, v76
	v_cvt_f32_f16_e32 v80, v5
	v_cvt_f32_f16_e32 v81, v6
	v_cvt_f32_f16_e32 v82, v41
	v_cvt_f32_f16_e32 v83, v76
	v_perm_b32 v76, v84, v79, s66
	v_accvgpr_write_b32 a0, v80
	v_accvgpr_write_b32 a1, v81
	v_accvgpr_write_b32 a2, v82
	v_accvgpr_write_b32 a3, v83
	v_cvt_f32_f16_e32 v80, v10
	v_cvt_f32_f16_sdwa v81, v10 dst_sel:DWORD dst_unused:UNUSED_PAD src0_sel:WORD_1
	v_mfma_f32_16x16x16f16 a[0:3], v[76:77], v[8:9], a[0:3]
	v_cvt_f32_f16_e32 v82, v7
	v_cvt_f32_f16_sdwa v83, v7 dst_sel:DWORD dst_unused:UNUSED_PAD src0_sel:WORD_1
	s_nop 7
	s_nop 0
	v_accvgpr_read_b32 v5, a0
	v_accvgpr_read_b32 v6, a1
	v_accvgpr_read_b32 v41, a2
	v_accvgpr_read_b32 v76, a3
	v_cvt_f16_f32_e32 v5, v5
	v_cvt_f16_f32_e32 v6, v6
	v_cvt_f16_f32_e32 v41, v41
	v_cvt_f16_f32_e32 v76, v76
	v_accvgpr_write_b32 a0, v80
	v_pack_b32_f16 v6, v5, v6
	v_accvgpr_write_b32 a1, v81
	v_pack_b32_f16 v5, v41, v76
	ds_read_u16 v41, v137 offset:64
	ds_read_u16 v76, v202 offset:528
	ds_read_u16 v77, v202 offset:1056
	ds_read_u16 v79, v139 offset:64
	v_accvgpr_write_b32 a2, v82
	v_accvgpr_write_b32 a3, v83
	s_waitcnt lgkmcnt(2)
	v_perm_b32 v76, v76, v41, s66
	s_waitcnt lgkmcnt(0)
	v_perm_b32 v77, v79, v77, s66
	s_nop 1
	v_mfma_f32_16x16x16f16 a[0:3], v[76:77], v[32:33], a[0:3]
	ds_read_u16 v79, v136 offset:16896
	ds_read_u16 v84, v171 offset:528
	ds_read_u16 v77, v203 offset:1056
	ds_read_u16 v85, v193 offset:16896
	s_waitcnt lgkmcnt(0)
	v_perm_b32 v77, v85, v77, s66
	s_nop 4
	v_accvgpr_read_b32 v7, a0
	v_cvt_f16_f32_e32 v7, v7
	v_accvgpr_read_b32 v10, a1
	v_accvgpr_read_b32 v41, a2
	v_accvgpr_read_b32 v76, a3
	v_cvt_f16_f32_e32 v10, v10
	v_cvt_f16_f32_e32 v41, v41
	v_cvt_f16_f32_e32 v76, v76
	v_cvt_f32_f16_e32 v80, v7
	v_cvt_f32_f16_e32 v81, v10
	v_cvt_f32_f16_e32 v82, v41
	v_cvt_f32_f16_e32 v83, v76
	v_perm_b32 v76, v84, v79, s66
	v_accvgpr_write_b32 a0, v80
	v_accvgpr_write_b32 a1, v81
	v_accvgpr_write_b32 a2, v82
	v_accvgpr_write_b32 a3, v83
	v_cvt_f32_f16_e32 v80, v12
	v_cvt_f32_f16_sdwa v81, v12 dst_sel:DWORD dst_unused:UNUSED_PAD src0_sel:WORD_1
	v_mfma_f32_16x16x16f16 a[0:3], v[76:77], v[8:9], a[0:3]
	v_cvt_f32_f16_e32 v82, v11
	v_cvt_f32_f16_sdwa v83, v11 dst_sel:DWORD dst_unused:UNUSED_PAD src0_sel:WORD_1
	s_nop 7
	s_nop 0
	v_accvgpr_read_b32 v7, a0
	v_accvgpr_read_b32 v10, a1
	v_accvgpr_read_b32 v41, a2
	v_accvgpr_read_b32 v76, a3
	v_cvt_f16_f32_e32 v7, v7
	v_cvt_f16_f32_e32 v10, v10
	v_cvt_f16_f32_e32 v41, v41
	v_cvt_f16_f32_e32 v76, v76
	v_accvgpr_write_b32 a0, v80
	v_pack_b32_f16 v10, v7, v10
	v_accvgpr_write_b32 a1, v81
	v_pack_b32_f16 v7, v41, v76
	ds_read_u16 v41, v137 offset:96
	ds_read_u16 v76, v204 offset:528
	ds_read_u16 v77, v204 offset:1056
	ds_read_u16 v79, v139 offset:96
	v_accvgpr_write_b32 a2, v82
	v_accvgpr_write_b32 a3, v83
	s_waitcnt lgkmcnt(2)
	v_perm_b32 v76, v76, v41, s66
	s_waitcnt lgkmcnt(0)
	;; [unrolled: 55-line block ×14, first 2 shown]
	v_perm_b32 v41, v79, v41, s66
	s_nop 1
	v_mfma_f32_16x16x16f16 a[0:3], v[40:41], v[32:33], a[0:3]
	ds_read_u16 v41, v168 offset:16896
	ds_read_u16 v76, v184 offset:528
	;; [unrolled: 1-line block ×4, first 2 shown]
	s_waitcnt lgkmcnt(0)
	s_barrier
	s_nop 4
	v_accvgpr_read_b32 v32, a0
	v_cvt_f16_f32_e32 v32, v32
	v_accvgpr_read_b32 v33, a1
	v_accvgpr_read_b32 v39, a2
	;; [unrolled: 1-line block ×3, first 2 shown]
	v_cvt_f16_f32_e32 v33, v33
	v_cvt_f16_f32_e32 v39, v39
	;; [unrolled: 1-line block ×3, first 2 shown]
	v_cvt_f32_f16_e32 v80, v32
	v_cvt_f32_f16_e32 v81, v33
	;; [unrolled: 1-line block ×4, first 2 shown]
	v_perm_b32 v33, v79, v77, s66
	v_perm_b32 v32, v76, v41, s66
	v_accvgpr_write_b32 a0, v80
	v_accvgpr_write_b32 a1, v81
	v_accvgpr_write_b32 a2, v82
	v_accvgpr_write_b32 a3, v83
	s_nop 1
	v_mfma_f32_16x16x16f16 a[0:3], v[32:33], v[8:9], a[0:3]
	s_nop 7
	s_nop 2
	v_accvgpr_read_b32 v8, a0
	v_accvgpr_read_b32 v9, a1
	;; [unrolled: 1-line block ×4, first 2 shown]
	v_cvt_f16_f32_e32 v8, v8
	v_cvt_f16_f32_e32 v9, v9
	;; [unrolled: 1-line block ×4, first 2 shown]
	v_pack_b32_f16 v8, v8, v9
	v_pack_b32_f16 v9, v32, v33
	ds_bpermute_b32 v32, v37, v3
	s_waitcnt lgkmcnt(0)
	v_add_f32_e32 v3, v3, v32
	s_and_saveexec_b64 s[52:53], s[8:9]
	s_xor_b64 s[8:9], exec, s[52:53]
	s_andn2_saveexec_b64 s[8:9], s[8:9]
	s_cbranch_execz .LBB30_318
; %bb.317:                              ;   in Loop: Header=BB30_14 Depth=1
	v_accvgpr_read_b32 v32, a150
	v_lshlrev_b32_e32 v32, 2, v32
	global_load_dword v33, v32, s[72:73]
	v_max_f32_e32 v38, v2, v2
	s_waitcnt vmcnt(0)
	v_max_f32_e32 v32, v33, v33
	v_max_f32_e32 v32, v38, v32
	v_sub_f32_e32 v2, v2, v32
	v_mul_f32_e32 v38, 0x3fb8aa3b, v2
	v_fma_f32 v39, v2, s67, -v38
	v_rndne_f32_e32 v40, v38
	v_fmac_f32_e32 v39, 0x32a5705f, v2
	v_sub_f32_e32 v38, v38, v40
	v_add_f32_e32 v38, v38, v39
	v_exp_f32_e32 v38, v38
	v_cvt_i32_f32_e32 v39, v40
	v_cmp_ngt_f32_e32 vcc, s55, v2
	v_sub_f32_e32 v33, v33, v32
	v_ldexp_f32 v38, v38, v39
	v_cndmask_b32_e32 v38, 0, v38, vcc
	v_cmp_nlt_f32_e32 vcc, s7, v2
	v_cndmask_b32_e32 v38, v237, v38, vcc
	v_cmp_le_f32_e32 vcc, s89, v2
	v_cndmask_b32_e32 v2, 0, v38, vcc
	v_cvt_f16_f32_e32 v38, v2
	v_cmp_ngt_f32_e32 vcc, s55, v33
	v_pk_mul_f16 v4, v38, v4 op_sel_hi:[0,1]
	v_pk_mul_f16 v1, v38, v1 op_sel_hi:[0,1]
	;; [unrolled: 1-line block ×32, first 2 shown]
	v_mul_f32_e32 v38, 0x3fb8aa3b, v33
	v_fma_f32 v39, v33, s67, -v38
	v_rndne_f32_e32 v40, v38
	v_fmac_f32_e32 v39, 0x32a5705f, v33
	v_sub_f32_e32 v38, v38, v40
	v_add_f32_e32 v38, v38, v39
	v_exp_f32_e32 v38, v38
	v_cvt_i32_f32_e32 v39, v40
	v_ldexp_f32 v38, v38, v39
	v_cndmask_b32_e32 v38, 0, v38, vcc
	v_cmp_nlt_f32_e32 vcc, s7, v33
	v_cndmask_b32_e32 v33, v237, v38, vcc
	v_fmac_f32_e32 v33, v3, v2
	v_pk_mov_b32 v[2:3], v[32:33], v[32:33] op_sel:[0,1]
.LBB30_318:                             ;   in Loop: Header=BB30_14 Depth=1
	s_or_b64 exec, exec, s[8:9]
	s_and_saveexec_b64 s[8:9], s[4:5]
	s_cbranch_execz .LBB30_320
; %bb.319:                              ;   in Loop: Header=BB30_14 Depth=1
	v_accvgpr_read_b32 v32, a36
	v_add_u32_e32 v32, 0, v32
	ds_write2_b32 v32, v2, v3 offset0:128 offset1:129
.LBB30_320:                             ;   in Loop: Header=BB30_14 Depth=1
	s_or_b64 exec, exec, s[8:9]
	s_waitcnt lgkmcnt(0)
	s_barrier
	s_and_saveexec_b64 s[8:9], s[2:3]
	s_xor_b64 s[8:9], exec, s[8:9]
	s_cbranch_execz .LBB30_322
; %bb.321:                              ;   in Loop: Header=BB30_14 Depth=1
	s_barrier
	s_waitcnt lgkmcnt(0)
                                        ; implicit-def: $vgpr37
.LBB30_322:                             ;   in Loop: Header=BB30_14 Depth=1
	s_andn2_saveexec_b64 s[8:9], s[8:9]
	s_cbranch_execz .LBB30_326
; %bb.323:                              ;   in Loop: Header=BB30_14 Depth=1
	v_accvgpr_read_b32 v2, a37
	v_add_u32_e32 v32, 0, v2
	ds_read_b64 v[2:3], v32 offset:512
	s_waitcnt lgkmcnt(0)
	s_barrier
	ds_bpermute_b32 v33, v37, v2
	v_max_f32_e32 v38, v2, v2
	s_waitcnt lgkmcnt(0)
	v_max_f32_e32 v33, v33, v33
	v_max_f32_e32 v33, v38, v33
	v_sub_f32_e32 v2, v2, v33
	v_mul_f32_e32 v33, 0x3fb8aa3b, v2
	v_fma_f32 v38, v2, s67, -v33
	v_rndne_f32_e32 v39, v33
	v_fmac_f32_e32 v38, 0x32a5705f, v2
	v_sub_f32_e32 v33, v33, v39
	v_add_f32_e32 v33, v33, v38
	v_cvt_i32_f32_e32 v39, v39
	v_exp_f32_e32 v33, v33
	v_cmp_ngt_f32_e32 vcc, s55, v2
	v_ldexp_f32 v33, v33, v39
	v_cndmask_b32_e32 v33, 0, v33, vcc
	v_cmp_nlt_f32_e32 vcc, s7, v2
	v_cndmask_b32_e32 v2, v237, v33, vcc
	v_mul_f32_e32 v3, v3, v2
	ds_bpermute_b32 v33, v37, v3
	s_mov_b64 s[72:73], exec
	v_readlane_b32 s52, v255, 16
	v_readlane_b32 s53, v255, 17
	s_and_b64 s[52:53], s[72:73], s[52:53]
	s_mov_b64 exec, s[52:53]
	s_cbranch_execz .LBB30_325
; %bb.324:                              ;   in Loop: Header=BB30_14 Depth=1
	s_waitcnt lgkmcnt(0)
	v_add_f32_e32 v3, v3, v33
	ds_write_b64 v32, v[2:3] offset:512
.LBB30_325:                             ;   in Loop: Header=BB30_14 Depth=1
	s_or_b64 exec, exec, s[72:73]
.LBB30_326:                             ;   in Loop: Header=BB30_14 Depth=1
	s_or_b64 exec, exec, s[8:9]
	v_accvgpr_read_b32 v2, a38
	ds_write2_b32 v2, v4, v1 offset1:1
	ds_write2_b32 v2, v6, v5 offset0:8 offset1:9
	ds_write2_b32 v2, v10, v7 offset0:16 offset1:17
	;; [unrolled: 1-line block ×15, first 2 shown]
	s_waitcnt lgkmcnt(0)
	s_barrier
	s_and_saveexec_b64 s[72:73], s[0:1]
	s_cbranch_execz .LBB30_12
; %bb.327:                              ;   in Loop: Header=BB30_14 Depth=1
	v_accvgpr_read_b32 v1, a148
	v_accvgpr_read_b32 v2, a152
	v_add_u32_e32 v4, s78, v1
	v_or_b32_e32 v1, s11, v2
	v_cmp_gt_i32_e32 vcc, s28, v4
	v_cmp_gt_i32_e64 s[8:9], s80, v1
	s_and_b64 s[52:53], vcc, s[8:9]
	v_mov_b32_e32 v1, 0x47
	s_and_saveexec_b64 s[74:75], s[52:53]
	s_cbranch_execz .LBB30_329
; %bb.328:                              ;   in Loop: Header=BB30_14 Depth=1
	v_accvgpr_read_b32 v1, a40
	v_add_u32_e32 v1, 0, v1
	v_accvgpr_read_b32 v6, a152
	ds_read2_b32 v[2:3], v1 offset0:128 offset1:129
	v_mad_u64_u32 v[4:5], s[52:53], v4, s29, v[6:7]
	ds_read_b32 v6, v1 offset:8960
	v_accvgpr_read_b32 v1, a39
	ds_read2st64_b32 v[8:9], v1 offset1:1
	ds_read_b32 v1, v1 offset:8448
	v_accvgpr_read_b32 v5, a21
	v_lshl_add_u32 v4, v4, 7, v5
	v_ashrrev_i32_e32 v5, 31, v4
	s_waitcnt lgkmcnt(1)
	v_cvt_f32_f16_sdwa v11, v8 dst_sel:DWORD dst_unused:UNUSED_PAD src0_sel:WORD_1
	v_cvt_f32_f16_e32 v10, v8
	s_waitcnt lgkmcnt(0)
	v_cvt_f32_f16_sdwa v13, v1 dst_sel:DWORD dst_unused:UNUSED_PAD src0_sel:WORD_1
	v_cvt_f32_f16_e32 v12, v1
	v_mov_b32_e32 v7, s10
	v_pk_fma_f32 v[10:11], v[2:3], v[10:11], 0 op_sel_hi:[0,1,0]
	v_lshlrev_b64 v[4:5], 3, v[4:5]
	v_pk_fma_f32 v[10:11], v[6:7], v[12:13], v[10:11] op_sel_hi:[0,1,1]
	v_add_co_u32_e32 v4, vcc, s51, v4
	v_div_scale_f32 v1, s[52:53], v3, v3, v11
	v_addc_co_u32_e32 v5, vcc, v7, v5, vcc
	v_rcp_f32_e32 v7, v1
	v_fma_f32 v8, -v1, v7, 1.0
	v_fmac_f32_e32 v7, v8, v7
	v_div_scale_f32 v8, vcc, v11, v3, v11
	v_mul_f32_e32 v12, v8, v7
	v_fma_f32 v13, -v1, v12, v8
	v_fmac_f32_e32 v12, v13, v7
	v_fma_f32 v1, -v1, v12, v8
	v_div_fmas_f32 v1, v1, v7, v12
	v_div_fixup_f32 v11, v1, v3, v11
	v_div_scale_f32 v1, s[52:53], v3, v3, v10
	v_rcp_f32_e32 v7, v1
	v_fma_f32 v8, -v1, v7, 1.0
	v_fmac_f32_e32 v7, v8, v7
	v_div_scale_f32 v8, vcc, v10, v3, v10
	v_mul_f32_e32 v12, v8, v7
	v_fma_f32 v13, -v1, v12, v8
	v_fmac_f32_e32 v12, v13, v7
	v_fma_f32 v1, -v1, v12, v8
	v_div_fmas_f32 v1, v1, v7, v12
	v_div_fixup_f32 v10, v1, v3, v10
	v_accvgpr_read_b32 v1, a41
	ds_read_b32 v1, v1 offset:8448
	global_store_dwordx2 v[4:5], v[10:11], off
	v_cvt_f32_f16_sdwa v11, v9 dst_sel:DWORD dst_unused:UNUSED_PAD src0_sel:WORD_1
	v_cvt_f32_f16_e32 v10, v9
	v_pk_fma_f32 v[8:9], v[2:3], v[10:11], 0 op_sel_hi:[0,1,0]
	s_waitcnt lgkmcnt(0)
	v_cvt_f32_f16_sdwa v11, v1 dst_sel:DWORD dst_unused:UNUSED_PAD src0_sel:WORD_1
	v_cvt_f32_f16_e32 v10, v1
	v_pk_fma_f32 v[6:7], v[6:7], v[10:11], v[8:9] op_sel_hi:[0,1,1]
	v_div_scale_f32 v1, s[52:53], v3, v3, v7
	v_rcp_f32_e32 v2, v1
	v_fma_f32 v8, -v1, v2, 1.0
	v_fmac_f32_e32 v2, v8, v2
	v_div_scale_f32 v8, vcc, v7, v3, v7
	v_mul_f32_e32 v9, v8, v2
	v_fma_f32 v10, -v1, v9, v8
	v_fmac_f32_e32 v9, v10, v2
	v_fma_f32 v1, -v1, v9, v8
	v_div_fmas_f32 v1, v1, v2, v9
	v_div_fixup_f32 v7, v1, v3, v7
	v_div_scale_f32 v1, s[52:53], v3, v3, v6
	v_rcp_f32_e32 v2, v1
	v_fma_f32 v8, -v1, v2, 1.0
	v_fmac_f32_e32 v2, v8, v2
	v_div_scale_f32 v8, vcc, v6, v3, v6
	v_mul_f32_e32 v9, v8, v2
	v_fma_f32 v10, -v1, v9, v8
	v_fmac_f32_e32 v9, v10, v2
	v_fma_f32 v1, -v1, v9, v8
	v_div_fmas_f32 v1, v1, v2, v9
	v_div_fixup_f32 v6, v1, v3, v6
	v_mov_b32_e32 v1, 0
	global_store_dwordx2 v[4:5], v[6:7], off offset:512
.LBB30_329:                             ;   in Loop: Header=BB30_14 Depth=1
	s_or_b64 exec, exec, s[74:75]
	s_movk_i32 s11, 0x47
	v_cmp_gt_i32_e32 vcc, s11, v1
	s_mov_b64 s[74:75], -1
	s_and_saveexec_b64 s[76:77], vcc
; %bb.330:                              ;   in Loop: Header=BB30_14 Depth=1
	v_cmp_eq_u32_e32 vcc, 0, v1
	s_orn2_b64 s[74:75], vcc, exec
; %bb.331:                              ;   in Loop: Header=BB30_14 Depth=1
	s_or_b64 exec, exec, s[76:77]
	s_and_b64 exec, exec, s[74:75]
	s_cbranch_execz .LBB30_12
; %bb.332:                              ;   in Loop: Header=BB30_14 Depth=1
	v_accvgpr_read_b32 v1, a42
	v_add_u32_e32 v4, s78, v1
	v_cmp_gt_i32_e32 vcc, s28, v4
	s_and_b64 s[52:53], vcc, s[8:9]
	v_mov_b32_e32 v1, 0x47
	s_and_saveexec_b64 s[74:75], s[52:53]
	s_cbranch_execz .LBB30_334
; %bb.333:                              ;   in Loop: Header=BB30_14 Depth=1
	v_accvgpr_read_b32 v1, a44
	v_add_u32_e32 v1, 0, v1
	v_accvgpr_read_b32 v6, a152
	ds_read2_b32 v[2:3], v1 offset0:128 offset1:129
	v_mad_u64_u32 v[4:5], s[52:53], v4, s29, v[6:7]
	ds_read_b32 v6, v1 offset:8960
	v_accvgpr_read_b32 v1, a43
	ds_read2st64_b32 v[8:9], v1 offset1:1
	ds_read_b32 v1, v1 offset:8448
	v_accvgpr_read_b32 v5, a21
	v_lshl_add_u32 v4, v4, 7, v5
	v_ashrrev_i32_e32 v5, 31, v4
	s_waitcnt lgkmcnt(1)
	v_cvt_f32_f16_sdwa v11, v8 dst_sel:DWORD dst_unused:UNUSED_PAD src0_sel:WORD_1
	v_cvt_f32_f16_e32 v10, v8
	s_waitcnt lgkmcnt(0)
	v_cvt_f32_f16_sdwa v13, v1 dst_sel:DWORD dst_unused:UNUSED_PAD src0_sel:WORD_1
	v_cvt_f32_f16_e32 v12, v1
	v_mov_b32_e32 v7, s10
	v_pk_fma_f32 v[10:11], v[2:3], v[10:11], 0 op_sel_hi:[0,1,0]
	v_lshlrev_b64 v[4:5], 3, v[4:5]
	v_pk_fma_f32 v[10:11], v[6:7], v[12:13], v[10:11] op_sel_hi:[0,1,1]
	v_add_co_u32_e32 v4, vcc, s51, v4
	v_div_scale_f32 v1, s[52:53], v3, v3, v11
	v_addc_co_u32_e32 v5, vcc, v7, v5, vcc
	v_rcp_f32_e32 v7, v1
	v_fma_f32 v8, -v1, v7, 1.0
	v_fmac_f32_e32 v7, v8, v7
	v_div_scale_f32 v8, vcc, v11, v3, v11
	v_mul_f32_e32 v12, v8, v7
	v_fma_f32 v13, -v1, v12, v8
	v_fmac_f32_e32 v12, v13, v7
	v_fma_f32 v1, -v1, v12, v8
	v_div_fmas_f32 v1, v1, v7, v12
	v_div_fixup_f32 v11, v1, v3, v11
	v_div_scale_f32 v1, s[52:53], v3, v3, v10
	v_rcp_f32_e32 v7, v1
	v_fma_f32 v8, -v1, v7, 1.0
	v_fmac_f32_e32 v7, v8, v7
	v_div_scale_f32 v8, vcc, v10, v3, v10
	v_mul_f32_e32 v12, v8, v7
	v_fma_f32 v13, -v1, v12, v8
	v_fmac_f32_e32 v12, v13, v7
	v_fma_f32 v1, -v1, v12, v8
	v_div_fmas_f32 v1, v1, v7, v12
	v_div_fixup_f32 v10, v1, v3, v10
	v_accvgpr_read_b32 v1, a45
	ds_read_b32 v1, v1 offset:8448
	global_store_dwordx2 v[4:5], v[10:11], off
	v_cvt_f32_f16_sdwa v11, v9 dst_sel:DWORD dst_unused:UNUSED_PAD src0_sel:WORD_1
	v_cvt_f32_f16_e32 v10, v9
	v_pk_fma_f32 v[8:9], v[2:3], v[10:11], 0 op_sel_hi:[0,1,0]
	s_waitcnt lgkmcnt(0)
	v_cvt_f32_f16_sdwa v11, v1 dst_sel:DWORD dst_unused:UNUSED_PAD src0_sel:WORD_1
	v_cvt_f32_f16_e32 v10, v1
	v_pk_fma_f32 v[6:7], v[6:7], v[10:11], v[8:9] op_sel_hi:[0,1,1]
	v_div_scale_f32 v1, s[52:53], v3, v3, v7
	v_rcp_f32_e32 v2, v1
	v_fma_f32 v8, -v1, v2, 1.0
	v_fmac_f32_e32 v2, v8, v2
	v_div_scale_f32 v8, vcc, v7, v3, v7
	v_mul_f32_e32 v9, v8, v2
	v_fma_f32 v10, -v1, v9, v8
	v_fmac_f32_e32 v9, v10, v2
	v_fma_f32 v1, -v1, v9, v8
	v_div_fmas_f32 v1, v1, v2, v9
	v_div_fixup_f32 v7, v1, v3, v7
	v_div_scale_f32 v1, s[52:53], v3, v3, v6
	v_rcp_f32_e32 v2, v1
	v_fma_f32 v8, -v1, v2, 1.0
	v_fmac_f32_e32 v2, v8, v2
	v_div_scale_f32 v8, vcc, v6, v3, v6
	v_mul_f32_e32 v9, v8, v2
	v_fma_f32 v10, -v1, v9, v8
	v_fmac_f32_e32 v9, v10, v2
	v_fma_f32 v1, -v1, v9, v8
	v_div_fmas_f32 v1, v1, v2, v9
	v_div_fixup_f32 v6, v1, v3, v6
	v_mov_b32_e32 v1, 0
	global_store_dwordx2 v[4:5], v[6:7], off offset:512
.LBB30_334:                             ;   in Loop: Header=BB30_14 Depth=1
	s_or_b64 exec, exec, s[74:75]
	v_cmp_gt_i32_e32 vcc, s11, v1
	s_mov_b64 s[74:75], -1
	s_and_saveexec_b64 s[76:77], vcc
; %bb.335:                              ;   in Loop: Header=BB30_14 Depth=1
	v_cmp_eq_u32_e32 vcc, 0, v1
	s_orn2_b64 s[74:75], vcc, exec
; %bb.336:                              ;   in Loop: Header=BB30_14 Depth=1
	s_or_b64 exec, exec, s[76:77]
	s_and_b64 exec, exec, s[74:75]
	s_cbranch_execz .LBB30_12
; %bb.337:                              ;   in Loop: Header=BB30_14 Depth=1
	v_accvgpr_read_b32 v1, a46
	v_add_u32_e32 v4, s78, v1
	v_cmp_gt_i32_e32 vcc, s28, v4
	s_and_b64 s[52:53], vcc, s[8:9]
	v_mov_b32_e32 v1, 0x47
	s_and_saveexec_b64 s[74:75], s[52:53]
	s_cbranch_execz .LBB30_339
; %bb.338:                              ;   in Loop: Header=BB30_14 Depth=1
	v_accvgpr_read_b32 v1, a48
	v_add_u32_e32 v1, 0, v1
	v_accvgpr_read_b32 v6, a152
	ds_read2_b32 v[2:3], v1 offset0:128 offset1:129
	v_mad_u64_u32 v[4:5], s[52:53], v4, s29, v[6:7]
	ds_read_b32 v6, v1 offset:8960
	v_accvgpr_read_b32 v1, a47
	ds_read2st64_b32 v[8:9], v1 offset1:1
	ds_read_b32 v1, v1 offset:8448
	v_accvgpr_read_b32 v5, a21
	v_lshl_add_u32 v4, v4, 7, v5
	v_ashrrev_i32_e32 v5, 31, v4
	s_waitcnt lgkmcnt(1)
	v_cvt_f32_f16_sdwa v11, v8 dst_sel:DWORD dst_unused:UNUSED_PAD src0_sel:WORD_1
	v_cvt_f32_f16_e32 v10, v8
	s_waitcnt lgkmcnt(0)
	v_cvt_f32_f16_sdwa v13, v1 dst_sel:DWORD dst_unused:UNUSED_PAD src0_sel:WORD_1
	v_cvt_f32_f16_e32 v12, v1
	v_mov_b32_e32 v7, s10
	v_pk_fma_f32 v[10:11], v[2:3], v[10:11], 0 op_sel_hi:[0,1,0]
	v_lshlrev_b64 v[4:5], 3, v[4:5]
	v_pk_fma_f32 v[10:11], v[6:7], v[12:13], v[10:11] op_sel_hi:[0,1,1]
	v_add_co_u32_e32 v4, vcc, s51, v4
	v_div_scale_f32 v1, s[52:53], v3, v3, v11
	v_addc_co_u32_e32 v5, vcc, v7, v5, vcc
	v_rcp_f32_e32 v7, v1
	v_fma_f32 v8, -v1, v7, 1.0
	v_fmac_f32_e32 v7, v8, v7
	v_div_scale_f32 v8, vcc, v11, v3, v11
	v_mul_f32_e32 v12, v8, v7
	v_fma_f32 v13, -v1, v12, v8
	v_fmac_f32_e32 v12, v13, v7
	v_fma_f32 v1, -v1, v12, v8
	v_div_fmas_f32 v1, v1, v7, v12
	v_div_fixup_f32 v11, v1, v3, v11
	v_div_scale_f32 v1, s[52:53], v3, v3, v10
	v_rcp_f32_e32 v7, v1
	v_fma_f32 v8, -v1, v7, 1.0
	v_fmac_f32_e32 v7, v8, v7
	v_div_scale_f32 v8, vcc, v10, v3, v10
	v_mul_f32_e32 v12, v8, v7
	v_fma_f32 v13, -v1, v12, v8
	v_fmac_f32_e32 v12, v13, v7
	v_fma_f32 v1, -v1, v12, v8
	v_div_fmas_f32 v1, v1, v7, v12
	v_div_fixup_f32 v10, v1, v3, v10
	v_accvgpr_read_b32 v1, a49
	ds_read_b32 v1, v1 offset:8448
	global_store_dwordx2 v[4:5], v[10:11], off
	v_cvt_f32_f16_sdwa v11, v9 dst_sel:DWORD dst_unused:UNUSED_PAD src0_sel:WORD_1
	v_cvt_f32_f16_e32 v10, v9
	v_pk_fma_f32 v[8:9], v[2:3], v[10:11], 0 op_sel_hi:[0,1,0]
	s_waitcnt lgkmcnt(0)
	v_cvt_f32_f16_sdwa v11, v1 dst_sel:DWORD dst_unused:UNUSED_PAD src0_sel:WORD_1
	v_cvt_f32_f16_e32 v10, v1
	v_pk_fma_f32 v[6:7], v[6:7], v[10:11], v[8:9] op_sel_hi:[0,1,1]
	v_div_scale_f32 v1, s[52:53], v3, v3, v7
	v_rcp_f32_e32 v2, v1
	v_fma_f32 v8, -v1, v2, 1.0
	v_fmac_f32_e32 v2, v8, v2
	v_div_scale_f32 v8, vcc, v7, v3, v7
	v_mul_f32_e32 v9, v8, v2
	v_fma_f32 v10, -v1, v9, v8
	v_fmac_f32_e32 v9, v10, v2
	v_fma_f32 v1, -v1, v9, v8
	v_div_fmas_f32 v1, v1, v2, v9
	v_div_fixup_f32 v7, v1, v3, v7
	v_div_scale_f32 v1, s[52:53], v3, v3, v6
	v_rcp_f32_e32 v2, v1
	v_fma_f32 v8, -v1, v2, 1.0
	v_fmac_f32_e32 v2, v8, v2
	v_div_scale_f32 v8, vcc, v6, v3, v6
	v_mul_f32_e32 v9, v8, v2
	v_fma_f32 v10, -v1, v9, v8
	v_fmac_f32_e32 v9, v10, v2
	v_fma_f32 v1, -v1, v9, v8
	v_div_fmas_f32 v1, v1, v2, v9
	v_div_fixup_f32 v6, v1, v3, v6
	v_mov_b32_e32 v1, 0
	global_store_dwordx2 v[4:5], v[6:7], off offset:512
.LBB30_339:                             ;   in Loop: Header=BB30_14 Depth=1
	s_or_b64 exec, exec, s[74:75]
	v_cmp_gt_i32_e32 vcc, s11, v1
	s_mov_b64 s[74:75], -1
	s_and_saveexec_b64 s[76:77], vcc
; %bb.340:                              ;   in Loop: Header=BB30_14 Depth=1
	v_cmp_eq_u32_e32 vcc, 0, v1
	s_orn2_b64 s[74:75], vcc, exec
; %bb.341:                              ;   in Loop: Header=BB30_14 Depth=1
	s_or_b64 exec, exec, s[76:77]
	s_and_b64 exec, exec, s[74:75]
	s_cbranch_execz .LBB30_12
; %bb.342:                              ;   in Loop: Header=BB30_14 Depth=1
	v_accvgpr_read_b32 v1, a50
	v_add_u32_e32 v4, s78, v1
	v_cmp_gt_i32_e32 vcc, s28, v4
	s_and_b64 s[52:53], vcc, s[8:9]
	v_mov_b32_e32 v1, 0x47
	s_and_saveexec_b64 s[74:75], s[52:53]
	s_cbranch_execz .LBB30_344
; %bb.343:                              ;   in Loop: Header=BB30_14 Depth=1
	v_accvgpr_read_b32 v1, a52
	v_add_u32_e32 v1, 0, v1
	v_accvgpr_read_b32 v6, a152
	ds_read2_b32 v[2:3], v1 offset0:128 offset1:129
	v_mad_u64_u32 v[4:5], s[52:53], v4, s29, v[6:7]
	ds_read_b32 v6, v1 offset:8960
	v_accvgpr_read_b32 v1, a51
	ds_read2st64_b32 v[8:9], v1 offset1:1
	ds_read_b32 v1, v1 offset:8448
	v_accvgpr_read_b32 v5, a21
	v_lshl_add_u32 v4, v4, 7, v5
	v_ashrrev_i32_e32 v5, 31, v4
	s_waitcnt lgkmcnt(1)
	v_cvt_f32_f16_sdwa v11, v8 dst_sel:DWORD dst_unused:UNUSED_PAD src0_sel:WORD_1
	v_cvt_f32_f16_e32 v10, v8
	s_waitcnt lgkmcnt(0)
	v_cvt_f32_f16_sdwa v13, v1 dst_sel:DWORD dst_unused:UNUSED_PAD src0_sel:WORD_1
	v_cvt_f32_f16_e32 v12, v1
	v_mov_b32_e32 v7, s10
	v_pk_fma_f32 v[10:11], v[2:3], v[10:11], 0 op_sel_hi:[0,1,0]
	v_lshlrev_b64 v[4:5], 3, v[4:5]
	v_pk_fma_f32 v[10:11], v[6:7], v[12:13], v[10:11] op_sel_hi:[0,1,1]
	v_add_co_u32_e32 v4, vcc, s51, v4
	v_div_scale_f32 v1, s[52:53], v3, v3, v11
	v_addc_co_u32_e32 v5, vcc, v7, v5, vcc
	v_rcp_f32_e32 v7, v1
	v_fma_f32 v8, -v1, v7, 1.0
	v_fmac_f32_e32 v7, v8, v7
	v_div_scale_f32 v8, vcc, v11, v3, v11
	v_mul_f32_e32 v12, v8, v7
	v_fma_f32 v13, -v1, v12, v8
	v_fmac_f32_e32 v12, v13, v7
	v_fma_f32 v1, -v1, v12, v8
	v_div_fmas_f32 v1, v1, v7, v12
	v_div_fixup_f32 v11, v1, v3, v11
	v_div_scale_f32 v1, s[52:53], v3, v3, v10
	v_rcp_f32_e32 v7, v1
	v_fma_f32 v8, -v1, v7, 1.0
	v_fmac_f32_e32 v7, v8, v7
	v_div_scale_f32 v8, vcc, v10, v3, v10
	v_mul_f32_e32 v12, v8, v7
	v_fma_f32 v13, -v1, v12, v8
	v_fmac_f32_e32 v12, v13, v7
	v_fma_f32 v1, -v1, v12, v8
	v_div_fmas_f32 v1, v1, v7, v12
	v_div_fixup_f32 v10, v1, v3, v10
	v_accvgpr_read_b32 v1, a53
	ds_read_b32 v1, v1 offset:8448
	global_store_dwordx2 v[4:5], v[10:11], off
	v_cvt_f32_f16_sdwa v11, v9 dst_sel:DWORD dst_unused:UNUSED_PAD src0_sel:WORD_1
	v_cvt_f32_f16_e32 v10, v9
	v_pk_fma_f32 v[8:9], v[2:3], v[10:11], 0 op_sel_hi:[0,1,0]
	s_waitcnt lgkmcnt(0)
	v_cvt_f32_f16_sdwa v11, v1 dst_sel:DWORD dst_unused:UNUSED_PAD src0_sel:WORD_1
	v_cvt_f32_f16_e32 v10, v1
	v_pk_fma_f32 v[6:7], v[6:7], v[10:11], v[8:9] op_sel_hi:[0,1,1]
	v_div_scale_f32 v1, s[52:53], v3, v3, v7
	v_rcp_f32_e32 v2, v1
	v_fma_f32 v8, -v1, v2, 1.0
	v_fmac_f32_e32 v2, v8, v2
	v_div_scale_f32 v8, vcc, v7, v3, v7
	v_mul_f32_e32 v9, v8, v2
	v_fma_f32 v10, -v1, v9, v8
	v_fmac_f32_e32 v9, v10, v2
	v_fma_f32 v1, -v1, v9, v8
	v_div_fmas_f32 v1, v1, v2, v9
	v_div_fixup_f32 v7, v1, v3, v7
	v_div_scale_f32 v1, s[52:53], v3, v3, v6
	v_rcp_f32_e32 v2, v1
	v_fma_f32 v8, -v1, v2, 1.0
	v_fmac_f32_e32 v2, v8, v2
	v_div_scale_f32 v8, vcc, v6, v3, v6
	v_mul_f32_e32 v9, v8, v2
	v_fma_f32 v10, -v1, v9, v8
	v_fmac_f32_e32 v9, v10, v2
	v_fma_f32 v1, -v1, v9, v8
	v_div_fmas_f32 v1, v1, v2, v9
	v_div_fixup_f32 v6, v1, v3, v6
	v_mov_b32_e32 v1, 0
	global_store_dwordx2 v[4:5], v[6:7], off offset:512
.LBB30_344:                             ;   in Loop: Header=BB30_14 Depth=1
	s_or_b64 exec, exec, s[74:75]
	v_cmp_gt_i32_e32 vcc, s11, v1
	s_mov_b64 s[74:75], -1
	s_and_saveexec_b64 s[76:77], vcc
; %bb.345:                              ;   in Loop: Header=BB30_14 Depth=1
	v_cmp_eq_u32_e32 vcc, 0, v1
	s_orn2_b64 s[74:75], vcc, exec
; %bb.346:                              ;   in Loop: Header=BB30_14 Depth=1
	s_or_b64 exec, exec, s[76:77]
	s_and_b64 exec, exec, s[74:75]
	s_cbranch_execz .LBB30_12
; %bb.347:                              ;   in Loop: Header=BB30_14 Depth=1
	v_accvgpr_read_b32 v1, a54
	v_add_u32_e32 v4, s78, v1
	v_cmp_gt_i32_e32 vcc, s28, v4
	s_and_b64 s[52:53], vcc, s[8:9]
	v_mov_b32_e32 v1, 0x47
	s_and_saveexec_b64 s[74:75], s[52:53]
	s_cbranch_execz .LBB30_349
; %bb.348:                              ;   in Loop: Header=BB30_14 Depth=1
	v_accvgpr_read_b32 v1, a56
	v_add_u32_e32 v1, 0, v1
	v_accvgpr_read_b32 v6, a152
	ds_read2_b32 v[2:3], v1 offset0:128 offset1:129
	v_mad_u64_u32 v[4:5], s[52:53], v4, s29, v[6:7]
	ds_read_b32 v6, v1 offset:8960
	v_accvgpr_read_b32 v1, a55
	ds_read2st64_b32 v[8:9], v1 offset1:1
	ds_read_b32 v1, v1 offset:8448
	v_accvgpr_read_b32 v5, a21
	v_lshl_add_u32 v4, v4, 7, v5
	v_ashrrev_i32_e32 v5, 31, v4
	s_waitcnt lgkmcnt(1)
	v_cvt_f32_f16_sdwa v11, v8 dst_sel:DWORD dst_unused:UNUSED_PAD src0_sel:WORD_1
	v_cvt_f32_f16_e32 v10, v8
	s_waitcnt lgkmcnt(0)
	v_cvt_f32_f16_sdwa v13, v1 dst_sel:DWORD dst_unused:UNUSED_PAD src0_sel:WORD_1
	v_cvt_f32_f16_e32 v12, v1
	v_mov_b32_e32 v7, s10
	v_pk_fma_f32 v[10:11], v[2:3], v[10:11], 0 op_sel_hi:[0,1,0]
	v_lshlrev_b64 v[4:5], 3, v[4:5]
	v_pk_fma_f32 v[10:11], v[6:7], v[12:13], v[10:11] op_sel_hi:[0,1,1]
	v_add_co_u32_e32 v4, vcc, s51, v4
	v_div_scale_f32 v1, s[52:53], v3, v3, v11
	v_addc_co_u32_e32 v5, vcc, v7, v5, vcc
	v_rcp_f32_e32 v7, v1
	v_fma_f32 v8, -v1, v7, 1.0
	v_fmac_f32_e32 v7, v8, v7
	v_div_scale_f32 v8, vcc, v11, v3, v11
	v_mul_f32_e32 v12, v8, v7
	v_fma_f32 v13, -v1, v12, v8
	v_fmac_f32_e32 v12, v13, v7
	v_fma_f32 v1, -v1, v12, v8
	v_div_fmas_f32 v1, v1, v7, v12
	v_div_fixup_f32 v11, v1, v3, v11
	v_div_scale_f32 v1, s[52:53], v3, v3, v10
	v_rcp_f32_e32 v7, v1
	v_fma_f32 v8, -v1, v7, 1.0
	v_fmac_f32_e32 v7, v8, v7
	v_div_scale_f32 v8, vcc, v10, v3, v10
	v_mul_f32_e32 v12, v8, v7
	v_fma_f32 v13, -v1, v12, v8
	v_fmac_f32_e32 v12, v13, v7
	v_fma_f32 v1, -v1, v12, v8
	v_div_fmas_f32 v1, v1, v7, v12
	v_div_fixup_f32 v10, v1, v3, v10
	v_accvgpr_read_b32 v1, a57
	ds_read_b32 v1, v1 offset:8448
	global_store_dwordx2 v[4:5], v[10:11], off
	v_cvt_f32_f16_sdwa v11, v9 dst_sel:DWORD dst_unused:UNUSED_PAD src0_sel:WORD_1
	v_cvt_f32_f16_e32 v10, v9
	v_pk_fma_f32 v[8:9], v[2:3], v[10:11], 0 op_sel_hi:[0,1,0]
	s_waitcnt lgkmcnt(0)
	v_cvt_f32_f16_sdwa v11, v1 dst_sel:DWORD dst_unused:UNUSED_PAD src0_sel:WORD_1
	v_cvt_f32_f16_e32 v10, v1
	v_pk_fma_f32 v[6:7], v[6:7], v[10:11], v[8:9] op_sel_hi:[0,1,1]
	v_div_scale_f32 v1, s[52:53], v3, v3, v7
	v_rcp_f32_e32 v2, v1
	v_fma_f32 v8, -v1, v2, 1.0
	v_fmac_f32_e32 v2, v8, v2
	v_div_scale_f32 v8, vcc, v7, v3, v7
	v_mul_f32_e32 v9, v8, v2
	v_fma_f32 v10, -v1, v9, v8
	v_fmac_f32_e32 v9, v10, v2
	v_fma_f32 v1, -v1, v9, v8
	v_div_fmas_f32 v1, v1, v2, v9
	v_div_fixup_f32 v7, v1, v3, v7
	v_div_scale_f32 v1, s[52:53], v3, v3, v6
	v_rcp_f32_e32 v2, v1
	v_fma_f32 v8, -v1, v2, 1.0
	v_fmac_f32_e32 v2, v8, v2
	v_div_scale_f32 v8, vcc, v6, v3, v6
	v_mul_f32_e32 v9, v8, v2
	v_fma_f32 v10, -v1, v9, v8
	v_fmac_f32_e32 v9, v10, v2
	v_fma_f32 v1, -v1, v9, v8
	v_div_fmas_f32 v1, v1, v2, v9
	v_div_fixup_f32 v6, v1, v3, v6
	v_mov_b32_e32 v1, 0
	global_store_dwordx2 v[4:5], v[6:7], off offset:512
.LBB30_349:                             ;   in Loop: Header=BB30_14 Depth=1
	s_or_b64 exec, exec, s[74:75]
	v_cmp_gt_i32_e32 vcc, s11, v1
	s_mov_b64 s[74:75], -1
	s_and_saveexec_b64 s[76:77], vcc
; %bb.350:                              ;   in Loop: Header=BB30_14 Depth=1
	v_cmp_eq_u32_e32 vcc, 0, v1
	s_orn2_b64 s[74:75], vcc, exec
; %bb.351:                              ;   in Loop: Header=BB30_14 Depth=1
	s_or_b64 exec, exec, s[76:77]
	s_and_b64 exec, exec, s[74:75]
	s_cbranch_execz .LBB30_12
; %bb.352:                              ;   in Loop: Header=BB30_14 Depth=1
	v_accvgpr_read_b32 v1, a58
	v_add_u32_e32 v4, s78, v1
	v_cmp_gt_i32_e32 vcc, s28, v4
	s_and_b64 s[52:53], vcc, s[8:9]
	v_mov_b32_e32 v1, 0x47
	s_and_saveexec_b64 s[74:75], s[52:53]
	s_cbranch_execz .LBB30_354
; %bb.353:                              ;   in Loop: Header=BB30_14 Depth=1
	v_accvgpr_read_b32 v1, a60
	v_add_u32_e32 v1, 0, v1
	v_accvgpr_read_b32 v6, a152
	ds_read2_b32 v[2:3], v1 offset0:128 offset1:129
	v_mad_u64_u32 v[4:5], s[52:53], v4, s29, v[6:7]
	ds_read_b32 v6, v1 offset:8960
	v_accvgpr_read_b32 v1, a59
	ds_read2st64_b32 v[8:9], v1 offset1:1
	ds_read_b32 v1, v1 offset:8448
	v_accvgpr_read_b32 v5, a21
	v_lshl_add_u32 v4, v4, 7, v5
	v_ashrrev_i32_e32 v5, 31, v4
	s_waitcnt lgkmcnt(1)
	v_cvt_f32_f16_sdwa v11, v8 dst_sel:DWORD dst_unused:UNUSED_PAD src0_sel:WORD_1
	v_cvt_f32_f16_e32 v10, v8
	s_waitcnt lgkmcnt(0)
	v_cvt_f32_f16_sdwa v13, v1 dst_sel:DWORD dst_unused:UNUSED_PAD src0_sel:WORD_1
	v_cvt_f32_f16_e32 v12, v1
	v_mov_b32_e32 v7, s10
	v_pk_fma_f32 v[10:11], v[2:3], v[10:11], 0 op_sel_hi:[0,1,0]
	v_lshlrev_b64 v[4:5], 3, v[4:5]
	v_pk_fma_f32 v[10:11], v[6:7], v[12:13], v[10:11] op_sel_hi:[0,1,1]
	v_add_co_u32_e32 v4, vcc, s51, v4
	v_div_scale_f32 v1, s[52:53], v3, v3, v11
	v_addc_co_u32_e32 v5, vcc, v7, v5, vcc
	v_rcp_f32_e32 v7, v1
	v_fma_f32 v8, -v1, v7, 1.0
	v_fmac_f32_e32 v7, v8, v7
	v_div_scale_f32 v8, vcc, v11, v3, v11
	v_mul_f32_e32 v12, v8, v7
	v_fma_f32 v13, -v1, v12, v8
	v_fmac_f32_e32 v12, v13, v7
	v_fma_f32 v1, -v1, v12, v8
	v_div_fmas_f32 v1, v1, v7, v12
	v_div_fixup_f32 v11, v1, v3, v11
	v_div_scale_f32 v1, s[52:53], v3, v3, v10
	v_rcp_f32_e32 v7, v1
	v_fma_f32 v8, -v1, v7, 1.0
	v_fmac_f32_e32 v7, v8, v7
	v_div_scale_f32 v8, vcc, v10, v3, v10
	v_mul_f32_e32 v12, v8, v7
	v_fma_f32 v13, -v1, v12, v8
	v_fmac_f32_e32 v12, v13, v7
	v_fma_f32 v1, -v1, v12, v8
	v_div_fmas_f32 v1, v1, v7, v12
	v_div_fixup_f32 v10, v1, v3, v10
	v_accvgpr_read_b32 v1, a61
	ds_read_b32 v1, v1 offset:8448
	global_store_dwordx2 v[4:5], v[10:11], off
	v_cvt_f32_f16_sdwa v11, v9 dst_sel:DWORD dst_unused:UNUSED_PAD src0_sel:WORD_1
	v_cvt_f32_f16_e32 v10, v9
	v_pk_fma_f32 v[8:9], v[2:3], v[10:11], 0 op_sel_hi:[0,1,0]
	s_waitcnt lgkmcnt(0)
	v_cvt_f32_f16_sdwa v11, v1 dst_sel:DWORD dst_unused:UNUSED_PAD src0_sel:WORD_1
	v_cvt_f32_f16_e32 v10, v1
	v_pk_fma_f32 v[6:7], v[6:7], v[10:11], v[8:9] op_sel_hi:[0,1,1]
	v_div_scale_f32 v1, s[52:53], v3, v3, v7
	v_rcp_f32_e32 v2, v1
	v_fma_f32 v8, -v1, v2, 1.0
	v_fmac_f32_e32 v2, v8, v2
	v_div_scale_f32 v8, vcc, v7, v3, v7
	v_mul_f32_e32 v9, v8, v2
	v_fma_f32 v10, -v1, v9, v8
	v_fmac_f32_e32 v9, v10, v2
	v_fma_f32 v1, -v1, v9, v8
	v_div_fmas_f32 v1, v1, v2, v9
	v_div_fixup_f32 v7, v1, v3, v7
	v_div_scale_f32 v1, s[52:53], v3, v3, v6
	v_rcp_f32_e32 v2, v1
	v_fma_f32 v8, -v1, v2, 1.0
	v_fmac_f32_e32 v2, v8, v2
	v_div_scale_f32 v8, vcc, v6, v3, v6
	v_mul_f32_e32 v9, v8, v2
	v_fma_f32 v10, -v1, v9, v8
	v_fmac_f32_e32 v9, v10, v2
	v_fma_f32 v1, -v1, v9, v8
	v_div_fmas_f32 v1, v1, v2, v9
	v_div_fixup_f32 v6, v1, v3, v6
	v_mov_b32_e32 v1, 0
	global_store_dwordx2 v[4:5], v[6:7], off offset:512
.LBB30_354:                             ;   in Loop: Header=BB30_14 Depth=1
	s_or_b64 exec, exec, s[74:75]
	v_cmp_gt_i32_e32 vcc, s11, v1
	s_mov_b64 s[74:75], -1
	s_and_saveexec_b64 s[76:77], vcc
; %bb.355:                              ;   in Loop: Header=BB30_14 Depth=1
	v_cmp_eq_u32_e32 vcc, 0, v1
	s_orn2_b64 s[74:75], vcc, exec
; %bb.356:                              ;   in Loop: Header=BB30_14 Depth=1
	s_or_b64 exec, exec, s[76:77]
	s_and_b64 exec, exec, s[74:75]
	s_cbranch_execz .LBB30_12
; %bb.357:                              ;   in Loop: Header=BB30_14 Depth=1
	v_accvgpr_read_b32 v1, a62
	v_add_u32_e32 v4, s78, v1
	v_cmp_gt_i32_e32 vcc, s28, v4
	s_and_b64 s[52:53], vcc, s[8:9]
	v_mov_b32_e32 v1, 0x47
	s_and_saveexec_b64 s[74:75], s[52:53]
	s_cbranch_execz .LBB30_359
; %bb.358:                              ;   in Loop: Header=BB30_14 Depth=1
	v_accvgpr_read_b32 v1, a64
	v_add_u32_e32 v1, 0, v1
	v_accvgpr_read_b32 v6, a152
	ds_read2_b32 v[2:3], v1 offset0:128 offset1:129
	v_mad_u64_u32 v[4:5], s[52:53], v4, s29, v[6:7]
	ds_read_b32 v6, v1 offset:8960
	v_accvgpr_read_b32 v1, a63
	ds_read2st64_b32 v[8:9], v1 offset1:1
	ds_read_b32 v1, v1 offset:8448
	v_accvgpr_read_b32 v5, a21
	v_lshl_add_u32 v4, v4, 7, v5
	v_ashrrev_i32_e32 v5, 31, v4
	s_waitcnt lgkmcnt(1)
	v_cvt_f32_f16_sdwa v11, v8 dst_sel:DWORD dst_unused:UNUSED_PAD src0_sel:WORD_1
	v_cvt_f32_f16_e32 v10, v8
	s_waitcnt lgkmcnt(0)
	v_cvt_f32_f16_sdwa v13, v1 dst_sel:DWORD dst_unused:UNUSED_PAD src0_sel:WORD_1
	v_cvt_f32_f16_e32 v12, v1
	v_mov_b32_e32 v7, s10
	v_pk_fma_f32 v[10:11], v[2:3], v[10:11], 0 op_sel_hi:[0,1,0]
	v_lshlrev_b64 v[4:5], 3, v[4:5]
	v_pk_fma_f32 v[10:11], v[6:7], v[12:13], v[10:11] op_sel_hi:[0,1,1]
	v_add_co_u32_e32 v4, vcc, s51, v4
	v_div_scale_f32 v1, s[52:53], v3, v3, v11
	v_addc_co_u32_e32 v5, vcc, v7, v5, vcc
	v_rcp_f32_e32 v7, v1
	v_fma_f32 v8, -v1, v7, 1.0
	v_fmac_f32_e32 v7, v8, v7
	v_div_scale_f32 v8, vcc, v11, v3, v11
	v_mul_f32_e32 v12, v8, v7
	v_fma_f32 v13, -v1, v12, v8
	v_fmac_f32_e32 v12, v13, v7
	v_fma_f32 v1, -v1, v12, v8
	v_div_fmas_f32 v1, v1, v7, v12
	v_div_fixup_f32 v11, v1, v3, v11
	v_div_scale_f32 v1, s[52:53], v3, v3, v10
	v_rcp_f32_e32 v7, v1
	v_fma_f32 v8, -v1, v7, 1.0
	v_fmac_f32_e32 v7, v8, v7
	v_div_scale_f32 v8, vcc, v10, v3, v10
	v_mul_f32_e32 v12, v8, v7
	v_fma_f32 v13, -v1, v12, v8
	v_fmac_f32_e32 v12, v13, v7
	v_fma_f32 v1, -v1, v12, v8
	v_div_fmas_f32 v1, v1, v7, v12
	v_div_fixup_f32 v10, v1, v3, v10
	v_accvgpr_read_b32 v1, a65
	ds_read_b32 v1, v1 offset:8448
	global_store_dwordx2 v[4:5], v[10:11], off
	v_cvt_f32_f16_sdwa v11, v9 dst_sel:DWORD dst_unused:UNUSED_PAD src0_sel:WORD_1
	v_cvt_f32_f16_e32 v10, v9
	v_pk_fma_f32 v[8:9], v[2:3], v[10:11], 0 op_sel_hi:[0,1,0]
	s_waitcnt lgkmcnt(0)
	v_cvt_f32_f16_sdwa v11, v1 dst_sel:DWORD dst_unused:UNUSED_PAD src0_sel:WORD_1
	v_cvt_f32_f16_e32 v10, v1
	v_pk_fma_f32 v[6:7], v[6:7], v[10:11], v[8:9] op_sel_hi:[0,1,1]
	v_div_scale_f32 v1, s[52:53], v3, v3, v7
	v_rcp_f32_e32 v2, v1
	v_fma_f32 v8, -v1, v2, 1.0
	v_fmac_f32_e32 v2, v8, v2
	v_div_scale_f32 v8, vcc, v7, v3, v7
	v_mul_f32_e32 v9, v8, v2
	v_fma_f32 v10, -v1, v9, v8
	v_fmac_f32_e32 v9, v10, v2
	v_fma_f32 v1, -v1, v9, v8
	v_div_fmas_f32 v1, v1, v2, v9
	v_div_fixup_f32 v7, v1, v3, v7
	v_div_scale_f32 v1, s[52:53], v3, v3, v6
	v_rcp_f32_e32 v2, v1
	v_fma_f32 v8, -v1, v2, 1.0
	v_fmac_f32_e32 v2, v8, v2
	v_div_scale_f32 v8, vcc, v6, v3, v6
	v_mul_f32_e32 v9, v8, v2
	v_fma_f32 v10, -v1, v9, v8
	v_fmac_f32_e32 v9, v10, v2
	v_fma_f32 v1, -v1, v9, v8
	v_div_fmas_f32 v1, v1, v2, v9
	v_div_fixup_f32 v6, v1, v3, v6
	v_mov_b32_e32 v1, 0
	global_store_dwordx2 v[4:5], v[6:7], off offset:512
.LBB30_359:                             ;   in Loop: Header=BB30_14 Depth=1
	s_or_b64 exec, exec, s[74:75]
	v_cmp_gt_i32_e32 vcc, s11, v1
	s_mov_b64 s[74:75], -1
	s_and_saveexec_b64 s[76:77], vcc
; %bb.360:                              ;   in Loop: Header=BB30_14 Depth=1
	v_cmp_eq_u32_e32 vcc, 0, v1
	s_orn2_b64 s[74:75], vcc, exec
; %bb.361:                              ;   in Loop: Header=BB30_14 Depth=1
	s_or_b64 exec, exec, s[76:77]
	s_and_b64 exec, exec, s[74:75]
	s_cbranch_execz .LBB30_12
; %bb.362:                              ;   in Loop: Header=BB30_14 Depth=1
	v_accvgpr_read_b32 v1, a66
	v_add_u32_e32 v4, s78, v1
	v_cmp_gt_i32_e32 vcc, s28, v4
	s_and_b64 s[52:53], vcc, s[8:9]
	v_mov_b32_e32 v1, 0x47
	s_and_saveexec_b64 s[74:75], s[52:53]
	s_cbranch_execz .LBB30_364
; %bb.363:                              ;   in Loop: Header=BB30_14 Depth=1
	v_accvgpr_read_b32 v1, a68
	v_add_u32_e32 v1, 0, v1
	v_accvgpr_read_b32 v6, a152
	ds_read2_b32 v[2:3], v1 offset0:128 offset1:129
	v_mad_u64_u32 v[4:5], s[52:53], v4, s29, v[6:7]
	ds_read_b32 v6, v1 offset:8960
	v_accvgpr_read_b32 v1, a67
	ds_read2st64_b32 v[8:9], v1 offset1:1
	ds_read_b32 v1, v1 offset:8448
	v_accvgpr_read_b32 v5, a21
	v_lshl_add_u32 v4, v4, 7, v5
	v_ashrrev_i32_e32 v5, 31, v4
	s_waitcnt lgkmcnt(1)
	v_cvt_f32_f16_sdwa v11, v8 dst_sel:DWORD dst_unused:UNUSED_PAD src0_sel:WORD_1
	v_cvt_f32_f16_e32 v10, v8
	s_waitcnt lgkmcnt(0)
	v_cvt_f32_f16_sdwa v13, v1 dst_sel:DWORD dst_unused:UNUSED_PAD src0_sel:WORD_1
	v_cvt_f32_f16_e32 v12, v1
	v_mov_b32_e32 v7, s10
	v_pk_fma_f32 v[10:11], v[2:3], v[10:11], 0 op_sel_hi:[0,1,0]
	v_lshlrev_b64 v[4:5], 3, v[4:5]
	v_pk_fma_f32 v[10:11], v[6:7], v[12:13], v[10:11] op_sel_hi:[0,1,1]
	v_add_co_u32_e32 v4, vcc, s51, v4
	v_div_scale_f32 v1, s[52:53], v3, v3, v11
	v_addc_co_u32_e32 v5, vcc, v7, v5, vcc
	v_rcp_f32_e32 v7, v1
	v_fma_f32 v8, -v1, v7, 1.0
	v_fmac_f32_e32 v7, v8, v7
	v_div_scale_f32 v8, vcc, v11, v3, v11
	v_mul_f32_e32 v12, v8, v7
	v_fma_f32 v13, -v1, v12, v8
	v_fmac_f32_e32 v12, v13, v7
	v_fma_f32 v1, -v1, v12, v8
	v_div_fmas_f32 v1, v1, v7, v12
	v_div_fixup_f32 v11, v1, v3, v11
	v_div_scale_f32 v1, s[52:53], v3, v3, v10
	v_rcp_f32_e32 v7, v1
	v_fma_f32 v8, -v1, v7, 1.0
	v_fmac_f32_e32 v7, v8, v7
	v_div_scale_f32 v8, vcc, v10, v3, v10
	v_mul_f32_e32 v12, v8, v7
	v_fma_f32 v13, -v1, v12, v8
	v_fmac_f32_e32 v12, v13, v7
	v_fma_f32 v1, -v1, v12, v8
	v_div_fmas_f32 v1, v1, v7, v12
	v_div_fixup_f32 v10, v1, v3, v10
	v_accvgpr_read_b32 v1, a69
	ds_read_b32 v1, v1 offset:8448
	global_store_dwordx2 v[4:5], v[10:11], off
	v_cvt_f32_f16_sdwa v11, v9 dst_sel:DWORD dst_unused:UNUSED_PAD src0_sel:WORD_1
	v_cvt_f32_f16_e32 v10, v9
	v_pk_fma_f32 v[8:9], v[2:3], v[10:11], 0 op_sel_hi:[0,1,0]
	s_waitcnt lgkmcnt(0)
	v_cvt_f32_f16_sdwa v11, v1 dst_sel:DWORD dst_unused:UNUSED_PAD src0_sel:WORD_1
	v_cvt_f32_f16_e32 v10, v1
	v_pk_fma_f32 v[6:7], v[6:7], v[10:11], v[8:9] op_sel_hi:[0,1,1]
	v_div_scale_f32 v1, s[52:53], v3, v3, v7
	v_rcp_f32_e32 v2, v1
	v_fma_f32 v8, -v1, v2, 1.0
	v_fmac_f32_e32 v2, v8, v2
	v_div_scale_f32 v8, vcc, v7, v3, v7
	v_mul_f32_e32 v9, v8, v2
	v_fma_f32 v10, -v1, v9, v8
	v_fmac_f32_e32 v9, v10, v2
	v_fma_f32 v1, -v1, v9, v8
	v_div_fmas_f32 v1, v1, v2, v9
	v_div_fixup_f32 v7, v1, v3, v7
	v_div_scale_f32 v1, s[52:53], v3, v3, v6
	v_rcp_f32_e32 v2, v1
	v_fma_f32 v8, -v1, v2, 1.0
	v_fmac_f32_e32 v2, v8, v2
	v_div_scale_f32 v8, vcc, v6, v3, v6
	v_mul_f32_e32 v9, v8, v2
	v_fma_f32 v10, -v1, v9, v8
	v_fmac_f32_e32 v9, v10, v2
	v_fma_f32 v1, -v1, v9, v8
	v_div_fmas_f32 v1, v1, v2, v9
	v_div_fixup_f32 v6, v1, v3, v6
	v_mov_b32_e32 v1, 0
	global_store_dwordx2 v[4:5], v[6:7], off offset:512
.LBB30_364:                             ;   in Loop: Header=BB30_14 Depth=1
	s_or_b64 exec, exec, s[74:75]
	v_cmp_gt_i32_e32 vcc, s11, v1
	s_mov_b64 s[74:75], -1
	s_and_saveexec_b64 s[76:77], vcc
; %bb.365:                              ;   in Loop: Header=BB30_14 Depth=1
	v_cmp_eq_u32_e32 vcc, 0, v1
	s_orn2_b64 s[74:75], vcc, exec
; %bb.366:                              ;   in Loop: Header=BB30_14 Depth=1
	s_or_b64 exec, exec, s[76:77]
	s_and_b64 exec, exec, s[74:75]
	s_cbranch_execz .LBB30_12
; %bb.367:                              ;   in Loop: Header=BB30_14 Depth=1
	v_accvgpr_read_b32 v1, a70
	v_add_u32_e32 v4, s78, v1
	v_cmp_gt_i32_e32 vcc, s28, v4
	s_and_b64 s[52:53], vcc, s[8:9]
	v_mov_b32_e32 v1, 0x47
	s_and_saveexec_b64 s[74:75], s[52:53]
	s_cbranch_execz .LBB30_369
; %bb.368:                              ;   in Loop: Header=BB30_14 Depth=1
	v_accvgpr_read_b32 v1, a72
	v_add_u32_e32 v1, 0, v1
	v_accvgpr_read_b32 v6, a152
	ds_read2_b32 v[2:3], v1 offset0:128 offset1:129
	v_mad_u64_u32 v[4:5], s[52:53], v4, s29, v[6:7]
	ds_read_b32 v6, v1 offset:8960
	v_accvgpr_read_b32 v1, a71
	ds_read2st64_b32 v[8:9], v1 offset1:1
	ds_read_b32 v1, v1 offset:8448
	v_accvgpr_read_b32 v5, a21
	v_lshl_add_u32 v4, v4, 7, v5
	v_ashrrev_i32_e32 v5, 31, v4
	s_waitcnt lgkmcnt(1)
	v_cvt_f32_f16_sdwa v11, v8 dst_sel:DWORD dst_unused:UNUSED_PAD src0_sel:WORD_1
	v_cvt_f32_f16_e32 v10, v8
	s_waitcnt lgkmcnt(0)
	v_cvt_f32_f16_sdwa v13, v1 dst_sel:DWORD dst_unused:UNUSED_PAD src0_sel:WORD_1
	v_cvt_f32_f16_e32 v12, v1
	v_mov_b32_e32 v7, s10
	v_pk_fma_f32 v[10:11], v[2:3], v[10:11], 0 op_sel_hi:[0,1,0]
	v_lshlrev_b64 v[4:5], 3, v[4:5]
	v_pk_fma_f32 v[10:11], v[6:7], v[12:13], v[10:11] op_sel_hi:[0,1,1]
	v_add_co_u32_e32 v4, vcc, s51, v4
	v_div_scale_f32 v1, s[52:53], v3, v3, v11
	v_addc_co_u32_e32 v5, vcc, v7, v5, vcc
	v_rcp_f32_e32 v7, v1
	v_fma_f32 v8, -v1, v7, 1.0
	v_fmac_f32_e32 v7, v8, v7
	v_div_scale_f32 v8, vcc, v11, v3, v11
	v_mul_f32_e32 v12, v8, v7
	v_fma_f32 v13, -v1, v12, v8
	v_fmac_f32_e32 v12, v13, v7
	v_fma_f32 v1, -v1, v12, v8
	v_div_fmas_f32 v1, v1, v7, v12
	v_div_fixup_f32 v11, v1, v3, v11
	v_div_scale_f32 v1, s[52:53], v3, v3, v10
	v_rcp_f32_e32 v7, v1
	v_fma_f32 v8, -v1, v7, 1.0
	v_fmac_f32_e32 v7, v8, v7
	v_div_scale_f32 v8, vcc, v10, v3, v10
	v_mul_f32_e32 v12, v8, v7
	v_fma_f32 v13, -v1, v12, v8
	v_fmac_f32_e32 v12, v13, v7
	v_fma_f32 v1, -v1, v12, v8
	v_div_fmas_f32 v1, v1, v7, v12
	v_div_fixup_f32 v10, v1, v3, v10
	v_accvgpr_read_b32 v1, a73
	ds_read_b32 v1, v1 offset:8448
	global_store_dwordx2 v[4:5], v[10:11], off
	v_cvt_f32_f16_sdwa v11, v9 dst_sel:DWORD dst_unused:UNUSED_PAD src0_sel:WORD_1
	v_cvt_f32_f16_e32 v10, v9
	v_pk_fma_f32 v[8:9], v[2:3], v[10:11], 0 op_sel_hi:[0,1,0]
	s_waitcnt lgkmcnt(0)
	v_cvt_f32_f16_sdwa v11, v1 dst_sel:DWORD dst_unused:UNUSED_PAD src0_sel:WORD_1
	v_cvt_f32_f16_e32 v10, v1
	v_pk_fma_f32 v[6:7], v[6:7], v[10:11], v[8:9] op_sel_hi:[0,1,1]
	v_div_scale_f32 v1, s[52:53], v3, v3, v7
	v_rcp_f32_e32 v2, v1
	v_fma_f32 v8, -v1, v2, 1.0
	v_fmac_f32_e32 v2, v8, v2
	v_div_scale_f32 v8, vcc, v7, v3, v7
	v_mul_f32_e32 v9, v8, v2
	v_fma_f32 v10, -v1, v9, v8
	v_fmac_f32_e32 v9, v10, v2
	v_fma_f32 v1, -v1, v9, v8
	v_div_fmas_f32 v1, v1, v2, v9
	v_div_fixup_f32 v7, v1, v3, v7
	v_div_scale_f32 v1, s[52:53], v3, v3, v6
	v_rcp_f32_e32 v2, v1
	v_fma_f32 v8, -v1, v2, 1.0
	v_fmac_f32_e32 v2, v8, v2
	v_div_scale_f32 v8, vcc, v6, v3, v6
	v_mul_f32_e32 v9, v8, v2
	v_fma_f32 v10, -v1, v9, v8
	v_fmac_f32_e32 v9, v10, v2
	v_fma_f32 v1, -v1, v9, v8
	v_div_fmas_f32 v1, v1, v2, v9
	v_div_fixup_f32 v6, v1, v3, v6
	v_mov_b32_e32 v1, 0
	global_store_dwordx2 v[4:5], v[6:7], off offset:512
.LBB30_369:                             ;   in Loop: Header=BB30_14 Depth=1
	s_or_b64 exec, exec, s[74:75]
	v_cmp_gt_i32_e32 vcc, s11, v1
	s_mov_b64 s[74:75], -1
	s_and_saveexec_b64 s[76:77], vcc
; %bb.370:                              ;   in Loop: Header=BB30_14 Depth=1
	v_cmp_eq_u32_e32 vcc, 0, v1
	s_orn2_b64 s[74:75], vcc, exec
; %bb.371:                              ;   in Loop: Header=BB30_14 Depth=1
	s_or_b64 exec, exec, s[76:77]
	s_and_b64 exec, exec, s[74:75]
	s_cbranch_execz .LBB30_12
; %bb.372:                              ;   in Loop: Header=BB30_14 Depth=1
	v_accvgpr_read_b32 v1, a74
	v_add_u32_e32 v4, s78, v1
	v_cmp_gt_i32_e32 vcc, s28, v4
	s_and_b64 s[52:53], vcc, s[8:9]
	v_mov_b32_e32 v1, 0x47
	s_and_saveexec_b64 s[74:75], s[52:53]
	s_cbranch_execz .LBB30_374
; %bb.373:                              ;   in Loop: Header=BB30_14 Depth=1
	v_accvgpr_read_b32 v1, a76
	v_add_u32_e32 v1, 0, v1
	v_accvgpr_read_b32 v6, a152
	ds_read2_b32 v[2:3], v1 offset0:128 offset1:129
	v_mad_u64_u32 v[4:5], s[52:53], v4, s29, v[6:7]
	ds_read_b32 v6, v1 offset:8960
	v_accvgpr_read_b32 v1, a75
	ds_read2st64_b32 v[8:9], v1 offset1:1
	ds_read_b32 v1, v1 offset:8448
	v_accvgpr_read_b32 v5, a21
	v_lshl_add_u32 v4, v4, 7, v5
	v_ashrrev_i32_e32 v5, 31, v4
	s_waitcnt lgkmcnt(1)
	v_cvt_f32_f16_sdwa v11, v8 dst_sel:DWORD dst_unused:UNUSED_PAD src0_sel:WORD_1
	v_cvt_f32_f16_e32 v10, v8
	s_waitcnt lgkmcnt(0)
	v_cvt_f32_f16_sdwa v13, v1 dst_sel:DWORD dst_unused:UNUSED_PAD src0_sel:WORD_1
	v_cvt_f32_f16_e32 v12, v1
	v_mov_b32_e32 v7, s10
	v_pk_fma_f32 v[10:11], v[2:3], v[10:11], 0 op_sel_hi:[0,1,0]
	v_lshlrev_b64 v[4:5], 3, v[4:5]
	v_pk_fma_f32 v[10:11], v[6:7], v[12:13], v[10:11] op_sel_hi:[0,1,1]
	v_add_co_u32_e32 v4, vcc, s51, v4
	v_div_scale_f32 v1, s[52:53], v3, v3, v11
	v_addc_co_u32_e32 v5, vcc, v7, v5, vcc
	v_rcp_f32_e32 v7, v1
	v_fma_f32 v8, -v1, v7, 1.0
	v_fmac_f32_e32 v7, v8, v7
	v_div_scale_f32 v8, vcc, v11, v3, v11
	v_mul_f32_e32 v12, v8, v7
	v_fma_f32 v13, -v1, v12, v8
	v_fmac_f32_e32 v12, v13, v7
	v_fma_f32 v1, -v1, v12, v8
	v_div_fmas_f32 v1, v1, v7, v12
	v_div_fixup_f32 v11, v1, v3, v11
	v_div_scale_f32 v1, s[52:53], v3, v3, v10
	v_rcp_f32_e32 v7, v1
	v_fma_f32 v8, -v1, v7, 1.0
	v_fmac_f32_e32 v7, v8, v7
	v_div_scale_f32 v8, vcc, v10, v3, v10
	v_mul_f32_e32 v12, v8, v7
	v_fma_f32 v13, -v1, v12, v8
	v_fmac_f32_e32 v12, v13, v7
	v_fma_f32 v1, -v1, v12, v8
	v_div_fmas_f32 v1, v1, v7, v12
	v_div_fixup_f32 v10, v1, v3, v10
	v_accvgpr_read_b32 v1, a77
	ds_read_b32 v1, v1 offset:8448
	global_store_dwordx2 v[4:5], v[10:11], off
	v_cvt_f32_f16_sdwa v11, v9 dst_sel:DWORD dst_unused:UNUSED_PAD src0_sel:WORD_1
	v_cvt_f32_f16_e32 v10, v9
	v_pk_fma_f32 v[8:9], v[2:3], v[10:11], 0 op_sel_hi:[0,1,0]
	s_waitcnt lgkmcnt(0)
	v_cvt_f32_f16_sdwa v11, v1 dst_sel:DWORD dst_unused:UNUSED_PAD src0_sel:WORD_1
	v_cvt_f32_f16_e32 v10, v1
	v_pk_fma_f32 v[6:7], v[6:7], v[10:11], v[8:9] op_sel_hi:[0,1,1]
	v_div_scale_f32 v1, s[52:53], v3, v3, v7
	v_rcp_f32_e32 v2, v1
	v_fma_f32 v8, -v1, v2, 1.0
	v_fmac_f32_e32 v2, v8, v2
	v_div_scale_f32 v8, vcc, v7, v3, v7
	v_mul_f32_e32 v9, v8, v2
	v_fma_f32 v10, -v1, v9, v8
	v_fmac_f32_e32 v9, v10, v2
	v_fma_f32 v1, -v1, v9, v8
	v_div_fmas_f32 v1, v1, v2, v9
	v_div_fixup_f32 v7, v1, v3, v7
	v_div_scale_f32 v1, s[52:53], v3, v3, v6
	v_rcp_f32_e32 v2, v1
	v_fma_f32 v8, -v1, v2, 1.0
	v_fmac_f32_e32 v2, v8, v2
	v_div_scale_f32 v8, vcc, v6, v3, v6
	v_mul_f32_e32 v9, v8, v2
	v_fma_f32 v10, -v1, v9, v8
	v_fmac_f32_e32 v9, v10, v2
	v_fma_f32 v1, -v1, v9, v8
	v_div_fmas_f32 v1, v1, v2, v9
	v_div_fixup_f32 v6, v1, v3, v6
	v_mov_b32_e32 v1, 0
	global_store_dwordx2 v[4:5], v[6:7], off offset:512
.LBB30_374:                             ;   in Loop: Header=BB30_14 Depth=1
	s_or_b64 exec, exec, s[74:75]
	v_cmp_gt_i32_e32 vcc, s11, v1
	s_mov_b64 s[74:75], -1
	s_and_saveexec_b64 s[76:77], vcc
; %bb.375:                              ;   in Loop: Header=BB30_14 Depth=1
	v_cmp_eq_u32_e32 vcc, 0, v1
	s_orn2_b64 s[74:75], vcc, exec
; %bb.376:                              ;   in Loop: Header=BB30_14 Depth=1
	s_or_b64 exec, exec, s[76:77]
	s_and_b64 exec, exec, s[74:75]
	s_cbranch_execz .LBB30_12
; %bb.377:                              ;   in Loop: Header=BB30_14 Depth=1
	v_accvgpr_read_b32 v1, a78
	v_add_u32_e32 v4, s78, v1
	v_cmp_gt_i32_e32 vcc, s28, v4
	s_and_b64 s[52:53], vcc, s[8:9]
	v_mov_b32_e32 v1, 0x47
	s_and_saveexec_b64 s[74:75], s[52:53]
	s_cbranch_execz .LBB30_379
; %bb.378:                              ;   in Loop: Header=BB30_14 Depth=1
	v_accvgpr_read_b32 v1, a80
	v_add_u32_e32 v1, 0, v1
	v_accvgpr_read_b32 v6, a152
	ds_read2_b32 v[2:3], v1 offset0:128 offset1:129
	v_mad_u64_u32 v[4:5], s[52:53], v4, s29, v[6:7]
	ds_read_b32 v6, v1 offset:8960
	v_accvgpr_read_b32 v1, a79
	ds_read2st64_b32 v[8:9], v1 offset1:1
	ds_read_b32 v1, v1 offset:8448
	v_accvgpr_read_b32 v5, a21
	v_lshl_add_u32 v4, v4, 7, v5
	v_ashrrev_i32_e32 v5, 31, v4
	s_waitcnt lgkmcnt(1)
	v_cvt_f32_f16_sdwa v11, v8 dst_sel:DWORD dst_unused:UNUSED_PAD src0_sel:WORD_1
	v_cvt_f32_f16_e32 v10, v8
	s_waitcnt lgkmcnt(0)
	v_cvt_f32_f16_sdwa v13, v1 dst_sel:DWORD dst_unused:UNUSED_PAD src0_sel:WORD_1
	v_cvt_f32_f16_e32 v12, v1
	v_mov_b32_e32 v7, s10
	v_pk_fma_f32 v[10:11], v[2:3], v[10:11], 0 op_sel_hi:[0,1,0]
	v_lshlrev_b64 v[4:5], 3, v[4:5]
	v_pk_fma_f32 v[10:11], v[6:7], v[12:13], v[10:11] op_sel_hi:[0,1,1]
	v_add_co_u32_e32 v4, vcc, s51, v4
	v_div_scale_f32 v1, s[52:53], v3, v3, v11
	v_addc_co_u32_e32 v5, vcc, v7, v5, vcc
	v_rcp_f32_e32 v7, v1
	v_fma_f32 v8, -v1, v7, 1.0
	v_fmac_f32_e32 v7, v8, v7
	v_div_scale_f32 v8, vcc, v11, v3, v11
	v_mul_f32_e32 v12, v8, v7
	v_fma_f32 v13, -v1, v12, v8
	v_fmac_f32_e32 v12, v13, v7
	v_fma_f32 v1, -v1, v12, v8
	v_div_fmas_f32 v1, v1, v7, v12
	v_div_fixup_f32 v11, v1, v3, v11
	v_div_scale_f32 v1, s[52:53], v3, v3, v10
	v_rcp_f32_e32 v7, v1
	v_fma_f32 v8, -v1, v7, 1.0
	v_fmac_f32_e32 v7, v8, v7
	v_div_scale_f32 v8, vcc, v10, v3, v10
	v_mul_f32_e32 v12, v8, v7
	v_fma_f32 v13, -v1, v12, v8
	v_fmac_f32_e32 v12, v13, v7
	v_fma_f32 v1, -v1, v12, v8
	v_div_fmas_f32 v1, v1, v7, v12
	v_div_fixup_f32 v10, v1, v3, v10
	v_accvgpr_read_b32 v1, a81
	ds_read_b32 v1, v1 offset:8448
	global_store_dwordx2 v[4:5], v[10:11], off
	v_cvt_f32_f16_sdwa v11, v9 dst_sel:DWORD dst_unused:UNUSED_PAD src0_sel:WORD_1
	v_cvt_f32_f16_e32 v10, v9
	v_pk_fma_f32 v[8:9], v[2:3], v[10:11], 0 op_sel_hi:[0,1,0]
	s_waitcnt lgkmcnt(0)
	v_cvt_f32_f16_sdwa v11, v1 dst_sel:DWORD dst_unused:UNUSED_PAD src0_sel:WORD_1
	v_cvt_f32_f16_e32 v10, v1
	v_pk_fma_f32 v[6:7], v[6:7], v[10:11], v[8:9] op_sel_hi:[0,1,1]
	v_div_scale_f32 v1, s[52:53], v3, v3, v7
	v_rcp_f32_e32 v2, v1
	v_fma_f32 v8, -v1, v2, 1.0
	v_fmac_f32_e32 v2, v8, v2
	v_div_scale_f32 v8, vcc, v7, v3, v7
	v_mul_f32_e32 v9, v8, v2
	v_fma_f32 v10, -v1, v9, v8
	v_fmac_f32_e32 v9, v10, v2
	v_fma_f32 v1, -v1, v9, v8
	v_div_fmas_f32 v1, v1, v2, v9
	v_div_fixup_f32 v7, v1, v3, v7
	v_div_scale_f32 v1, s[52:53], v3, v3, v6
	v_rcp_f32_e32 v2, v1
	v_fma_f32 v8, -v1, v2, 1.0
	v_fmac_f32_e32 v2, v8, v2
	v_div_scale_f32 v8, vcc, v6, v3, v6
	v_mul_f32_e32 v9, v8, v2
	v_fma_f32 v10, -v1, v9, v8
	v_fmac_f32_e32 v9, v10, v2
	v_fma_f32 v1, -v1, v9, v8
	v_div_fmas_f32 v1, v1, v2, v9
	v_div_fixup_f32 v6, v1, v3, v6
	v_mov_b32_e32 v1, 0
	global_store_dwordx2 v[4:5], v[6:7], off offset:512
.LBB30_379:                             ;   in Loop: Header=BB30_14 Depth=1
	s_or_b64 exec, exec, s[74:75]
	v_cmp_gt_i32_e32 vcc, s11, v1
	s_mov_b64 s[74:75], -1
	s_and_saveexec_b64 s[76:77], vcc
; %bb.380:                              ;   in Loop: Header=BB30_14 Depth=1
	v_cmp_eq_u32_e32 vcc, 0, v1
	s_orn2_b64 s[74:75], vcc, exec
; %bb.381:                              ;   in Loop: Header=BB30_14 Depth=1
	s_or_b64 exec, exec, s[76:77]
	s_and_b64 exec, exec, s[74:75]
	s_cbranch_execz .LBB30_12
; %bb.382:                              ;   in Loop: Header=BB30_14 Depth=1
	v_accvgpr_read_b32 v1, a82
	v_add_u32_e32 v4, s78, v1
	v_cmp_gt_i32_e32 vcc, s28, v4
	s_and_b64 s[52:53], vcc, s[8:9]
	v_mov_b32_e32 v1, 0x47
	s_and_saveexec_b64 s[74:75], s[52:53]
	s_cbranch_execz .LBB30_384
; %bb.383:                              ;   in Loop: Header=BB30_14 Depth=1
	v_accvgpr_read_b32 v1, a84
	v_add_u32_e32 v1, 0, v1
	v_accvgpr_read_b32 v6, a152
	ds_read2_b32 v[2:3], v1 offset0:128 offset1:129
	v_mad_u64_u32 v[4:5], s[52:53], v4, s29, v[6:7]
	ds_read_b32 v6, v1 offset:8960
	v_accvgpr_read_b32 v1, a83
	ds_read2st64_b32 v[8:9], v1 offset1:1
	ds_read_b32 v1, v1 offset:8448
	v_accvgpr_read_b32 v5, a21
	v_lshl_add_u32 v4, v4, 7, v5
	v_ashrrev_i32_e32 v5, 31, v4
	s_waitcnt lgkmcnt(1)
	v_cvt_f32_f16_sdwa v11, v8 dst_sel:DWORD dst_unused:UNUSED_PAD src0_sel:WORD_1
	v_cvt_f32_f16_e32 v10, v8
	s_waitcnt lgkmcnt(0)
	v_cvt_f32_f16_sdwa v13, v1 dst_sel:DWORD dst_unused:UNUSED_PAD src0_sel:WORD_1
	v_cvt_f32_f16_e32 v12, v1
	v_mov_b32_e32 v7, s10
	v_pk_fma_f32 v[10:11], v[2:3], v[10:11], 0 op_sel_hi:[0,1,0]
	v_lshlrev_b64 v[4:5], 3, v[4:5]
	v_pk_fma_f32 v[10:11], v[6:7], v[12:13], v[10:11] op_sel_hi:[0,1,1]
	v_add_co_u32_e32 v4, vcc, s51, v4
	v_div_scale_f32 v1, s[52:53], v3, v3, v11
	v_addc_co_u32_e32 v5, vcc, v7, v5, vcc
	v_rcp_f32_e32 v7, v1
	v_fma_f32 v8, -v1, v7, 1.0
	v_fmac_f32_e32 v7, v8, v7
	v_div_scale_f32 v8, vcc, v11, v3, v11
	v_mul_f32_e32 v12, v8, v7
	v_fma_f32 v13, -v1, v12, v8
	v_fmac_f32_e32 v12, v13, v7
	v_fma_f32 v1, -v1, v12, v8
	v_div_fmas_f32 v1, v1, v7, v12
	v_div_fixup_f32 v11, v1, v3, v11
	v_div_scale_f32 v1, s[52:53], v3, v3, v10
	v_rcp_f32_e32 v7, v1
	v_fma_f32 v8, -v1, v7, 1.0
	v_fmac_f32_e32 v7, v8, v7
	v_div_scale_f32 v8, vcc, v10, v3, v10
	v_mul_f32_e32 v12, v8, v7
	v_fma_f32 v13, -v1, v12, v8
	v_fmac_f32_e32 v12, v13, v7
	v_fma_f32 v1, -v1, v12, v8
	v_div_fmas_f32 v1, v1, v7, v12
	v_div_fixup_f32 v10, v1, v3, v10
	v_accvgpr_read_b32 v1, a85
	ds_read_b32 v1, v1 offset:8448
	global_store_dwordx2 v[4:5], v[10:11], off
	v_cvt_f32_f16_sdwa v11, v9 dst_sel:DWORD dst_unused:UNUSED_PAD src0_sel:WORD_1
	v_cvt_f32_f16_e32 v10, v9
	v_pk_fma_f32 v[8:9], v[2:3], v[10:11], 0 op_sel_hi:[0,1,0]
	s_waitcnt lgkmcnt(0)
	v_cvt_f32_f16_sdwa v11, v1 dst_sel:DWORD dst_unused:UNUSED_PAD src0_sel:WORD_1
	v_cvt_f32_f16_e32 v10, v1
	v_pk_fma_f32 v[6:7], v[6:7], v[10:11], v[8:9] op_sel_hi:[0,1,1]
	v_div_scale_f32 v1, s[52:53], v3, v3, v7
	v_rcp_f32_e32 v2, v1
	v_fma_f32 v8, -v1, v2, 1.0
	v_fmac_f32_e32 v2, v8, v2
	v_div_scale_f32 v8, vcc, v7, v3, v7
	v_mul_f32_e32 v9, v8, v2
	v_fma_f32 v10, -v1, v9, v8
	v_fmac_f32_e32 v9, v10, v2
	v_fma_f32 v1, -v1, v9, v8
	v_div_fmas_f32 v1, v1, v2, v9
	v_div_fixup_f32 v7, v1, v3, v7
	v_div_scale_f32 v1, s[52:53], v3, v3, v6
	v_rcp_f32_e32 v2, v1
	v_fma_f32 v8, -v1, v2, 1.0
	v_fmac_f32_e32 v2, v8, v2
	v_div_scale_f32 v8, vcc, v6, v3, v6
	v_mul_f32_e32 v9, v8, v2
	v_fma_f32 v10, -v1, v9, v8
	v_fmac_f32_e32 v9, v10, v2
	v_fma_f32 v1, -v1, v9, v8
	v_div_fmas_f32 v1, v1, v2, v9
	v_div_fixup_f32 v6, v1, v3, v6
	v_mov_b32_e32 v1, 0
	global_store_dwordx2 v[4:5], v[6:7], off offset:512
.LBB30_384:                             ;   in Loop: Header=BB30_14 Depth=1
	s_or_b64 exec, exec, s[74:75]
	v_cmp_gt_i32_e32 vcc, s11, v1
	s_mov_b64 s[74:75], -1
	s_and_saveexec_b64 s[76:77], vcc
; %bb.385:                              ;   in Loop: Header=BB30_14 Depth=1
	v_cmp_eq_u32_e32 vcc, 0, v1
	s_orn2_b64 s[74:75], vcc, exec
; %bb.386:                              ;   in Loop: Header=BB30_14 Depth=1
	s_or_b64 exec, exec, s[76:77]
	s_and_b64 exec, exec, s[74:75]
	s_cbranch_execz .LBB30_12
; %bb.387:                              ;   in Loop: Header=BB30_14 Depth=1
	v_accvgpr_read_b32 v1, a86
	v_add_u32_e32 v4, s78, v1
	v_cmp_gt_i32_e32 vcc, s28, v4
	s_and_b64 s[52:53], vcc, s[8:9]
	v_mov_b32_e32 v1, 0x47
	s_and_saveexec_b64 s[74:75], s[52:53]
	s_cbranch_execz .LBB30_389
; %bb.388:                              ;   in Loop: Header=BB30_14 Depth=1
	v_accvgpr_read_b32 v1, a88
	v_add_u32_e32 v1, 0, v1
	v_accvgpr_read_b32 v6, a152
	ds_read2_b32 v[2:3], v1 offset0:128 offset1:129
	v_mad_u64_u32 v[4:5], s[52:53], v4, s29, v[6:7]
	ds_read_b32 v6, v1 offset:8960
	v_accvgpr_read_b32 v1, a87
	ds_read2st64_b32 v[8:9], v1 offset1:1
	ds_read_b32 v1, v1 offset:8448
	v_accvgpr_read_b32 v5, a21
	v_lshl_add_u32 v4, v4, 7, v5
	v_ashrrev_i32_e32 v5, 31, v4
	s_waitcnt lgkmcnt(1)
	v_cvt_f32_f16_sdwa v11, v8 dst_sel:DWORD dst_unused:UNUSED_PAD src0_sel:WORD_1
	v_cvt_f32_f16_e32 v10, v8
	s_waitcnt lgkmcnt(0)
	v_cvt_f32_f16_sdwa v13, v1 dst_sel:DWORD dst_unused:UNUSED_PAD src0_sel:WORD_1
	v_cvt_f32_f16_e32 v12, v1
	v_mov_b32_e32 v7, s10
	v_pk_fma_f32 v[10:11], v[2:3], v[10:11], 0 op_sel_hi:[0,1,0]
	v_lshlrev_b64 v[4:5], 3, v[4:5]
	v_pk_fma_f32 v[10:11], v[6:7], v[12:13], v[10:11] op_sel_hi:[0,1,1]
	v_add_co_u32_e32 v4, vcc, s51, v4
	v_div_scale_f32 v1, s[52:53], v3, v3, v11
	v_addc_co_u32_e32 v5, vcc, v7, v5, vcc
	v_rcp_f32_e32 v7, v1
	v_fma_f32 v8, -v1, v7, 1.0
	v_fmac_f32_e32 v7, v8, v7
	v_div_scale_f32 v8, vcc, v11, v3, v11
	v_mul_f32_e32 v12, v8, v7
	v_fma_f32 v13, -v1, v12, v8
	v_fmac_f32_e32 v12, v13, v7
	v_fma_f32 v1, -v1, v12, v8
	v_div_fmas_f32 v1, v1, v7, v12
	v_div_fixup_f32 v11, v1, v3, v11
	v_div_scale_f32 v1, s[52:53], v3, v3, v10
	v_rcp_f32_e32 v7, v1
	v_fma_f32 v8, -v1, v7, 1.0
	v_fmac_f32_e32 v7, v8, v7
	v_div_scale_f32 v8, vcc, v10, v3, v10
	v_mul_f32_e32 v12, v8, v7
	v_fma_f32 v13, -v1, v12, v8
	v_fmac_f32_e32 v12, v13, v7
	v_fma_f32 v1, -v1, v12, v8
	v_div_fmas_f32 v1, v1, v7, v12
	v_div_fixup_f32 v10, v1, v3, v10
	v_accvgpr_read_b32 v1, a89
	ds_read_b32 v1, v1 offset:8448
	global_store_dwordx2 v[4:5], v[10:11], off
	v_cvt_f32_f16_sdwa v11, v9 dst_sel:DWORD dst_unused:UNUSED_PAD src0_sel:WORD_1
	v_cvt_f32_f16_e32 v10, v9
	v_pk_fma_f32 v[8:9], v[2:3], v[10:11], 0 op_sel_hi:[0,1,0]
	s_waitcnt lgkmcnt(0)
	v_cvt_f32_f16_sdwa v11, v1 dst_sel:DWORD dst_unused:UNUSED_PAD src0_sel:WORD_1
	v_cvt_f32_f16_e32 v10, v1
	v_pk_fma_f32 v[6:7], v[6:7], v[10:11], v[8:9] op_sel_hi:[0,1,1]
	v_div_scale_f32 v1, s[52:53], v3, v3, v7
	v_rcp_f32_e32 v2, v1
	v_fma_f32 v8, -v1, v2, 1.0
	v_fmac_f32_e32 v2, v8, v2
	v_div_scale_f32 v8, vcc, v7, v3, v7
	v_mul_f32_e32 v9, v8, v2
	v_fma_f32 v10, -v1, v9, v8
	v_fmac_f32_e32 v9, v10, v2
	v_fma_f32 v1, -v1, v9, v8
	v_div_fmas_f32 v1, v1, v2, v9
	v_div_fixup_f32 v7, v1, v3, v7
	v_div_scale_f32 v1, s[52:53], v3, v3, v6
	v_rcp_f32_e32 v2, v1
	v_fma_f32 v8, -v1, v2, 1.0
	v_fmac_f32_e32 v2, v8, v2
	v_div_scale_f32 v8, vcc, v6, v3, v6
	v_mul_f32_e32 v9, v8, v2
	v_fma_f32 v10, -v1, v9, v8
	v_fmac_f32_e32 v9, v10, v2
	v_fma_f32 v1, -v1, v9, v8
	v_div_fmas_f32 v1, v1, v2, v9
	v_div_fixup_f32 v6, v1, v3, v6
	v_mov_b32_e32 v1, 0
	global_store_dwordx2 v[4:5], v[6:7], off offset:512
.LBB30_389:                             ;   in Loop: Header=BB30_14 Depth=1
	s_or_b64 exec, exec, s[74:75]
	v_cmp_gt_i32_e32 vcc, s11, v1
	s_mov_b64 s[74:75], -1
	s_and_saveexec_b64 s[76:77], vcc
; %bb.390:                              ;   in Loop: Header=BB30_14 Depth=1
	v_cmp_eq_u32_e32 vcc, 0, v1
	s_orn2_b64 s[74:75], vcc, exec
; %bb.391:                              ;   in Loop: Header=BB30_14 Depth=1
	s_or_b64 exec, exec, s[76:77]
	s_and_b64 exec, exec, s[74:75]
	s_cbranch_execz .LBB30_12
; %bb.392:                              ;   in Loop: Header=BB30_14 Depth=1
	v_accvgpr_read_b32 v1, a90
	v_add_u32_e32 v4, s78, v1
	v_cmp_gt_i32_e32 vcc, s28, v4
	s_and_b64 s[52:53], vcc, s[8:9]
	v_mov_b32_e32 v1, 0x47
	s_and_saveexec_b64 s[74:75], s[52:53]
	s_cbranch_execz .LBB30_394
; %bb.393:                              ;   in Loop: Header=BB30_14 Depth=1
	v_accvgpr_read_b32 v1, a92
	v_add_u32_e32 v1, 0, v1
	v_accvgpr_read_b32 v6, a152
	ds_read2_b32 v[2:3], v1 offset0:128 offset1:129
	v_mad_u64_u32 v[4:5], s[52:53], v4, s29, v[6:7]
	ds_read_b32 v6, v1 offset:8960
	v_accvgpr_read_b32 v1, a91
	ds_read2st64_b32 v[8:9], v1 offset1:1
	ds_read_b32 v1, v1 offset:8448
	v_accvgpr_read_b32 v5, a21
	v_lshl_add_u32 v4, v4, 7, v5
	v_ashrrev_i32_e32 v5, 31, v4
	s_waitcnt lgkmcnt(1)
	v_cvt_f32_f16_sdwa v11, v8 dst_sel:DWORD dst_unused:UNUSED_PAD src0_sel:WORD_1
	v_cvt_f32_f16_e32 v10, v8
	s_waitcnt lgkmcnt(0)
	v_cvt_f32_f16_sdwa v13, v1 dst_sel:DWORD dst_unused:UNUSED_PAD src0_sel:WORD_1
	v_cvt_f32_f16_e32 v12, v1
	v_mov_b32_e32 v7, s10
	v_pk_fma_f32 v[10:11], v[2:3], v[10:11], 0 op_sel_hi:[0,1,0]
	v_lshlrev_b64 v[4:5], 3, v[4:5]
	v_pk_fma_f32 v[10:11], v[6:7], v[12:13], v[10:11] op_sel_hi:[0,1,1]
	v_add_co_u32_e32 v4, vcc, s51, v4
	v_div_scale_f32 v1, s[52:53], v3, v3, v11
	v_addc_co_u32_e32 v5, vcc, v7, v5, vcc
	v_rcp_f32_e32 v7, v1
	v_fma_f32 v8, -v1, v7, 1.0
	v_fmac_f32_e32 v7, v8, v7
	v_div_scale_f32 v8, vcc, v11, v3, v11
	v_mul_f32_e32 v12, v8, v7
	v_fma_f32 v13, -v1, v12, v8
	v_fmac_f32_e32 v12, v13, v7
	v_fma_f32 v1, -v1, v12, v8
	v_div_fmas_f32 v1, v1, v7, v12
	v_div_fixup_f32 v11, v1, v3, v11
	v_div_scale_f32 v1, s[52:53], v3, v3, v10
	v_rcp_f32_e32 v7, v1
	v_fma_f32 v8, -v1, v7, 1.0
	v_fmac_f32_e32 v7, v8, v7
	v_div_scale_f32 v8, vcc, v10, v3, v10
	v_mul_f32_e32 v12, v8, v7
	v_fma_f32 v13, -v1, v12, v8
	v_fmac_f32_e32 v12, v13, v7
	v_fma_f32 v1, -v1, v12, v8
	v_div_fmas_f32 v1, v1, v7, v12
	v_div_fixup_f32 v10, v1, v3, v10
	v_accvgpr_read_b32 v1, a93
	ds_read_b32 v1, v1 offset:8448
	global_store_dwordx2 v[4:5], v[10:11], off
	v_cvt_f32_f16_sdwa v11, v9 dst_sel:DWORD dst_unused:UNUSED_PAD src0_sel:WORD_1
	v_cvt_f32_f16_e32 v10, v9
	v_pk_fma_f32 v[8:9], v[2:3], v[10:11], 0 op_sel_hi:[0,1,0]
	s_waitcnt lgkmcnt(0)
	v_cvt_f32_f16_sdwa v11, v1 dst_sel:DWORD dst_unused:UNUSED_PAD src0_sel:WORD_1
	v_cvt_f32_f16_e32 v10, v1
	v_pk_fma_f32 v[6:7], v[6:7], v[10:11], v[8:9] op_sel_hi:[0,1,1]
	v_div_scale_f32 v1, s[52:53], v3, v3, v7
	v_rcp_f32_e32 v2, v1
	v_fma_f32 v8, -v1, v2, 1.0
	v_fmac_f32_e32 v2, v8, v2
	v_div_scale_f32 v8, vcc, v7, v3, v7
	v_mul_f32_e32 v9, v8, v2
	v_fma_f32 v10, -v1, v9, v8
	v_fmac_f32_e32 v9, v10, v2
	v_fma_f32 v1, -v1, v9, v8
	v_div_fmas_f32 v1, v1, v2, v9
	v_div_fixup_f32 v7, v1, v3, v7
	v_div_scale_f32 v1, s[52:53], v3, v3, v6
	v_rcp_f32_e32 v2, v1
	v_fma_f32 v8, -v1, v2, 1.0
	v_fmac_f32_e32 v2, v8, v2
	v_div_scale_f32 v8, vcc, v6, v3, v6
	v_mul_f32_e32 v9, v8, v2
	v_fma_f32 v10, -v1, v9, v8
	v_fmac_f32_e32 v9, v10, v2
	v_fma_f32 v1, -v1, v9, v8
	v_div_fmas_f32 v1, v1, v2, v9
	v_div_fixup_f32 v6, v1, v3, v6
	v_mov_b32_e32 v1, 0
	global_store_dwordx2 v[4:5], v[6:7], off offset:512
.LBB30_394:                             ;   in Loop: Header=BB30_14 Depth=1
	s_or_b64 exec, exec, s[74:75]
	v_cmp_gt_i32_e32 vcc, s11, v1
	s_mov_b64 s[74:75], -1
	s_and_saveexec_b64 s[76:77], vcc
; %bb.395:                              ;   in Loop: Header=BB30_14 Depth=1
	v_cmp_eq_u32_e32 vcc, 0, v1
	s_orn2_b64 s[74:75], vcc, exec
; %bb.396:                              ;   in Loop: Header=BB30_14 Depth=1
	s_or_b64 exec, exec, s[76:77]
	s_and_b64 exec, exec, s[74:75]
	s_cbranch_execz .LBB30_12
; %bb.397:                              ;   in Loop: Header=BB30_14 Depth=1
	v_accvgpr_read_b32 v1, a94
	v_add_u32_e32 v4, s78, v1
	v_cmp_gt_i32_e32 vcc, s28, v4
	s_and_b64 s[52:53], vcc, s[8:9]
	v_mov_b32_e32 v1, 0x47
	s_and_saveexec_b64 s[74:75], s[52:53]
	s_cbranch_execz .LBB30_399
; %bb.398:                              ;   in Loop: Header=BB30_14 Depth=1
	v_accvgpr_read_b32 v1, a96
	v_add_u32_e32 v1, 0, v1
	v_accvgpr_read_b32 v6, a152
	ds_read2_b32 v[2:3], v1 offset0:128 offset1:129
	v_mad_u64_u32 v[4:5], s[52:53], v4, s29, v[6:7]
	ds_read_b32 v6, v1 offset:8960
	v_accvgpr_read_b32 v1, a95
	ds_read2st64_b32 v[8:9], v1 offset1:1
	ds_read_b32 v1, v1 offset:8448
	v_accvgpr_read_b32 v5, a21
	v_lshl_add_u32 v4, v4, 7, v5
	v_ashrrev_i32_e32 v5, 31, v4
	s_waitcnt lgkmcnt(1)
	v_cvt_f32_f16_sdwa v11, v8 dst_sel:DWORD dst_unused:UNUSED_PAD src0_sel:WORD_1
	v_cvt_f32_f16_e32 v10, v8
	s_waitcnt lgkmcnt(0)
	v_cvt_f32_f16_sdwa v13, v1 dst_sel:DWORD dst_unused:UNUSED_PAD src0_sel:WORD_1
	v_cvt_f32_f16_e32 v12, v1
	v_mov_b32_e32 v7, s10
	v_pk_fma_f32 v[10:11], v[2:3], v[10:11], 0 op_sel_hi:[0,1,0]
	v_lshlrev_b64 v[4:5], 3, v[4:5]
	v_pk_fma_f32 v[10:11], v[6:7], v[12:13], v[10:11] op_sel_hi:[0,1,1]
	v_add_co_u32_e32 v4, vcc, s51, v4
	v_div_scale_f32 v1, s[52:53], v3, v3, v11
	v_addc_co_u32_e32 v5, vcc, v7, v5, vcc
	v_rcp_f32_e32 v7, v1
	v_fma_f32 v8, -v1, v7, 1.0
	v_fmac_f32_e32 v7, v8, v7
	v_div_scale_f32 v8, vcc, v11, v3, v11
	v_mul_f32_e32 v12, v8, v7
	v_fma_f32 v13, -v1, v12, v8
	v_fmac_f32_e32 v12, v13, v7
	v_fma_f32 v1, -v1, v12, v8
	v_div_fmas_f32 v1, v1, v7, v12
	v_div_fixup_f32 v11, v1, v3, v11
	v_div_scale_f32 v1, s[52:53], v3, v3, v10
	v_rcp_f32_e32 v7, v1
	v_fma_f32 v8, -v1, v7, 1.0
	v_fmac_f32_e32 v7, v8, v7
	v_div_scale_f32 v8, vcc, v10, v3, v10
	v_mul_f32_e32 v12, v8, v7
	v_fma_f32 v13, -v1, v12, v8
	v_fmac_f32_e32 v12, v13, v7
	v_fma_f32 v1, -v1, v12, v8
	v_div_fmas_f32 v1, v1, v7, v12
	v_div_fixup_f32 v10, v1, v3, v10
	v_accvgpr_read_b32 v1, a97
	ds_read_b32 v1, v1 offset:8448
	global_store_dwordx2 v[4:5], v[10:11], off
	v_cvt_f32_f16_sdwa v11, v9 dst_sel:DWORD dst_unused:UNUSED_PAD src0_sel:WORD_1
	v_cvt_f32_f16_e32 v10, v9
	v_pk_fma_f32 v[8:9], v[2:3], v[10:11], 0 op_sel_hi:[0,1,0]
	s_waitcnt lgkmcnt(0)
	v_cvt_f32_f16_sdwa v11, v1 dst_sel:DWORD dst_unused:UNUSED_PAD src0_sel:WORD_1
	v_cvt_f32_f16_e32 v10, v1
	v_pk_fma_f32 v[6:7], v[6:7], v[10:11], v[8:9] op_sel_hi:[0,1,1]
	v_div_scale_f32 v1, s[52:53], v3, v3, v7
	v_rcp_f32_e32 v2, v1
	v_fma_f32 v8, -v1, v2, 1.0
	v_fmac_f32_e32 v2, v8, v2
	v_div_scale_f32 v8, vcc, v7, v3, v7
	v_mul_f32_e32 v9, v8, v2
	v_fma_f32 v10, -v1, v9, v8
	v_fmac_f32_e32 v9, v10, v2
	v_fma_f32 v1, -v1, v9, v8
	v_div_fmas_f32 v1, v1, v2, v9
	v_div_fixup_f32 v7, v1, v3, v7
	v_div_scale_f32 v1, s[52:53], v3, v3, v6
	v_rcp_f32_e32 v2, v1
	v_fma_f32 v8, -v1, v2, 1.0
	v_fmac_f32_e32 v2, v8, v2
	v_div_scale_f32 v8, vcc, v6, v3, v6
	v_mul_f32_e32 v9, v8, v2
	v_fma_f32 v10, -v1, v9, v8
	v_fmac_f32_e32 v9, v10, v2
	v_fma_f32 v1, -v1, v9, v8
	v_div_fmas_f32 v1, v1, v2, v9
	v_div_fixup_f32 v6, v1, v3, v6
	v_mov_b32_e32 v1, 0
	global_store_dwordx2 v[4:5], v[6:7], off offset:512
.LBB30_399:                             ;   in Loop: Header=BB30_14 Depth=1
	s_or_b64 exec, exec, s[74:75]
	v_cmp_gt_i32_e32 vcc, s11, v1
	s_mov_b64 s[74:75], -1
	s_and_saveexec_b64 s[76:77], vcc
; %bb.400:                              ;   in Loop: Header=BB30_14 Depth=1
	v_cmp_eq_u32_e32 vcc, 0, v1
	s_orn2_b64 s[74:75], vcc, exec
; %bb.401:                              ;   in Loop: Header=BB30_14 Depth=1
	s_or_b64 exec, exec, s[76:77]
	s_and_b64 exec, exec, s[74:75]
	s_cbranch_execz .LBB30_12
; %bb.402:                              ;   in Loop: Header=BB30_14 Depth=1
	v_accvgpr_read_b32 v1, a98
	v_add_u32_e32 v1, s78, v1
	v_cmp_gt_i32_e32 vcc, s28, v1
	s_and_b64 s[8:9], vcc, s[8:9]
	s_and_b64 exec, exec, s[8:9]
	s_cbranch_execz .LBB30_12
; %bb.403:                              ;   in Loop: Header=BB30_14 Depth=1
	v_accvgpr_read_b32 v2, a99
	v_accvgpr_read_b32 v4, a152
	v_add_u32_e32 v6, 0, v2
	v_mad_u64_u32 v[4:5], s[8:9], v1, s29, v[4:5]
	v_accvgpr_read_b32 v1, a100
	ds_read2_b32 v[2:3], v6 offset0:128 offset1:129
	ds_read_b32 v6, v6 offset:8960
	ds_read2st64_b32 v[8:9], v1 offset1:1
	ds_read_b32 v1, v1 offset:8448
	v_accvgpr_read_b32 v5, a21
	v_lshl_add_u32 v4, v4, 7, v5
	v_ashrrev_i32_e32 v5, 31, v4
	s_waitcnt lgkmcnt(1)
	v_cvt_f32_f16_sdwa v11, v8 dst_sel:DWORD dst_unused:UNUSED_PAD src0_sel:WORD_1
	v_cvt_f32_f16_e32 v10, v8
	s_waitcnt lgkmcnt(0)
	v_cvt_f32_f16_sdwa v13, v1 dst_sel:DWORD dst_unused:UNUSED_PAD src0_sel:WORD_1
	v_cvt_f32_f16_e32 v12, v1
	v_mov_b32_e32 v7, s10
	v_pk_fma_f32 v[10:11], v[2:3], v[10:11], 0 op_sel_hi:[0,1,0]
	v_lshlrev_b64 v[4:5], 3, v[4:5]
	v_pk_fma_f32 v[10:11], v[6:7], v[12:13], v[10:11] op_sel_hi:[0,1,1]
	v_add_co_u32_e32 v4, vcc, s51, v4
	v_div_scale_f32 v1, s[8:9], v3, v3, v11
	v_addc_co_u32_e32 v5, vcc, v7, v5, vcc
	v_rcp_f32_e32 v7, v1
	v_fma_f32 v8, -v1, v7, 1.0
	v_fmac_f32_e32 v7, v8, v7
	v_div_scale_f32 v8, vcc, v11, v3, v11
	v_mul_f32_e32 v12, v8, v7
	v_fma_f32 v13, -v1, v12, v8
	v_fmac_f32_e32 v12, v13, v7
	v_fma_f32 v1, -v1, v12, v8
	v_div_fmas_f32 v1, v1, v7, v12
	v_div_fixup_f32 v11, v1, v3, v11
	v_div_scale_f32 v1, s[8:9], v3, v3, v10
	v_rcp_f32_e32 v7, v1
	v_fma_f32 v8, -v1, v7, 1.0
	v_fmac_f32_e32 v7, v8, v7
	v_div_scale_f32 v8, vcc, v10, v3, v10
	v_mul_f32_e32 v12, v8, v7
	v_fma_f32 v13, -v1, v12, v8
	v_fmac_f32_e32 v12, v13, v7
	v_fma_f32 v1, -v1, v12, v8
	v_div_fmas_f32 v1, v1, v7, v12
	v_div_fixup_f32 v10, v1, v3, v10
	v_accvgpr_read_b32 v1, a101
	ds_read_b32 v1, v1 offset:8448
	global_store_dwordx2 v[4:5], v[10:11], off
	v_cvt_f32_f16_sdwa v11, v9 dst_sel:DWORD dst_unused:UNUSED_PAD src0_sel:WORD_1
	v_cvt_f32_f16_e32 v10, v9
	v_pk_fma_f32 v[8:9], v[2:3], v[10:11], 0 op_sel_hi:[0,1,0]
	s_waitcnt lgkmcnt(0)
	v_cvt_f32_f16_sdwa v11, v1 dst_sel:DWORD dst_unused:UNUSED_PAD src0_sel:WORD_1
	v_cvt_f32_f16_e32 v10, v1
	v_pk_fma_f32 v[6:7], v[6:7], v[10:11], v[8:9] op_sel_hi:[0,1,1]
	v_div_scale_f32 v1, s[8:9], v3, v3, v7
	v_rcp_f32_e32 v2, v1
	v_fma_f32 v8, -v1, v2, 1.0
	v_fmac_f32_e32 v2, v8, v2
	v_div_scale_f32 v8, vcc, v7, v3, v7
	v_mul_f32_e32 v9, v8, v2
	v_fma_f32 v10, -v1, v9, v8
	v_fmac_f32_e32 v9, v10, v2
	v_fma_f32 v1, -v1, v9, v8
	v_div_fmas_f32 v1, v1, v2, v9
	v_div_fixup_f32 v7, v1, v3, v7
	v_div_scale_f32 v1, s[8:9], v3, v3, v6
	v_rcp_f32_e32 v2, v1
	v_fma_f32 v8, -v1, v2, 1.0
	v_fmac_f32_e32 v2, v8, v2
	v_div_scale_f32 v8, vcc, v6, v3, v6
	v_mul_f32_e32 v9, v8, v2
	v_fma_f32 v10, -v1, v9, v8
	v_fmac_f32_e32 v9, v10, v2
	v_fma_f32 v1, -v1, v9, v8
	v_div_fmas_f32 v1, v1, v2, v9
	v_div_fixup_f32 v6, v1, v3, v6
	global_store_dwordx2 v[4:5], v[6:7], off offset:512
	s_branch .LBB30_12
.LBB30_404:
	v_readlane_b32 s51, v255, 13
	v_readlane_b32 s41, v255, 8
	;; [unrolled: 1-line block ×4, first 2 shown]
	v_accvgpr_read_b32 v65, a12
	v_accvgpr_read_b32 v36, a8
	;; [unrolled: 1-line block ×12, first 2 shown]
	v_readlane_b32 s11, v255, 15
	s_andn2_b64 vcc, exec, s[8:9]
	s_cbranch_vccnz .LBB30_10
.LBB30_405:
	v_readlane_b32 s6, v255, 3
	s_abs_i32 s0, s6
	v_cvt_f32_u32_e32 v0, s0
	s_sub_i32 s3, 0, s0
	s_abs_i32 s2, s54
	s_xor_b32 s1, s54, s6
	v_rcp_iflag_f32_e32 v0, v0
	s_ashr_i32 s1, s1, 31
	v_readlane_b32 s8, v255, 2
	v_readlane_b32 s9, v255, 1
	v_mul_f32_e32 v0, 0x4f7ffffe, v0
	v_cvt_u32_f32_e32 v0, v0
	v_mov_b32_e32 v32, s62
	v_readfirstlane_b32 s4, v0
	s_mul_i32 s3, s3, s4
	s_mul_hi_u32 s3, s4, s3
	s_add_i32 s4, s4, s3
	s_mul_hi_u32 s3, s2, s4
	s_mul_i32 s4, s3, s0
	s_sub_i32 s2, s2, s4
	s_add_i32 s5, s3, 1
	s_sub_i32 s4, s2, s0
	s_cmp_ge_u32 s2, s0
	s_cselect_b32 s3, s5, s3
	s_cselect_b32 s2, s4, s2
	s_add_i32 s4, s3, 1
	s_cmp_ge_u32 s2, s0
	s_cselect_b32 s0, s4, s3
	s_abs_i32 s2, s8
	v_cvt_f32_u32_e32 v0, s2
	s_xor_b32 s0, s0, s1
	s_sub_i32 s5, s0, s1
	s_sub_i32 s3, 0, s2
	v_rcp_iflag_f32_e32 v0, v0
	s_mul_i32 s0, s5, s6
	s_sub_i32 s0, s54, s0
	s_abs_i32 s4, s0
	v_mul_f32_e32 v0, 0x4f7ffffe, v0
	v_cvt_u32_f32_e32 v0, v0
	s_xor_b32 s1, s0, s8
	s_ashr_i32 s1, s1, 31
	v_readfirstlane_b32 s6, v0
	s_mul_i32 s3, s3, s6
	s_mul_hi_u32 s3, s6, s3
	s_add_i32 s6, s6, s3
	s_mul_hi_u32 s3, s4, s6
	s_mul_i32 s6, s3, s2
	s_sub_i32 s4, s4, s6
	s_add_i32 s7, s3, 1
	s_sub_i32 s6, s4, s2
	s_cmp_ge_u32 s4, s2
	s_cselect_b32 s3, s7, s3
	s_cselect_b32 s4, s6, s4
	s_add_i32 s6, s3, 1
	s_cmp_ge_u32 s4, s2
	s_cselect_b32 s2, s6, s3
	s_abs_i32 s3, s9
	v_cvt_f32_u32_e32 v0, s3
	s_xor_b32 s2, s2, s1
	s_sub_i32 s4, 0, s3
	s_sub_i32 s6, s2, s1
	v_rcp_iflag_f32_e32 v0, v0
	s_mul_i32 s1, s6, s8
	s_sub_i32 s1, s0, s1
	s_abs_i32 s2, s1
	v_mul_f32_e32 v0, 0x4f7ffffe, v0
	v_cvt_u32_f32_e32 v0, v0
	s_xor_b32 s0, s1, s9
	s_ashr_i32 s0, s0, 31
	v_readfirstlane_b32 s7, v0
	s_mul_i32 s4, s4, s7
	s_mul_hi_u32 s4, s7, s4
	s_add_i32 s7, s7, s4
	s_mul_hi_u32 s4, s2, s7
	s_mul_i32 s7, s4, s3
	s_sub_i32 s2, s2, s7
	s_add_i32 s8, s4, 1
	s_sub_i32 s7, s2, s3
	s_cmp_ge_u32 s2, s3
	s_cselect_b32 s4, s8, s4
	s_cselect_b32 s2, s7, s2
	s_add_i32 s7, s4, 1
	s_cmp_ge_u32 s2, s3
	s_cselect_b32 s2, s7, s4
	s_xor_b32 s2, s2, s0
	s_sub_i32 s0, s2, s0
	s_mul_i32 s2, s0, s9
	s_sub_i32 s1, s1, s2
	s_ashr_i32 s2, s1, 31
	s_abs_i32 s1, s1
	s_mul_hi_u32 s3, s1, s50
	s_mul_i32 s4, s3, s59
	s_sub_i32 s1, s1, s4
	s_xor_b32 s2, s2, s38
	s_add_i32 s4, s3, 1
	s_sub_i32 s7, s1, s59
	s_cmp_ge_u32 s1, s59
	s_cselect_b32 s3, s4, s3
	s_cselect_b32 s1, s7, s1
	s_add_i32 s4, s3, 1
	s_cmp_ge_u32 s1, s59
	s_cselect_b32 s1, s4, s3
	s_abs_i32 s7, s10
	v_cvt_f32_u32_e32 v0, s7
	s_xor_b32 s1, s1, s2
	s_sub_i32 s1, s1, s2
	s_cmp_eq_u64 s[22:23], 0
	v_rcp_iflag_f32_e32 v0, v0
	v_mul_f32_e32 v0, 0x4f7ffffe, v0
	v_cvt_u32_f32_e32 v0, v0
	v_readfirstlane_b32 s10, v0
	s_cbranch_scc1 .LBB30_407
; %bb.406:
	v_readlane_b32 s2, v255, 0
	s_mul_i32 s2, s5, s2
	s_add_i32 s2, s1, s2
	s_ashr_i32 s3, s2, 31
	s_lshl_b64 s[2:3], s[2:3], 2
	s_add_u32 s2, s22, s2
	s_addc_u32 s3, s23, s3
	v_mov_b32_e32 v0, 0
	global_load_dword v0, v0, s[2:3]
	s_waitcnt vmcnt(0)
	v_ashrrev_i32_e32 v1, 31, v0
	v_lshrrev_b32_e32 v1, 26, v1
	v_add_u32_e32 v0, v0, v1
	v_ashrrev_i32_e32 v0, 6, v0
	v_min_i32_e32 v32, s62, v0
.LBB30_407:
	v_readlane_b32 s8, v255, 4
	v_readlane_b32 s9, v255, 5
	s_mul_i32 s2, s6, s80
	s_lshl_b32 s0, s0, 1
	s_mul_i32 s3, s5, s9
	s_add_i32 s2, s0, s2
	s_ashr_i32 s4, s3, 31
	s_add_u32 s3, s12, s3
	s_mul_i32 s2, s2, s8
	s_addc_u32 s4, s13, s4
	s_ashr_i32 s9, s2, 31
	s_add_u32 s8, s3, s2
	s_addc_u32 s9, s4, s9
	s_lshl_b32 s4, s1, 4
	v_or_b32_e32 v1, s0, v77
	v_add_u32_e32 v0, s4, v65
	v_cmp_gt_i32_e64 s[0:1], s80, v1
	v_cmp_le_i32_e32 vcc, s28, v0
	s_xor_b64 s[0:1], s[0:1], -1
	v_and_b32_e32 v78, 0x3ff, v4
	s_or_b64 s[2:3], vcc, s[0:1]
	s_and_saveexec_b64 s[12:13], s[2:3]
	s_xor_b64 s[2:3], exec, s[12:13]
	s_cbranch_execz .LBB30_409
; %bb.408:
	s_movk_i32 s11, 0x84
	v_mad_u32_u24 v0, v36, s11, v78
	v_lshl_add_u32 v0, v0, 2, 0
	v_mov_b32_e32 v1, 0
	ds_write2st64_b32 v0, v1, v1 offset1:1
                                        ; implicit-def: $vgpr0
.LBB30_409:
	s_andn2_saveexec_b64 s[2:3], s[2:3]
	s_cbranch_execz .LBB30_411
; %bb.410:
	v_mul_lo_u32 v0, v0, s33
	v_mul_lo_u32 v1, v77, s52
	v_add3_u32 v0, v0, v1, v78
	v_ashrrev_i32_e32 v1, 31, v0
	v_lshlrev_b64 v[0:1], 3, v[0:1]
	v_mov_b32_e32 v2, s9
	v_add_co_u32_e32 v0, vcc, s8, v0
	v_addc_co_u32_e32 v1, vcc, v2, v1, vcc
	global_load_dwordx2 v[2:3], v[0:1], off
	global_load_dwordx2 v[4:5], v[0:1], off offset:512
	s_movk_i32 s11, 0x84
	s_waitcnt vmcnt(1)
	v_cvt_f16_f32_e32 v0, v2
	v_cvt_f16_f32_e32 v1, v3
	s_waitcnt vmcnt(0)
	v_cvt_f16_f32_e32 v2, v4
	v_cvt_f16_f32_e32 v3, v5
	v_mad_u32_u24 v4, v36, s11, v78
	v_pack_b32_f16 v0, v0, v1
	v_lshl_add_u32 v4, v4, 2, 0
	v_pack_b32_f16 v1, v2, v3
	v_accvgpr_read_b32 v2, a9
	v_pk_mul_f16 v0, v2, v0
	v_pk_mul_f16 v1, v2, v1
	ds_write2st64_b32 v4, v0, v1 offset1:1
.LBB30_411:
	s_or_b64 exec, exec, s[2:3]
	v_lshrrev_b32_e32 v0, 1, v85
	v_add_u32_e32 v0, s4, v0
	v_cmp_le_i32_e32 vcc, s28, v0
	s_or_b64 s[2:3], vcc, s[0:1]
	s_and_saveexec_b64 s[12:13], s[2:3]
	s_xor_b64 s[2:3], exec, s[12:13]
	s_cbranch_execz .LBB30_413
; %bb.412:
	s_movk_i32 s11, 0x84
	v_mad_u32_u24 v0, v85, s11, v78
	v_lshl_add_u32 v0, v0, 2, 0
	v_mov_b32_e32 v1, 0
	ds_write2st64_b32 v0, v1, v1 offset1:1
                                        ; implicit-def: $vgpr0
                                        ; implicit-def: $vgpr85
.LBB30_413:
	s_andn2_saveexec_b64 s[2:3], s[2:3]
	s_cbranch_execz .LBB30_415
; %bb.414:
	v_mul_lo_u32 v0, v0, s33
	v_mul_lo_u32 v1, v77, s52
	v_add3_u32 v0, v0, v1, v78
	v_ashrrev_i32_e32 v1, 31, v0
	v_lshlrev_b64 v[0:1], 3, v[0:1]
	v_mov_b32_e32 v2, s9
	v_add_co_u32_e32 v0, vcc, s8, v0
	v_addc_co_u32_e32 v1, vcc, v2, v1, vcc
	global_load_dwordx2 v[2:3], v[0:1], off
	global_load_dwordx2 v[4:5], v[0:1], off offset:512
	s_movk_i32 s11, 0x84
	s_waitcnt vmcnt(1)
	v_cvt_f16_f32_e32 v0, v2
	v_cvt_f16_f32_e32 v1, v3
	s_waitcnt vmcnt(0)
	v_cvt_f16_f32_e32 v2, v4
	v_cvt_f16_f32_e32 v3, v5
	v_mad_u32_u24 v4, v85, s11, v78
	v_pack_b32_f16 v0, v0, v1
	v_lshl_add_u32 v4, v4, 2, 0
	v_pack_b32_f16 v1, v2, v3
	v_accvgpr_read_b32 v2, a9
	v_pk_mul_f16 v0, v2, v0
	v_pk_mul_f16 v1, v2, v1
	ds_write2st64_b32 v4, v0, v1 offset1:1
.LBB30_415:
	s_or_b64 exec, exec, s[2:3]
	v_lshrrev_b32_e32 v0, 1, v84
	v_add_u32_e32 v0, s4, v0
	v_cmp_le_i32_e32 vcc, s28, v0
	s_or_b64 s[2:3], vcc, s[0:1]
	s_and_saveexec_b64 s[12:13], s[2:3]
	s_xor_b64 s[2:3], exec, s[12:13]
	s_cbranch_execz .LBB30_417
; %bb.416:
	s_movk_i32 s11, 0x84
	v_mad_u32_u24 v0, v84, s11, v78
	v_lshl_add_u32 v0, v0, 2, 0
	v_mov_b32_e32 v1, 0
	ds_write2st64_b32 v0, v1, v1 offset1:1
                                        ; implicit-def: $vgpr0
                                        ; implicit-def: $vgpr84
.LBB30_417:
	s_andn2_saveexec_b64 s[2:3], s[2:3]
	s_cbranch_execz .LBB30_419
; %bb.418:
	v_mul_lo_u32 v0, v0, s33
	v_mul_lo_u32 v1, v77, s52
	v_add3_u32 v0, v0, v1, v78
	v_ashrrev_i32_e32 v1, 31, v0
	v_lshlrev_b64 v[0:1], 3, v[0:1]
	v_mov_b32_e32 v2, s9
	v_add_co_u32_e32 v0, vcc, s8, v0
	v_addc_co_u32_e32 v1, vcc, v2, v1, vcc
	global_load_dwordx2 v[2:3], v[0:1], off
	global_load_dwordx2 v[4:5], v[0:1], off offset:512
	s_movk_i32 s11, 0x84
	s_waitcnt vmcnt(1)
	v_cvt_f16_f32_e32 v0, v2
	v_cvt_f16_f32_e32 v1, v3
	s_waitcnt vmcnt(0)
	v_cvt_f16_f32_e32 v2, v4
	v_cvt_f16_f32_e32 v3, v5
	v_mad_u32_u24 v4, v84, s11, v78
	v_pack_b32_f16 v0, v0, v1
	v_lshl_add_u32 v4, v4, 2, 0
	v_pack_b32_f16 v1, v2, v3
	v_accvgpr_read_b32 v2, a9
	v_pk_mul_f16 v0, v2, v0
	v_pk_mul_f16 v1, v2, v1
	ds_write2st64_b32 v4, v0, v1 offset1:1
.LBB30_419:
	s_or_b64 exec, exec, s[2:3]
	v_lshrrev_b32_e32 v0, 1, v83
	v_add_u32_e32 v0, s4, v0
	v_cmp_le_i32_e32 vcc, s28, v0
	s_or_b64 s[2:3], vcc, s[0:1]
	s_and_saveexec_b64 s[12:13], s[2:3]
	s_xor_b64 s[2:3], exec, s[12:13]
	s_cbranch_execz .LBB30_421
; %bb.420:
	s_movk_i32 s11, 0x84
	v_mad_u32_u24 v0, v83, s11, v78
	v_lshl_add_u32 v0, v0, 2, 0
	v_mov_b32_e32 v1, 0
	ds_write2st64_b32 v0, v1, v1 offset1:1
                                        ; implicit-def: $vgpr0
                                        ; implicit-def: $vgpr83
.LBB30_421:
	s_andn2_saveexec_b64 s[2:3], s[2:3]
	s_cbranch_execz .LBB30_423
; %bb.422:
	v_mul_lo_u32 v0, v0, s33
	v_mul_lo_u32 v1, v77, s52
	v_add3_u32 v0, v0, v1, v78
	v_ashrrev_i32_e32 v1, 31, v0
	v_lshlrev_b64 v[0:1], 3, v[0:1]
	v_mov_b32_e32 v2, s9
	v_add_co_u32_e32 v0, vcc, s8, v0
	v_addc_co_u32_e32 v1, vcc, v2, v1, vcc
	global_load_dwordx2 v[2:3], v[0:1], off
	global_load_dwordx2 v[4:5], v[0:1], off offset:512
	s_movk_i32 s11, 0x84
	s_waitcnt vmcnt(1)
	v_cvt_f16_f32_e32 v0, v2
	v_cvt_f16_f32_e32 v1, v3
	s_waitcnt vmcnt(0)
	v_cvt_f16_f32_e32 v2, v4
	v_cvt_f16_f32_e32 v3, v5
	v_mad_u32_u24 v4, v83, s11, v78
	v_pack_b32_f16 v0, v0, v1
	v_lshl_add_u32 v4, v4, 2, 0
	v_pack_b32_f16 v1, v2, v3
	v_accvgpr_read_b32 v2, a9
	v_pk_mul_f16 v0, v2, v0
	v_pk_mul_f16 v1, v2, v1
	ds_write2st64_b32 v4, v0, v1 offset1:1
.LBB30_423:
	s_or_b64 exec, exec, s[2:3]
	v_lshrrev_b32_e32 v0, 1, v82
	v_add_u32_e32 v0, s4, v0
	v_cmp_le_i32_e32 vcc, s28, v0
	s_or_b64 s[2:3], vcc, s[0:1]
	s_and_saveexec_b64 s[12:13], s[2:3]
	s_xor_b64 s[2:3], exec, s[12:13]
	s_cbranch_execz .LBB30_425
; %bb.424:
	s_movk_i32 s11, 0x84
	v_mad_u32_u24 v0, v82, s11, v78
	v_lshl_add_u32 v0, v0, 2, 0
	v_mov_b32_e32 v1, 0
	ds_write2st64_b32 v0, v1, v1 offset1:1
                                        ; implicit-def: $vgpr0
                                        ; implicit-def: $vgpr82
.LBB30_425:
	s_andn2_saveexec_b64 s[2:3], s[2:3]
	s_cbranch_execz .LBB30_427
; %bb.426:
	v_mul_lo_u32 v0, v0, s33
	v_mul_lo_u32 v1, v77, s52
	v_add3_u32 v0, v0, v1, v78
	v_ashrrev_i32_e32 v1, 31, v0
	v_lshlrev_b64 v[0:1], 3, v[0:1]
	v_mov_b32_e32 v2, s9
	v_add_co_u32_e32 v0, vcc, s8, v0
	v_addc_co_u32_e32 v1, vcc, v2, v1, vcc
	global_load_dwordx2 v[2:3], v[0:1], off
	global_load_dwordx2 v[4:5], v[0:1], off offset:512
	s_movk_i32 s11, 0x84
	s_waitcnt vmcnt(1)
	v_cvt_f16_f32_e32 v0, v2
	v_cvt_f16_f32_e32 v1, v3
	s_waitcnt vmcnt(0)
	v_cvt_f16_f32_e32 v2, v4
	v_cvt_f16_f32_e32 v3, v5
	v_mad_u32_u24 v4, v82, s11, v78
	v_pack_b32_f16 v0, v0, v1
	v_lshl_add_u32 v4, v4, 2, 0
	v_pack_b32_f16 v1, v2, v3
	v_accvgpr_read_b32 v2, a9
	v_pk_mul_f16 v0, v2, v0
	v_pk_mul_f16 v1, v2, v1
	ds_write2st64_b32 v4, v0, v1 offset1:1
.LBB30_427:
	s_or_b64 exec, exec, s[2:3]
	v_lshrrev_b32_e32 v0, 1, v81
	v_add_u32_e32 v0, s4, v0
	v_cmp_le_i32_e32 vcc, s28, v0
	s_sub_i32 s11, 0, s7
	s_or_b64 s[2:3], vcc, s[0:1]
	s_and_saveexec_b64 s[12:13], s[2:3]
	s_xor_b64 s[2:3], exec, s[12:13]
	s_cbranch_execz .LBB30_429
; %bb.428:
	s_movk_i32 s12, 0x84
	v_mad_u32_u24 v0, v81, s12, v78
	v_lshl_add_u32 v0, v0, 2, 0
	v_mov_b32_e32 v1, 0
	ds_write2st64_b32 v0, v1, v1 offset1:1
                                        ; implicit-def: $vgpr0
                                        ; implicit-def: $vgpr81
.LBB30_429:
	s_or_saveexec_b64 s[2:3], s[2:3]
	s_mul_i32 s11, s11, s10
	s_xor_b64 exec, exec, s[2:3]
	s_cbranch_execz .LBB30_431
; %bb.430:
	v_mul_lo_u32 v0, v0, s33
	v_mul_lo_u32 v1, v77, s52
	v_add3_u32 v0, v0, v1, v78
	v_ashrrev_i32_e32 v1, 31, v0
	v_lshlrev_b64 v[0:1], 3, v[0:1]
	v_mov_b32_e32 v2, s9
	v_add_co_u32_e32 v0, vcc, s8, v0
	v_addc_co_u32_e32 v1, vcc, v2, v1, vcc
	global_load_dwordx2 v[2:3], v[0:1], off
	global_load_dwordx2 v[4:5], v[0:1], off offset:512
	s_movk_i32 s12, 0x84
	s_waitcnt vmcnt(1)
	v_cvt_f16_f32_e32 v0, v2
	v_cvt_f16_f32_e32 v1, v3
	s_waitcnt vmcnt(0)
	v_cvt_f16_f32_e32 v2, v4
	v_cvt_f16_f32_e32 v3, v5
	v_mad_u32_u24 v4, v81, s12, v78
	v_pack_b32_f16 v0, v0, v1
	v_lshl_add_u32 v4, v4, 2, 0
	v_pack_b32_f16 v1, v2, v3
	v_accvgpr_read_b32 v2, a9
	v_pk_mul_f16 v0, v2, v0
	v_pk_mul_f16 v1, v2, v1
	ds_write2st64_b32 v4, v0, v1 offset1:1
.LBB30_431:
	s_or_b64 exec, exec, s[2:3]
	v_lshrrev_b32_e32 v0, 1, v80
	v_add_u32_e32 v0, s4, v0
	v_cmp_le_i32_e32 vcc, s28, v0
	s_mul_hi_u32 s12, s10, s11
	s_or_b64 s[2:3], vcc, s[0:1]
	s_and_saveexec_b64 s[20:21], s[2:3]
	s_xor_b64 s[2:3], exec, s[20:21]
	s_cbranch_execz .LBB30_433
; %bb.432:
	s_movk_i32 s11, 0x84
	v_mad_u32_u24 v0, v80, s11, v78
	v_lshl_add_u32 v0, v0, 2, 0
	v_mov_b32_e32 v1, 0
	ds_write2st64_b32 v0, v1, v1 offset1:1
                                        ; implicit-def: $vgpr0
                                        ; implicit-def: $vgpr80
.LBB30_433:
	s_or_saveexec_b64 s[2:3], s[2:3]
	s_abs_i32 s11, s5
	s_add_i32 s10, s10, s12
	s_xor_b64 exec, exec, s[2:3]
	s_cbranch_execz .LBB30_435
; %bb.434:
	v_mul_lo_u32 v0, v0, s33
	v_mul_lo_u32 v1, v77, s52
	v_add3_u32 v0, v0, v1, v78
	v_ashrrev_i32_e32 v1, 31, v0
	v_lshlrev_b64 v[0:1], 3, v[0:1]
	v_mov_b32_e32 v2, s9
	v_add_co_u32_e32 v0, vcc, s8, v0
	v_addc_co_u32_e32 v1, vcc, v2, v1, vcc
	global_load_dwordx2 v[2:3], v[0:1], off
	global_load_dwordx2 v[4:5], v[0:1], off offset:512
	s_movk_i32 s12, 0x84
	s_waitcnt vmcnt(1)
	v_cvt_f16_f32_e32 v0, v2
	v_cvt_f16_f32_e32 v1, v3
	s_waitcnt vmcnt(0)
	v_cvt_f16_f32_e32 v2, v4
	v_cvt_f16_f32_e32 v3, v5
	v_mad_u32_u24 v4, v80, s12, v78
	v_pack_b32_f16 v0, v0, v1
	v_lshl_add_u32 v4, v4, 2, 0
	v_pack_b32_f16 v1, v2, v3
	v_accvgpr_read_b32 v2, a9
	v_pk_mul_f16 v0, v2, v0
	v_pk_mul_f16 v1, v2, v1
	ds_write2st64_b32 v4, v0, v1 offset1:1
.LBB30_435:
	s_or_b64 exec, exec, s[2:3]
	v_lshrrev_b32_e32 v0, 1, v79
	v_add_u32_e32 v0, s4, v0
	v_cmp_le_i32_e32 vcc, s28, v0
	s_mul_hi_u32 s2, s11, s10
	s_or_b64 s[0:1], vcc, s[0:1]
	s_and_saveexec_b64 s[12:13], s[0:1]
	s_xor_b64 s[0:1], exec, s[12:13]
	s_cbranch_execz .LBB30_437
; %bb.436:
	s_movk_i32 s3, 0x84
	v_mad_u32_u24 v0, v79, s3, v78
	v_lshl_add_u32 v0, v0, 2, 0
	v_mov_b32_e32 v1, 0
	ds_write2st64_b32 v0, v1, v1 offset1:1
                                        ; implicit-def: $vgpr0
                                        ; implicit-def: $agpr9
                                        ; implicit-def: $vgpr79
.LBB30_437:
	s_or_saveexec_b64 s[0:1], s[0:1]
	s_ashr_i32 s3, s5, 31
	s_xor_b64 exec, exec, s[0:1]
	s_cbranch_execz .LBB30_439
; %bb.438:
	v_mul_lo_u32 v0, v0, s33
	v_mul_lo_u32 v1, v77, s52
	v_add3_u32 v0, v0, v1, v78
	v_ashrrev_i32_e32 v1, 31, v0
	v_lshlrev_b64 v[0:1], 3, v[0:1]
	v_mov_b32_e32 v2, s9
	v_add_co_u32_e32 v0, vcc, s8, v0
	v_addc_co_u32_e32 v1, vcc, v2, v1, vcc
	global_load_dwordx2 v[2:3], v[0:1], off
	global_load_dwordx2 v[4:5], v[0:1], off offset:512
	s_movk_i32 s8, 0x84
	s_waitcnt vmcnt(1)
	v_cvt_f16_f32_e32 v0, v2
	v_cvt_f16_f32_e32 v1, v3
	s_waitcnt vmcnt(0)
	v_cvt_f16_f32_e32 v2, v4
	v_cvt_f16_f32_e32 v3, v5
	v_mad_u32_u24 v4, v79, s8, v78
	v_pack_b32_f16 v0, v0, v1
	v_lshl_add_u32 v4, v4, 2, 0
	v_pack_b32_f16 v1, v2, v3
	v_accvgpr_read_b32 v2, a9
	v_pk_mul_f16 v0, v2, v0
	v_pk_mul_f16 v1, v2, v1
	ds_write2st64_b32 v4, v0, v1 offset1:1
.LBB30_439:
	s_or_b64 exec, exec, s[0:1]
	s_mul_i32 s0, s5, s37
	s_mul_hi_u32 s1, s5, s36
	s_add_i32 s0, s1, s0
	s_mul_i32 s1, s3, s36
	v_readlane_b32 s8, v255, 6
	s_add_i32 s0, s0, s1
	s_mul_i32 s1, s5, s36
	v_readlane_b32 s9, v255, 7
	s_add_u32 s1, s14, s1
	s_mul_i32 s8, s6, s9
	s_addc_u32 s0, s15, s0
	s_ashr_i32 s9, s8, 31
	s_add_u32 s8, s1, s8
	s_mul_i32 s2, s2, s7
	s_addc_u32 s9, s0, s9
	s_sub_i32 s0, s11, s2
	s_sub_i32 s1, s0, s7
	s_cmp_ge_u32 s0, s7
	s_cselect_b32 s0, s1, s0
	s_sub_i32 s1, s0, s7
	s_cmp_ge_u32 s0, s7
	s_cselect_b32 s0, s1, s0
	s_xor_b32 s0, s0, s3
	s_sub_i32 s0, s0, s3
	s_ashr_i32 s1, s0, 31
	s_mul_i32 s2, s0, s49
	s_mul_hi_u32 s7, s0, s48
	s_add_i32 s2, s7, s2
	s_mul_i32 s1, s1, s48
	s_add_i32 s2, s2, s1
	s_mul_i32 s0, s0, s48
	s_add_u32 s10, s18, s0
	s_mul_i32 s0, s5, s47
	s_mul_hi_u32 s1, s5, s46
	s_addc_u32 s11, s19, s2
	s_add_i32 s0, s1, s0
	s_mul_i32 s3, s3, s46
	s_add_i32 s0, s0, s3
	s_mul_i32 s5, s5, s46
	s_add_u32 s1, s16, s5
	s_mul_i32 s6, s6, s39
	s_addc_u32 s0, s17, s0
	s_ashr_i32 s2, s6, 31
	s_add_u32 s6, s1, s6
	v_lshrrev_b32_e32 v1, 3, v78
	s_addc_u32 s7, s0, s2
	v_and_b32_e32 v34, 0x1ff0, v25
	s_movk_i32 s0, 0x210
	v_and_b32_e32 v79, 15, v78
	v_and_b32_e32 v33, 0x7e, v1
	v_mad_u32_u24 v0, v34, s0, 0
	v_mul_u32_u24_e32 v2, 0x210, v79
	v_lshlrev_b32_e32 v1, 2, v33
	v_add3_u32 v0, v0, v2, v1
	s_waitcnt lgkmcnt(0)
	s_barrier
	v_accvgpr_write_b32 a8, v2
	v_accvgpr_write_b32 a9, v1
	ds_read2_b64 v[28:31], v0 offset1:4
	ds_read2_b64 v[24:27], v0 offset0:8 offset1:12
	ds_read2_b64 v[20:23], v0 offset0:16 offset1:20
	;; [unrolled: 1-line block ×7, first 2 shown]
	v_add_u32_e32 v138, -1, v32
	v_cmp_lt_i32_e32 vcc, s76, v138
	v_lshlrev_b32_e32 v32, 1, v78
	s_mov_b32 s5, 0
	v_and_b32_e32 v35, 62, v32
	s_and_b64 vcc, exec, vcc
	v_mov_b32_e32 v41, 0
	v_accvgpr_write_b32 a64, v33
	s_waitcnt lgkmcnt(0)
	s_barrier
	s_cbranch_vccnz .LBB30_442
; %bb.440:
	v_lshrrev_b32_e32 v32, 5, v78
	v_lshl_add_u32 v84, v36, 1, v32
	v_add_u32_e32 v32, s4, v84
	v_mul_hi_u32 v33, s42, v32
	v_add_u32_e32 v33, v32, v33
	v_lshrrev_b32_e32 v33, s43, v33
	v_mul_lo_u32 v33, v33, s28
	v_sub_u32_e32 v32, v32, v33
	v_add_u32_e32 v85, 8, v84
	v_mad_i64_i32 v[42:43], s[2:3], v32, s44, 0
	v_add_u32_e32 v32, s4, v85
	v_mul_hi_u32 v33, s42, v32
	v_add_u32_e32 v33, v32, v33
	v_lshrrev_b32_e32 v33, s43, v33
	v_mul_lo_u32 v33, v33, s28
	v_sub_u32_e32 v32, v32, v33
	v_mad_i64_i32 v[44:45], s[2:3], v32, s44, 0
	v_lshlrev_b32_e32 v32, 2, v78
	v_and_b32_e32 v40, 0x7c, v32
	v_mov_b32_e32 v32, 0x1080
	v_mad_u32_u24 v254, v84, s0, v32
	v_add_u32_e32 v32, 16, v84
	v_mul_lo_u32 v46, s40, v84
	s_lshl_b32 s2, s40, 3
	v_accvgpr_write_b32 a17, v32
	v_mov_b32_e32 v32, 0x2100
	v_add_u32_e32 v48, s2, v46
	v_mad_u32_u24 v80, v84, s0, v32
	v_add_u32_e32 v32, 24, v84
	v_add_u32_e32 v50, s2, v48
	v_accvgpr_write_b32 a18, v32
	v_mov_b32_e32 v32, 0x3180
	v_mad_u32_u24 v95, v84, s0, v32
	v_add_u32_e32 v52, s2, v50
	v_add_u32_e32 v32, 32, v84
	v_accvgpr_write_b32 a19, v32
	v_mov_b32_e32 v32, 0x4200
	v_add_u32_e32 v54, s2, v52
	v_mad_u32_u24 v96, v84, s0, v32
	v_mov_b32_e32 v32, 0x5280
	v_add_u32_e32 v56, s2, v54
	v_mad_u32_u24 v118, v84, s0, v32
	v_mov_b32_e32 v32, 0x6300
	v_add_u32_e32 v58, s2, v56
	v_lshlrev_b32_e32 v81, 4, v36
	s_movk_i32 s1, 0x90
	v_mov_b32_e32 v33, 0x480
	v_mad_u32_u24 v119, v84, s0, v32
	v_mov_b32_e32 v32, 0x7380
	v_add_u32_e32 v60, s2, v58
	v_and_b32_e32 v94, 16, v81
	v_mul_u32_u24_e32 v105, 0x90, v84
	v_mad_u32_u24 v106, v84, s1, v33
	s_ashr_i32 s1, s40, 31
	v_mul_u32_u24_e32 v109, 0x210, v84
	v_ashrrev_i32_e32 v47, 31, v46
	v_ashrrev_i32_e32 v49, 31, v48
	;; [unrolled: 1-line block ×5, first 2 shown]
	v_add_u32_e32 v101, 40, v84
	v_ashrrev_i32_e32 v57, 31, v56
	v_add_u32_e32 v102, 48, v84
	v_ashrrev_i32_e32 v59, 31, v58
	v_add_u32_e32 v92, 56, v84
	v_mad_u32_u24 v120, v84, s0, v32
	v_ashrrev_i32_e32 v61, 31, v60
	v_accvgpr_write_b32 a13, v36
	v_mul_u32_u24_e32 v122, 0x210, v94
	s_mov_b64 s[2:3], 0
	s_mov_b32 s13, 0xfeffffff
	s_mov_b32 s12, 0
	s_branch .LBB30_443
.LBB30_441:
                                        ; implicit-def: $sgpr58_sgpr59
	s_load_dwordx2 s[42:43], s[4:5], 0x5c
	s_branch .LBB30_7
.LBB30_442:
	v_accvgpr_write_b32 a13, v36
	s_mov_b64 s[2:3], -1
                                        ; implicit-def: $sgpr12
                                        ; implicit-def: $sgpr5
                                        ; implicit-def: $sgpr13
                                        ; implicit-def: $vgpr84
                                        ; implicit-def: $vgpr105
                                        ; implicit-def: $vgpr42_vgpr43
                                        ; implicit-def: $vgpr85
                                        ; implicit-def: $vgpr106
                                        ; implicit-def: $vgpr44_vgpr45
                                        ; implicit-def: $vgpr109
                                        ; implicit-def: $vgpr40
                                        ; implicit-def: $vgpr46_vgpr47
                                        ; implicit-def: $vgpr254
                                        ; implicit-def: $vgpr48_vgpr49
                                        ; implicit-def: $agpr17
                                        ; implicit-def: $vgpr80
                                        ; implicit-def: $vgpr50_vgpr51
                                        ; implicit-def: $agpr18
                                        ; implicit-def: $vgpr95
                                        ; implicit-def: $vgpr52_vgpr53
                                        ; implicit-def: $agpr19
                                        ; implicit-def: $vgpr96
                                        ; implicit-def: $vgpr54_vgpr55
                                        ; implicit-def: $vgpr101
                                        ; implicit-def: $vgpr118
                                        ; implicit-def: $vgpr56_vgpr57
                                        ; implicit-def: $vgpr102
                                        ; implicit-def: $vgpr119
                                        ; implicit-def: $vgpr58_vgpr59
                                        ; implicit-def: $vgpr92
                                        ; implicit-def: $vgpr120
                                        ; implicit-def: $vgpr60_vgpr61
                                        ; implicit-def: $vgpr81
                                        ; implicit-def: $vgpr94
                                        ; implicit-def: $vgpr122
                                        ; implicit-def: $sgpr0_sgpr1
.LBB30_443:
	v_and_or_b32 v34, v78, 14, v34
	v_accvgpr_write_b32 a21, v34
	v_mbcnt_lo_u32_b32 v34, -1, 0
	v_lshlrev_b32_e32 v136, 1, v35
	v_lshrrev_b32_e32 v35, 2, v78
	v_accvgpr_write_b32 a20, v34
	v_accvgpr_read_b32 v34, a14
	s_andn2_b64 vcc, exec, s[2:3]
	v_mov_b32_e32 v135, s12
	v_mov_b32_e32 v33, s5
	;; [unrolled: 1-line block ×3, first 2 shown]
	v_accvgpr_write_b32 a16, v35
	v_and_b32_e32 v83, 8, v34
	v_lshlrev_b32_e32 v82, 1, v79
	v_mov_b32_e32 v137, s12
	v_mov_b32_e32 v93, s12
	v_mov_b32_e32 v139, s12
	v_mov_b32_e32 v97, s12
	v_mov_b32_e32 v98, s12
	v_mov_b32_e32 v99, s12
	v_mov_b32_e32 v100, s12
	v_mov_b32_e32 v103, s12
	v_mov_b32_e32 v104, s12
	v_mov_b32_e32 v107, s12
	v_mov_b32_e32 v108, s12
	v_mov_b32_e32 v114, s12
	v_mov_b32_e32 v116, s12
	v_mov_b32_e32 v131, s12
	v_mov_b32_e32 v132, s12
	v_mov_b32_e32 v127, s12
	v_mov_b32_e32 v129, s12
	v_mov_b32_e32 v123, s12
	v_mov_b32_e32 v124, s12
	v_mov_b32_e32 v128, s12
	v_mov_b32_e32 v130, s12
	v_mov_b32_e32 v125, s12
	v_mov_b32_e32 v126, s12
	v_mov_b32_e32 v133, s12
	v_mov_b32_e32 v134, s12
	v_mov_b32_e32 v203, s12
	v_mov_b32_e32 v205, s12
	v_mov_b32_e32 v243, s12
	v_mov_b32_e32 v244, s12
	v_mov_b32_e32 v117, s12
	v_mov_b32_e32 v121, s12
	s_cbranch_vccnz .LBB30_479
; %bb.444:
	v_mov_b32_e32 v32, s11
	v_add_co_u32_e32 v140, vcc, s10, v136
	v_addc_co_u32_e32 v141, vcc, 0, v32, vcc
	v_lshrrev_b32_e32 v32, 5, v78
	v_accvgpr_read_b32 v34, a13
	v_lshl_add_u32 v84, v34, 1, v32
	v_add_u32_e32 v32, s4, v84
	v_mul_hi_u32 v33, s42, v32
	v_add_u32_e32 v33, v32, v33
	v_lshrrev_b32_e32 v33, s43, v33
	v_mul_lo_u32 v33, v33, s28
	v_sub_u32_e32 v32, v32, v33
	v_add_u32_e32 v85, 8, v84
	v_mad_i64_i32 v[42:43], s[0:1], v32, s44, 0
	v_add_u32_e32 v32, s4, v85
	v_mul_hi_u32 v33, s42, v32
	v_add_u32_e32 v33, v32, v33
	v_lshrrev_b32_e32 v33, s43, v33
	v_mul_lo_u32 v33, v33, s28
	v_sub_u32_e32 v32, v32, v33
	v_mad_i64_i32 v[44:45], s[0:1], v32, s44, 0
	v_lshlrev_b32_e32 v32, 2, v78
	v_and_b32_e32 v40, 0x7c, v32
	v_mul_u32_u24_e32 v109, 0x210, v84
	v_lshlrev_b32_e32 v32, 2, v40
	s_movk_i32 s0, 0x210
	v_add3_u32 v142, 0, v109, v32
	v_mov_b32_e32 v32, 0x1080
	v_mad_u32_u24 v254, v84, s0, v32
	v_add_u32_e32 v32, 16, v84
	v_accvgpr_write_b32 a17, v32
	v_mov_b32_e32 v32, 0x2100
	v_mad_u32_u24 v80, v84, s0, v32
	v_add_u32_e32 v32, 24, v84
	v_accvgpr_write_b32 a18, v32
	;; [unrolled: 4-line block ×3, first 2 shown]
	v_mov_b32_e32 v32, 0x4200
	v_mad_u32_u24 v96, v84, s0, v32
	v_mov_b32_e32 v32, 0x5280
	v_mad_u32_u24 v118, v84, s0, v32
	v_mov_b32_e32 v32, 0x6300
	s_movk_i32 s3, 0x90
	v_mov_b32_e32 v33, 0x480
	v_mad_u32_u24 v119, v84, s0, v32
	v_mov_b32_e32 v32, 0x7380
	v_mad_u32_u24 v106, v84, s3, v33
	v_mad_u32_u24 v120, v84, s0, v32
	v_accvgpr_read_b32 v32, a8
	v_accvgpr_read_b32 v33, a9
	v_lshlrev_b32_e32 v81, 4, v34
	v_add3_u32 v63, 0, v32, v33
	v_accvgpr_read_b32 v68, a16
	v_accvgpr_read_b32 v33, a21
	v_and_b32_e32 v94, 16, v81
	v_and_b32_e32 v64, 0xfc, v68
	v_lshrrev_b32_e32 v33, 1, v33
	v_add_u32_e32 v32, v64, v94
	v_mad_u32_u24 v33, v33, s3, 0
	v_lshl_add_u32 v32, v32, 1, v33
	v_add_u16_e32 v34, v64, v94
	v_add_u32_e32 v150, 64, v32
	v_add_u32_e32 v151, 0x44, v32
	v_accvgpr_read_b32 v32, a20
	v_lshrrev_b16_e32 v34, 1, v34
	v_mbcnt_hi_u32_b32 v32, -1, v32
	v_lshl_add_u32 v65, v34, 2, v33
	v_and_b32_e32 v33, 64, v32
	v_add_u32_e32 v33, 64, v33
	v_xor_b32_e32 v34, 32, v32
	v_cmp_lt_i32_e32 vcc, v34, v33
	v_cndmask_b32_e32 v34, v32, v34, vcc
	v_lshlrev_b32_e32 v152, 2, v34
	v_xor_b32_e32 v34, 16, v32
	v_cmp_lt_i32_e32 vcc, v34, v33
	v_cndmask_b32_e32 v32, v32, v34, vcc
	v_lshlrev_b32_e32 v153, 2, v32
	v_mul_lo_u32 v32, s30, v84
	s_lshl_b32 s3, s30, 3
	v_add_u32_e32 v34, s3, v32
	v_add_u32_e32 v36, s3, v34
	v_mul_lo_u32 v46, s40, v84
	s_lshl_b32 s4, s40, 3
	v_add_u32_e32 v38, s3, v36
	v_add_u32_e32 v48, s4, v46
	;; [unrolled: 1-line block ×9, first 2 shown]
	v_mul_u32_u24_e32 v66, 0x108, v64
	s_movk_i32 s3, 0x420
	v_add_u32_e32 v56, s4, v54
	v_or_b32_e32 v66, v66, v79
	v_mul_u32_u24_e32 v67, 0x210, v64
	v_or_b32_e32 v68, 3, v68
	v_mul_u32_u24_e32 v69, 0x420, v83
	v_mad_u32_u24 v86, v83, s3, 0
	v_add_u32_e32 v58, s4, v56
	v_mul_u32_u24_e32 v68, 0x210, v68
	v_lshlrev_b32_e32 v66, 1, v66
	v_add3_u32 v155, v86, v67, v82
	v_add3_u32 v67, 0, 32, v69
	v_add_u32_e32 v60, s4, v58
	v_add_u32_e32 v154, v86, v66
	v_add3_u32 v156, v86, v68, v82
	v_add_u32_e32 v159, v67, v66
	v_mad_u32_u24 v86, v64, s0, v67
	v_add3_u32 v162, v67, v68, v82
	v_add3_u32 v67, 0, 64, v69
	s_add_i32 s4, 0, 0x60
	v_add_u32_e32 v164, v67, v66
	v_mad_u32_u24 v69, v64, s0, v67
	v_add3_u32 v167, v67, v68, v82
	v_mov_b32_e32 v67, s4
	s_movk_i32 s2, 0x4200
	v_mad_u32_u24 v67, v83, s3, v67
	s_add_i32 s4, 0, 0x80
	v_add3_u32 v165, v69, v82, s2
	v_add_u32_e32 v169, v67, v66
	v_mad_u32_u24 v69, v64, s0, v67
	v_add3_u32 v172, v67, v68, v82
	v_mov_b32_e32 v67, s4
	v_mad_u32_u24 v67, v83, s3, v67
	s_add_i32 s4, 0, 0xa0
	v_add3_u32 v170, v69, v82, s2
	v_add_u32_e32 v174, v67, v66
	v_mad_u32_u24 v69, v64, s0, v67
	v_add3_u32 v177, v67, v68, v82
	v_mov_b32_e32 v67, s4
	;; [unrolled: 7-line block ×12, first 2 shown]
	v_mad_u32_u24 v67, v83, s3, v67
	v_add_u32_e32 v62, 0, v136
	v_mov_b32_e32 v41, 0
	v_mul_u32_u24_e32 v105, 0x90, v84
	v_mul_u32_u24_e32 v122, 0x210, v94
	v_ashrrev_i32_e32 v33, 31, v32
	v_ashrrev_i32_e32 v35, 31, v34
	;; [unrolled: 1-line block ×8, first 2 shown]
	v_add_u32_e32 v231, v67, v66
	v_mad_u32_u24 v64, v64, s0, v67
	s_ashr_i32 s1, s40, 31
	v_ashrrev_i32_e32 v47, 31, v46
	v_add_u32_e32 v143, 0x1080, v142
	v_ashrrev_i32_e32 v49, 31, v48
	v_add_u32_e32 v144, 0x2100, v142
	;; [unrolled: 2-line block ×5, first 2 shown]
	v_add_u32_e32 v147, 0x5280, v142
	v_ashrrev_i32_e32 v57, 31, v56
	v_add_u32_e32 v102, 48, v84
	v_add_u32_e32 v148, 0x6300, v142
	v_ashrrev_i32_e32 v59, 31, v58
	v_add_u32_e32 v92, 56, v84
	;; [unrolled: 3-line block ×3, first 2 shown]
	v_add_u32_e32 v158, 32, v155
	v_add3_u32 v160, v86, v82, s2
	v_add_u32_e32 v161, 0x4200, v159
	v_add_u32_e32 v163, 64, v155
	;; [unrolled: 1-line block ×26, first 2 shown]
	v_add3_u32 v227, v69, v82, s2
	v_add_u32_e32 v228, 0x4200, v226
	v_add_u32_e32 v230, 0x1e0, v155
	v_add3_u32 v232, v64, v82, s2
	v_add_u32_e32 v233, 0x4200, v231
	v_add3_u32 v234, v67, v68, v82
	s_mov_b32 s35, s34
	s_lshl_b32 s2, s76, 6
	v_mov_b32_e32 v115, 0xfeffffff
	v_add_u32_e32 v235, v62, v105
	v_lshlrev_b32_e32 v236, 2, v40
	v_add_u32_e32 v237, v63, v122
	s_mov_b32 s0, 0x3f200000
	s_mov_b32 s12, 0x3fb8aa3b
	;; [unrolled: 1-line block ×4, first 2 shown]
	v_mov_b32_e32 v238, 0xbd5c1c4e
	v_mov_b32_e32 v239, 0x3e088382
	;; [unrolled: 1-line block ×3, first 2 shown]
	s_brev_b32 s15, -2
	v_add_u32_e32 v241, 0x8400, v65
	s_mov_b32 s16, 0xc1a00000
	v_lshlrev_b64 v[62:63], 2, v[32:33]
	v_lshlrev_b64 v[64:65], 2, v[34:35]
	;; [unrolled: 1-line block ×8, first 2 shown]
	s_mov_b32 s17, 0x5040100
	v_mov_b32_e32 v242, 0x7f800000
	v_mov_b32_e32 v245, v41
	;; [unrolled: 1-line block ×34, first 2 shown]
.LBB30_445:                             ; =>This Inner Loop Header: Depth=1
	s_ashr_i32 s3, s2, 31
	s_lshl_b64 s[4:5], s[2:3], 1
	v_add_co_u32_e32 v34, vcc, s4, v140
	v_mov_b32_e32 v32, s5
	v_addc_co_u32_e32 v35, vcc, v141, v32, vcc
	v_lshlrev_b64 v[32:33], 1, v[42:43]
	v_add_co_u32_e32 v32, vcc, v34, v32
	v_addc_co_u32_e32 v33, vcc, v35, v33, vcc
	global_load_dword v32, v[32:33], off
	s_mul_hi_i32 s5, s2, s40
	s_mul_i32 s4, s2, s40
	s_lshl_b64 s[4:5], s[4:5], 2
	s_add_u32 s3, s8, s4
	s_addc_u32 s4, s9, s5
	v_add_u32_e32 v36, 0x4000, v237
                                        ; implicit-def: $vgpr246
	s_waitcnt vmcnt(0)
	ds_write_b32 v235, v32 offset:33792
	v_lshlrev_b64 v[32:33], 1, v[44:45]
	v_add_co_u32_e32 v32, vcc, v34, v32
	v_addc_co_u32_e32 v33, vcc, v35, v33, vcc
	global_load_dword v32, v[32:33], off
	v_mov_b32_e32 v34, s4
	s_waitcnt vmcnt(0)
	ds_write_b32 v235, v32 offset:34944
	v_lshlrev_b64 v[32:33], 2, v[46:47]
	v_add_co_u32_e32 v32, vcc, s3, v32
	v_addc_co_u32_e32 v33, vcc, v34, v33, vcc
	v_add_co_u32_e32 v32, vcc, v32, v236
	v_addc_co_u32_e32 v33, vcc, 0, v33, vcc
	global_load_dwordx4 v[32:35], v[32:33], off
	s_waitcnt vmcnt(0)
	ds_write_b128 v142, v[32:35]
	v_lshlrev_b64 v[32:33], 2, v[48:49]
	v_add_co_u32_e32 v32, vcc, s3, v32
	v_mov_b32_e32 v34, s4
	v_addc_co_u32_e32 v33, vcc, v34, v33, vcc
	v_add_co_u32_e32 v32, vcc, v32, v236
	v_addc_co_u32_e32 v33, vcc, 0, v33, vcc
	global_load_dwordx4 v[32:35], v[32:33], off
	s_waitcnt vmcnt(0)
	ds_write_b128 v143, v[32:35]
	v_lshlrev_b64 v[32:33], 2, v[50:51]
	v_add_co_u32_e32 v32, vcc, s3, v32
	v_mov_b32_e32 v34, s4
	;; [unrolled: 9-line block ×7, first 2 shown]
	v_addc_co_u32_e32 v33, vcc, v34, v33, vcc
	v_add_co_u32_e32 v32, vcc, v32, v236
	v_addc_co_u32_e32 v33, vcc, 0, v33, vcc
	global_load_dwordx4 v[32:35], v[32:33], off
	s_waitcnt vmcnt(0)
	ds_write_b128 v149, v[32:35]
	s_waitcnt lgkmcnt(0)
	s_barrier
	ds_read2_b64 v[32:35], v237 offset1:4
	s_waitcnt lgkmcnt(0)
	v_mfma_f32_16x16x16f16 a[0:3], v[32:33], v[28:29], 0
	v_mfma_f32_16x16x16f16 a[0:3], v[34:35], v[30:31], a[0:3]
	ds_read2_b64 v[32:35], v237 offset0:8 offset1:12
	s_waitcnt lgkmcnt(0)
	v_mfma_f32_16x16x16f16 a[0:3], v[32:33], v[24:25], a[0:3]
	v_mfma_f32_16x16x16f16 a[0:3], v[34:35], v[26:27], a[0:3]
	ds_read2_b64 v[32:35], v237 offset0:16 offset1:20
	;; [unrolled: 4-line block ×15, first 2 shown]
	s_waitcnt lgkmcnt(0)
	s_barrier
	v_mfma_f32_16x16x16f16 a[0:3], v[32:33], v[0:1], a[0:3]
	v_accvgpr_read_b32 v32, a4
	v_cmp_nlt_f32_e64 s[4:5], |v32|, s0
	v_mfma_f32_16x16x16f16 a[0:3], v[34:35], v[2:3], a[0:3]
	s_and_saveexec_b64 s[18:19], s[4:5]
	s_xor_b64 s[4:5], exec, s[18:19]
	s_cbranch_execz .LBB30_447
; %bb.446:                              ;   in Loop: Header=BB30_445 Depth=1
	v_add_f32_e64 v32, |v32|, |v32|
	v_mul_f32_e32 v33, 0x3fb8aa3b, v32
	v_rndne_f32_e32 v34, v33
	v_sub_f32_e32 v35, v33, v34
	v_fma_f32 v33, v32, s12, -v33
	v_fmac_f32_e32 v33, 0x32a5705f, v32
	v_add_f32_e32 v33, v35, v33
	v_cvt_i32_f32_e32 v34, v34
	v_exp_f32_e32 v33, v33
	v_cmp_ngt_f32_e32 vcc, s13, v32
	v_ldexp_f32 v33, v33, v34
	v_cndmask_b32_e32 v33, 0, v33, vcc
	v_cmp_nlt_f32_e32 vcc, s14, v32
	v_cndmask_b32_e32 v32, v242, v33, vcc
	v_add_f32_e32 v32, 1.0, v32
	v_rcp_f32_e32 v32, v32
	v_fma_f32 v246, v32, -2.0, 1.0
                                        ; implicit-def: $vgpr32
.LBB30_447:                             ;   in Loop: Header=BB30_445 Depth=1
	s_andn2_saveexec_b64 s[4:5], s[4:5]
; %bb.448:                              ;   in Loop: Header=BB30_445 Depth=1
	v_mul_f32_e32 v33, v32, v32
	v_mov_b32_e32 v34, 0x3ca908c9
	v_fmac_f32_e32 v34, 0xbbbac73d, v33
	v_fma_f32 v34, v33, v34, v238
	v_fma_f32 v34, v33, v34, v239
	;; [unrolled: 1-line block ×3, first 2 shown]
	v_mul_f32_e64 v34, |v32|, v34
	v_fma_f32 v246, v33, v34, |v32|
; %bb.449:                              ;   in Loop: Header=BB30_445 Depth=1
	s_or_b64 exec, exec, s[4:5]
	v_accvgpr_read_b32 v35, a7
	v_accvgpr_read_b32 v33, a5
	;; [unrolled: 1-line block ×4, first 2 shown]
	v_cmp_nlt_f32_e64 s[4:5], |v33|, s0
                                        ; implicit-def: $vgpr247
	s_and_saveexec_b64 s[18:19], s[4:5]
	s_xor_b64 s[4:5], exec, s[18:19]
	s_cbranch_execz .LBB30_451
; %bb.450:                              ;   in Loop: Header=BB30_445 Depth=1
	v_add_f32_e64 v36, |v33|, |v33|
	v_mul_f32_e32 v37, 0x3fb8aa3b, v36
	v_rndne_f32_e32 v38, v37
	v_sub_f32_e32 v39, v37, v38
	v_fma_f32 v37, v36, s12, -v37
	v_fmac_f32_e32 v37, 0x32a5705f, v36
	v_add_f32_e32 v37, v39, v37
	v_cvt_i32_f32_e32 v38, v38
	v_exp_f32_e32 v37, v37
	v_cmp_ngt_f32_e32 vcc, s13, v36
	v_ldexp_f32 v37, v37, v38
	v_cndmask_b32_e32 v37, 0, v37, vcc
	v_cmp_nlt_f32_e32 vcc, s14, v36
	v_cndmask_b32_e32 v36, v242, v37, vcc
	v_add_f32_e32 v36, 1.0, v36
	v_rcp_f32_e32 v36, v36
	v_fma_f32 v247, v36, -2.0, 1.0
.LBB30_451:                             ;   in Loop: Header=BB30_445 Depth=1
	s_andn2_saveexec_b64 s[4:5], s[4:5]
; %bb.452:                              ;   in Loop: Header=BB30_445 Depth=1
	v_mul_f32_e32 v36, v33, v33
	v_mov_b32_e32 v37, 0x3ca908c9
	v_fmac_f32_e32 v37, 0xbbbac73d, v36
	v_fma_f32 v37, v36, v37, v238
	v_fma_f32 v37, v36, v37, v239
	;; [unrolled: 1-line block ×3, first 2 shown]
	v_mul_f32_e64 v37, |v33|, v37
	v_fma_f32 v247, v36, v37, |v33|
; %bb.453:                              ;   in Loop: Header=BB30_445 Depth=1
	s_or_b64 exec, exec, s[4:5]
	v_cmp_nlt_f32_e64 s[4:5], |v34|, s0
                                        ; implicit-def: $vgpr248
	s_and_saveexec_b64 s[18:19], s[4:5]
	s_xor_b64 s[4:5], exec, s[18:19]
	s_cbranch_execz .LBB30_455
; %bb.454:                              ;   in Loop: Header=BB30_445 Depth=1
	v_add_f32_e64 v36, |v34|, |v34|
	v_mul_f32_e32 v37, 0x3fb8aa3b, v36
	v_rndne_f32_e32 v38, v37
	v_sub_f32_e32 v39, v37, v38
	v_fma_f32 v37, v36, s12, -v37
	v_fmac_f32_e32 v37, 0x32a5705f, v36
	v_add_f32_e32 v37, v39, v37
	v_cvt_i32_f32_e32 v38, v38
	v_exp_f32_e32 v37, v37
	v_cmp_ngt_f32_e32 vcc, s13, v36
	v_ldexp_f32 v37, v37, v38
	v_cndmask_b32_e32 v37, 0, v37, vcc
	v_cmp_nlt_f32_e32 vcc, s14, v36
	v_cndmask_b32_e32 v36, v242, v37, vcc
	v_add_f32_e32 v36, 1.0, v36
	v_rcp_f32_e32 v36, v36
	v_fma_f32 v248, v36, -2.0, 1.0
.LBB30_455:                             ;   in Loop: Header=BB30_445 Depth=1
	s_andn2_saveexec_b64 s[4:5], s[4:5]
; %bb.456:                              ;   in Loop: Header=BB30_445 Depth=1
	v_mul_f32_e32 v36, v34, v34
	v_mov_b32_e32 v37, 0x3ca908c9
	v_fmac_f32_e32 v37, 0xbbbac73d, v36
	v_fma_f32 v37, v36, v37, v238
	v_fma_f32 v37, v36, v37, v239
	;; [unrolled: 1-line block ×3, first 2 shown]
	v_mul_f32_e64 v37, |v34|, v37
	v_fma_f32 v248, v36, v37, |v34|
; %bb.457:                              ;   in Loop: Header=BB30_445 Depth=1
	s_or_b64 exec, exec, s[4:5]
	v_cmp_nlt_f32_e64 s[4:5], |v35|, s0
                                        ; implicit-def: $vgpr249
	s_and_saveexec_b64 s[18:19], s[4:5]
	s_xor_b64 s[4:5], exec, s[18:19]
	s_cbranch_execz .LBB30_459
; %bb.458:                              ;   in Loop: Header=BB30_445 Depth=1
	v_add_f32_e64 v36, |v35|, |v35|
	v_mul_f32_e32 v37, 0x3fb8aa3b, v36
	v_rndne_f32_e32 v38, v37
	v_sub_f32_e32 v39, v37, v38
	v_fma_f32 v37, v36, s12, -v37
	v_fmac_f32_e32 v37, 0x32a5705f, v36
	v_add_f32_e32 v37, v39, v37
	v_cvt_i32_f32_e32 v38, v38
	v_exp_f32_e32 v37, v37
	v_cmp_ngt_f32_e32 vcc, s13, v36
	v_ldexp_f32 v37, v37, v38
	v_cndmask_b32_e32 v37, 0, v37, vcc
	v_cmp_nlt_f32_e32 vcc, s14, v36
	v_cndmask_b32_e32 v36, v242, v37, vcc
	v_add_f32_e32 v36, 1.0, v36
	v_rcp_f32_e32 v36, v36
	v_fma_f32 v249, v36, -2.0, 1.0
.LBB30_459:                             ;   in Loop: Header=BB30_445 Depth=1
	s_andn2_saveexec_b64 s[4:5], s[4:5]
; %bb.460:                              ;   in Loop: Header=BB30_445 Depth=1
	v_mul_f32_e32 v36, v35, v35
	v_mov_b32_e32 v37, 0x3ca908c9
	v_fmac_f32_e32 v37, 0xbbbac73d, v36
	v_fma_f32 v37, v36, v37, v238
	v_fma_f32 v37, v36, v37, v239
	;; [unrolled: 1-line block ×3, first 2 shown]
	v_mul_f32_e64 v37, |v35|, v37
	v_fma_f32 v249, v36, v37, |v35|
; %bb.461:                              ;   in Loop: Header=BB30_445 Depth=1
	s_or_b64 exec, exec, s[4:5]
	v_accvgpr_read_b32 v39, a3
	v_accvgpr_read_b32 v36, a0
	;; [unrolled: 1-line block ×4, first 2 shown]
	v_cmp_nlt_f32_e64 s[4:5], |v36|, s0
                                        ; implicit-def: $vgpr250
	s_and_saveexec_b64 s[18:19], s[4:5]
	s_xor_b64 s[4:5], exec, s[18:19]
	s_cbranch_execz .LBB30_463
; %bb.462:                              ;   in Loop: Header=BB30_445 Depth=1
	v_add_f32_e64 v86, |v36|, |v36|
	v_mul_f32_e32 v87, 0x3fb8aa3b, v86
	v_rndne_f32_e32 v88, v87
	v_sub_f32_e32 v89, v87, v88
	v_fma_f32 v87, v86, s12, -v87
	v_fmac_f32_e32 v87, 0x32a5705f, v86
	v_add_f32_e32 v87, v89, v87
	v_cvt_i32_f32_e32 v88, v88
	v_exp_f32_e32 v87, v87
	v_cmp_ngt_f32_e32 vcc, s13, v86
	v_ldexp_f32 v87, v87, v88
	v_cndmask_b32_e32 v87, 0, v87, vcc
	v_cmp_nlt_f32_e32 vcc, s14, v86
	v_cndmask_b32_e32 v86, v242, v87, vcc
	v_add_f32_e32 v86, 1.0, v86
	v_rcp_f32_e32 v86, v86
	v_fma_f32 v250, v86, -2.0, 1.0
.LBB30_463:                             ;   in Loop: Header=BB30_445 Depth=1
	s_andn2_saveexec_b64 s[4:5], s[4:5]
; %bb.464:                              ;   in Loop: Header=BB30_445 Depth=1
	v_mul_f32_e32 v86, v36, v36
	v_mov_b32_e32 v87, 0x3ca908c9
	v_fmac_f32_e32 v87, 0xbbbac73d, v86
	v_fma_f32 v87, v86, v87, v238
	v_fma_f32 v87, v86, v87, v239
	;; [unrolled: 1-line block ×3, first 2 shown]
	v_mul_f32_e64 v87, |v36|, v87
	v_fma_f32 v250, v86, v87, |v36|
; %bb.465:                              ;   in Loop: Header=BB30_445 Depth=1
	s_or_b64 exec, exec, s[4:5]
	v_cmp_nlt_f32_e64 s[4:5], |v37|, s0
                                        ; implicit-def: $vgpr251
	s_and_saveexec_b64 s[18:19], s[4:5]
	s_xor_b64 s[4:5], exec, s[18:19]
	s_cbranch_execz .LBB30_467
; %bb.466:                              ;   in Loop: Header=BB30_445 Depth=1
	v_add_f32_e64 v86, |v37|, |v37|
	v_mul_f32_e32 v87, 0x3fb8aa3b, v86
	v_rndne_f32_e32 v88, v87
	v_sub_f32_e32 v89, v87, v88
	v_fma_f32 v87, v86, s12, -v87
	v_fmac_f32_e32 v87, 0x32a5705f, v86
	v_add_f32_e32 v87, v89, v87
	v_cvt_i32_f32_e32 v88, v88
	v_exp_f32_e32 v87, v87
	v_cmp_ngt_f32_e32 vcc, s13, v86
	v_ldexp_f32 v87, v87, v88
	v_cndmask_b32_e32 v87, 0, v87, vcc
	v_cmp_nlt_f32_e32 vcc, s14, v86
	v_cndmask_b32_e32 v86, v242, v87, vcc
	v_add_f32_e32 v86, 1.0, v86
	v_rcp_f32_e32 v86, v86
	v_fma_f32 v251, v86, -2.0, 1.0
.LBB30_467:                             ;   in Loop: Header=BB30_445 Depth=1
	s_andn2_saveexec_b64 s[4:5], s[4:5]
; %bb.468:                              ;   in Loop: Header=BB30_445 Depth=1
	v_mul_f32_e32 v86, v37, v37
	v_mov_b32_e32 v87, 0x3ca908c9
	v_fmac_f32_e32 v87, 0xbbbac73d, v86
	v_fma_f32 v87, v86, v87, v238
	v_fma_f32 v87, v86, v87, v239
	;; [unrolled: 1-line block ×3, first 2 shown]
	v_mul_f32_e64 v87, |v37|, v87
	v_fma_f32 v251, v86, v87, |v37|
; %bb.469:                              ;   in Loop: Header=BB30_445 Depth=1
	s_or_b64 exec, exec, s[4:5]
	v_cmp_nlt_f32_e64 s[4:5], |v38|, s0
                                        ; implicit-def: $vgpr252
	s_and_saveexec_b64 s[18:19], s[4:5]
	s_xor_b64 s[4:5], exec, s[18:19]
	s_cbranch_execz .LBB30_471
; %bb.470:                              ;   in Loop: Header=BB30_445 Depth=1
	v_add_f32_e64 v86, |v38|, |v38|
	v_mul_f32_e32 v87, 0x3fb8aa3b, v86
	v_rndne_f32_e32 v88, v87
	v_sub_f32_e32 v89, v87, v88
	v_fma_f32 v87, v86, s12, -v87
	v_fmac_f32_e32 v87, 0x32a5705f, v86
	v_add_f32_e32 v87, v89, v87
	v_cvt_i32_f32_e32 v88, v88
	v_exp_f32_e32 v87, v87
	v_cmp_ngt_f32_e32 vcc, s13, v86
	v_ldexp_f32 v87, v87, v88
	v_cndmask_b32_e32 v87, 0, v87, vcc
	v_cmp_nlt_f32_e32 vcc, s14, v86
	v_cndmask_b32_e32 v86, v242, v87, vcc
	v_add_f32_e32 v86, 1.0, v86
	v_rcp_f32_e32 v86, v86
	v_fma_f32 v252, v86, -2.0, 1.0
.LBB30_471:                             ;   in Loop: Header=BB30_445 Depth=1
	s_andn2_saveexec_b64 s[4:5], s[4:5]
; %bb.472:                              ;   in Loop: Header=BB30_445 Depth=1
	v_mul_f32_e32 v86, v38, v38
	v_mov_b32_e32 v87, 0x3ca908c9
	v_fmac_f32_e32 v87, 0xbbbac73d, v86
	v_fma_f32 v87, v86, v87, v238
	v_fma_f32 v87, v86, v87, v239
	;; [unrolled: 1-line block ×3, first 2 shown]
	v_mul_f32_e64 v87, |v38|, v87
	v_fma_f32 v252, v86, v87, |v38|
; %bb.473:                              ;   in Loop: Header=BB30_445 Depth=1
	s_or_b64 exec, exec, s[4:5]
	v_cmp_nlt_f32_e64 s[4:5], |v39|, s0
                                        ; implicit-def: $vgpr253
	s_and_saveexec_b64 s[18:19], s[4:5]
	s_xor_b64 s[4:5], exec, s[18:19]
	s_cbranch_execz .LBB30_475
; %bb.474:                              ;   in Loop: Header=BB30_445 Depth=1
	v_add_f32_e64 v86, |v39|, |v39|
	v_mul_f32_e32 v87, 0x3fb8aa3b, v86
	v_rndne_f32_e32 v88, v87
	v_sub_f32_e32 v89, v87, v88
	v_fma_f32 v87, v86, s12, -v87
	v_fmac_f32_e32 v87, 0x32a5705f, v86
	v_add_f32_e32 v87, v89, v87
	v_cvt_i32_f32_e32 v88, v88
	v_exp_f32_e32 v87, v87
	v_cmp_ngt_f32_e32 vcc, s13, v86
	v_ldexp_f32 v87, v87, v88
	v_cndmask_b32_e32 v87, 0, v87, vcc
	v_cmp_nlt_f32_e32 vcc, s14, v86
	v_cndmask_b32_e32 v86, v242, v87, vcc
	v_add_f32_e32 v86, 1.0, v86
	v_rcp_f32_e32 v86, v86
	v_fma_f32 v253, v86, -2.0, 1.0
.LBB30_475:                             ;   in Loop: Header=BB30_445 Depth=1
	s_andn2_saveexec_b64 s[4:5], s[4:5]
; %bb.476:                              ;   in Loop: Header=BB30_445 Depth=1
	v_mul_f32_e32 v86, v39, v39
	v_mov_b32_e32 v87, 0x3ca908c9
	v_fmac_f32_e32 v87, 0xbbbac73d, v86
	v_fma_f32 v87, v86, v87, v238
	v_fma_f32 v87, v86, v87, v239
	;; [unrolled: 1-line block ×3, first 2 shown]
	v_mul_f32_e64 v87, |v39|, v87
	v_fma_f32 v253, v86, v87, |v39|
; %bb.477:                              ;   in Loop: Header=BB30_445 Depth=1
	s_or_b64 exec, exec, s[4:5]
	v_bfi_b32 v33, s15, v247, v33
	v_bfi_b32 v32, s15, v246, v32
	ds_read2_b32 v[246:247], v241 offset1:1
	ds_read_b32 v86, v150 offset:33792
	ds_read_b32 v87, v151 offset:33792
	v_bfi_b32 v249, s15, v249, v35
	v_bfi_b32 v248, s15, v248, v34
	s_waitcnt lgkmcnt(2)
	v_cvt_f32_f16_e32 v34, v246
	v_cvt_f32_f16_sdwa v35, v246 dst_sel:DWORD dst_unused:UNUSED_PAD src0_sel:WORD_1
	v_bfi_b32 v37, s15, v251, v37
	v_bfi_b32 v36, s15, v250, v36
	;; [unrolled: 1-line block ×3, first 2 shown]
	v_pk_fma_f32 v[250:251], v[32:33], s[34:35], v[34:35]
	v_add_f32_e32 v32, 0x40051340, v250
	v_add_f32_e32 v33, 0x40051340, v251
	v_max3_f32 v88, v115, v32, v33
	s_waitcnt lgkmcnt(0)
	v_cvt_f32_f16_sdwa v33, v87 dst_sel:DWORD dst_unused:UNUSED_PAD src0_sel:WORD_1
	v_cvt_f32_f16_e32 v32, v87
	v_bfi_b32 v38, s15, v252, v38
	s_mul_hi_i32 s5, s2, s30
	s_mul_i32 s4, s2, s30
	v_pk_fma_f32 v[34:35], v[38:39], s[34:35], v[32:33]
	v_cvt_f32_f16_sdwa v33, v86 dst_sel:DWORD dst_unused:UNUSED_PAD src0_sel:WORD_1
	v_cvt_f32_f16_e32 v32, v86
	v_add_f32_e32 v87, 0x40051340, v34
	v_add_f32_e32 v89, 0x40051340, v35
	s_lshl_b64 s[4:5], s[4:5], 2
	v_pk_fma_f32 v[36:37], v[36:37], s[34:35], v[32:33]
	v_cvt_f32_f16_e32 v32, v247
	v_cvt_f32_f16_sdwa v33, v247 dst_sel:DWORD dst_unused:UNUSED_PAD src0_sel:WORD_1
	v_add_f32_e32 v86, 0x40051340, v36
	v_add_f32_e32 v90, 0x40051340, v37
	s_add_u32 s3, s6, s4
	v_pk_fma_f32 v[38:39], v[248:249], s[34:35], v[32:33]
	v_add_f32_e32 v32, 0x40051340, v38
	v_add_f32_e32 v33, 0x40051340, v39
	v_max3_f32 v32, v88, v32, v33
	v_max3_f32 v32, v32, v86, v90
	;; [unrolled: 1-line block ×3, first 2 shown]
	ds_bpermute_b32 v33, v152, v32
	s_addc_u32 s4, s7, s5
	v_mov_b32_e32 v111, s4
	v_mov_b32_e32 v113, s4
	s_add_i32 s76, s76, 1
	s_waitcnt lgkmcnt(0)
	v_max_f32_e32 v33, v33, v33
	v_max_f32_e32 v32, v32, v33
	ds_bpermute_b32 v33, v153, v32
	s_add_i32 s2, s2, 64
	s_waitcnt lgkmcnt(0)
	v_max_f32_e32 v33, v33, v33
	v_max_f32_e32 v32, v32, v33
	v_pk_add_f32 v[246:247], v[250:251], v[32:33] op_sel_hi:[1,0] neg_lo:[0,1] neg_hi:[0,1]
	v_mul_f32_e32 v33, 0x3fb8aa3b, v247
	v_fma_f32 v86, v247, s12, -v33
	v_rndne_f32_e32 v87, v33
	v_fmac_f32_e32 v86, 0x32a5705f, v247
	v_sub_f32_e32 v33, v33, v87
	v_add_f32_e32 v33, v33, v86
	v_exp_f32_e32 v33, v33
	v_cvt_i32_f32_e32 v86, v87
	v_cmp_ngt_f32_e32 vcc, s13, v247
	v_ldexp_f32 v33, v33, v86
	v_cndmask_b32_e32 v33, 0, v33, vcc
	v_cmp_nlt_f32_e32 vcc, s14, v247
	v_cndmask_b32_e32 v86, v242, v33, vcc
	v_mul_f32_e32 v33, 0x3fb8aa3b, v246
	v_fma_f32 v87, v246, s12, -v33
	v_rndne_f32_e32 v88, v33
	v_fmac_f32_e32 v87, 0x32a5705f, v246
	v_sub_f32_e32 v33, v33, v88
	v_add_f32_e32 v33, v33, v87
	v_exp_f32_e32 v33, v33
	v_cvt_i32_f32_e32 v87, v88
	v_cmp_ngt_f32_e32 vcc, s13, v246
	v_ldexp_f32 v33, v33, v87
	v_cndmask_b32_e32 v33, 0, v33, vcc
	v_cmp_nlt_f32_e32 vcc, s14, v246
	v_pk_add_f32 v[38:39], v[38:39], v[32:33] op_sel_hi:[1,0] neg_lo:[0,1] neg_hi:[0,1]
	v_cndmask_b32_e32 v87, v242, v33, vcc
	v_mul_f32_e32 v33, 0x3fb8aa3b, v39
	v_fma_f32 v88, v39, s12, -v33
	v_rndne_f32_e32 v89, v33
	v_fmac_f32_e32 v88, 0x32a5705f, v39
	v_sub_f32_e32 v33, v33, v89
	v_add_f32_e32 v33, v33, v88
	v_exp_f32_e32 v33, v33
	v_cvt_i32_f32_e32 v88, v89
	v_cmp_ngt_f32_e32 vcc, s13, v39
	v_ldexp_f32 v33, v33, v88
	v_cndmask_b32_e32 v33, 0, v33, vcc
	v_cmp_nlt_f32_e32 vcc, s14, v39
	v_cndmask_b32_e32 v88, v242, v33, vcc
	v_mul_f32_e32 v33, 0x3fb8aa3b, v38
	v_fma_f32 v39, v38, s12, -v33
	v_rndne_f32_e32 v89, v33
	v_fmac_f32_e32 v39, 0x32a5705f, v38
	v_sub_f32_e32 v33, v33, v89
	v_add_f32_e32 v33, v33, v39
	v_exp_f32_e32 v33, v33
	v_cvt_i32_f32_e32 v39, v89
	v_cmp_ngt_f32_e32 vcc, s13, v38
	v_ldexp_f32 v33, v33, v39
	v_cndmask_b32_e32 v33, 0, v33, vcc
	v_cmp_nlt_f32_e32 vcc, s14, v38
	v_pk_add_f32 v[36:37], v[36:37], v[32:33] op_sel_hi:[1,0] neg_lo:[0,1] neg_hi:[0,1]
	v_cndmask_b32_e32 v89, v242, v33, vcc
	;; [unrolled: 27-line block ×3, first 2 shown]
	v_mul_f32_e32 v33, 0x3fb8aa3b, v35
	v_fma_f32 v36, v35, s12, -v33
	v_rndne_f32_e32 v37, v33
	v_fmac_f32_e32 v36, 0x32a5705f, v35
	v_sub_f32_e32 v33, v33, v37
	v_add_f32_e32 v33, v33, v36
	v_exp_f32_e32 v33, v33
	v_cvt_i32_f32_e32 v36, v37
	v_cmp_ngt_f32_e32 vcc, s13, v35
	v_ldexp_f32 v33, v33, v36
	v_cndmask_b32_e32 v33, 0, v33, vcc
	v_cmp_nlt_f32_e32 vcc, s14, v35
	v_cndmask_b32_e32 v35, v242, v33, vcc
	v_mul_f32_e32 v33, 0x3fb8aa3b, v34
	v_fma_f32 v36, v34, s12, -v33
	v_rndne_f32_e32 v37, v33
	v_fmac_f32_e32 v36, 0x32a5705f, v34
	v_sub_f32_e32 v33, v33, v37
	v_add_f32_e32 v33, v33, v36
	v_exp_f32_e32 v33, v33
	v_cvt_i32_f32_e32 v36, v37
	v_cmp_ngt_f32_e32 vcc, s13, v34
	v_ldexp_f32 v33, v33, v36
	v_cndmask_b32_e32 v33, 0, v33, vcc
	v_cmp_nlt_f32_e32 vcc, s14, v34
	v_sub_f32_e32 v34, v115, v32
	v_mul_f32_e32 v36, 0x3fb8aa3b, v34
	v_fma_f32 v37, v34, s12, -v36
	v_rndne_f32_e32 v38, v36
	v_fmac_f32_e32 v37, 0x32a5705f, v34
	v_sub_f32_e32 v36, v36, v38
	v_add_f32_e32 v36, v36, v37
	v_exp_f32_e32 v36, v36
	v_cvt_i32_f32_e32 v37, v38
	v_cndmask_b32_e32 v110, v242, v33, vcc
	v_add_f32_e32 v33, v87, v86
	v_add_f32_e32 v33, v89, v33
	;; [unrolled: 1-line block ×4, first 2 shown]
	v_ldexp_f32 v36, v36, v37
	v_cmp_ngt_f32_e32 vcc, s13, v34
	v_add_f32_e32 v33, v90, v33
	v_cndmask_b32_e32 v36, 0, v36, vcc
	v_cmp_nlt_f32_e32 vcc, s14, v34
	v_add_f32_e32 v33, v110, v33
	v_cndmask_b32_e32 v36, v242, v36, vcc
	v_cmp_le_f32_e32 vcc, s16, v34
	v_add_f32_e32 v33, v35, v33
	v_cndmask_b32_e32 v34, 0, v36, vcc
	v_fmac_f32_e32 v33, v245, v34
	v_cvt_f16_f32_e32 v34, v34
	v_cvt_f16_f32_e32 v36, v86
	v_cvt_f16_f32_e32 v37, v89
	v_cvt_f16_f32_e32 v86, v91
	v_pk_mul_f16 v137, v34, v137 op_sel_hi:[0,1]
	v_pk_mul_f16 v135, v34, v135 op_sel_hi:[0,1]
	;; [unrolled: 1-line block ×32, first 2 shown]
	v_cvt_f16_f32_e32 v34, v87
	v_cvt_f16_f32_e32 v35, v35
	v_mov_b32_e32 v87, s4
	v_mov_b32_e32 v89, s4
	v_pack_b32_f16 v36, v34, v36
	v_cvt_f16_f32_e32 v34, v88
	v_mov_b32_e32 v91, s4
	v_pack_b32_f16 v37, v37, v34
	v_cvt_f16_f32_e32 v34, v90
	v_pack_b32_f16 v34, v86, v34
	v_cvt_f16_f32_e32 v86, v110
	v_pack_b32_f16 v35, v86, v35
	v_add_co_u32_e32 v86, vcc, s3, v62
	v_addc_co_u32_e32 v87, vcc, v87, v63, vcc
	v_add_co_u32_e32 v246, vcc, v86, v236
	v_addc_co_u32_e32 v247, vcc, 0, v87, vcc
	global_load_dwordx4 v[246:249], v[246:247], off
	v_add_co_u32_e32 v86, vcc, s3, v64
	v_mov_b32_e32 v87, s4
	v_addc_co_u32_e32 v87, vcc, v87, v65, vcc
	v_add_co_u32_e32 v250, vcc, v86, v236
	v_addc_co_u32_e32 v251, vcc, 0, v87, vcc
	v_add_co_u32_e32 v86, vcc, s3, v66
	v_mov_b32_e32 v87, s4
	v_addc_co_u32_e32 v87, vcc, v87, v67, vcc
	v_add_co_u32_e32 v252, vcc, v86, v236
	v_addc_co_u32_e32 v253, vcc, 0, v87, vcc
	;; [unrolled: 5-line block ×3, first 2 shown]
	v_add_co_u32_e32 v88, vcc, s3, v70
	v_addc_co_u32_e32 v89, vcc, v89, v71, vcc
	v_add_co_u32_e32 v88, vcc, v88, v236
	v_addc_co_u32_e32 v89, vcc, 0, v89, vcc
	;; [unrolled: 2-line block ×8, first 2 shown]
	v_cmp_lt_i32_e32 vcc, s76, v138
	s_and_b64 vcc, exec, vcc
	s_waitcnt vmcnt(0)
	ds_write_b128 v142, v[246:249]
	global_load_dwordx4 v[246:249], v[250:251], off
	s_waitcnt vmcnt(0)
	ds_write_b128 v143, v[246:249]
	global_load_dwordx4 v[246:249], v[252:253], off
	;; [unrolled: 3-line block ×7, first 2 shown]
	s_waitcnt vmcnt(0)
	ds_write_b128 v149, v[246:249]
	s_waitcnt lgkmcnt(0)
	s_barrier
	ds_read_u16 v86, v155 offset:528
	ds_read_u16 v87, v155 offset:1056
	ds_read_u16 v88, v156
	ds_read_u16 v89, v156 offset:32
	v_cvt_f32_f16_e32 v246, v137
	v_cvt_f32_f16_sdwa v247, v137 dst_sel:DWORD dst_unused:UNUSED_PAD src0_sel:WORD_1
	v_cvt_f32_f16_e32 v248, v135
	s_waitcnt lgkmcnt(1)
	v_perm_b32 v87, v88, v87, s17
	ds_read_u16 v88, v154
	ds_read_u16 v90, v154 offset:32
	v_cvt_f32_f16_sdwa v249, v135 dst_sel:DWORD dst_unused:UNUSED_PAD src0_sel:WORD_1
	v_accvgpr_write_b32 a0, v246
	v_accvgpr_write_b32 a1, v247
	s_waitcnt lgkmcnt(1)
	v_perm_b32 v86, v86, v88, s17
	v_accvgpr_write_b32 a2, v248
	v_accvgpr_write_b32 a3, v249
	ds_read_u16 v110, v154 offset:16896
	ds_read_u16 v111, v157 offset:528
	ds_read_u16 v112, v157 offset:1056
	ds_read_u16 v113, v156 offset:16896
	v_mfma_f32_16x16x16f16 a[0:3], v[86:87], v[36:37], a[0:3]
	s_nop 7
	s_nop 2
	v_accvgpr_read_b32 v86, a0
	v_cvt_f16_f32_e32 v86, v86
	v_accvgpr_read_b32 v87, a1
	v_accvgpr_read_b32 v88, a2
	;; [unrolled: 1-line block ×3, first 2 shown]
	v_cvt_f16_f32_e32 v87, v87
	v_cvt_f16_f32_e32 v88, v88
	;; [unrolled: 1-line block ×3, first 2 shown]
	v_cvt_f32_f16_e32 v246, v86
	v_cvt_f32_f16_e32 v247, v87
	;; [unrolled: 1-line block ×4, first 2 shown]
	s_waitcnt lgkmcnt(0)
	v_perm_b32 v87, v113, v112, s17
	v_perm_b32 v86, v111, v110, s17
	v_accvgpr_write_b32 a0, v246
	v_accvgpr_write_b32 a1, v247
	;; [unrolled: 1-line block ×4, first 2 shown]
	v_cvt_f32_f16_e32 v246, v139
	v_cvt_f32_f16_sdwa v247, v139 dst_sel:DWORD dst_unused:UNUSED_PAD src0_sel:WORD_1
	v_mfma_f32_16x16x16f16 a[0:3], v[86:87], v[34:35], a[0:3]
	v_cvt_f32_f16_e32 v248, v93
	v_cvt_f32_f16_sdwa v249, v93 dst_sel:DWORD dst_unused:UNUSED_PAD src0_sel:WORD_1
	s_nop 7
	s_nop 0
	v_accvgpr_read_b32 v86, a0
	v_accvgpr_read_b32 v87, a1
	v_cvt_f16_f32_e32 v86, v86
	v_cvt_f16_f32_e32 v87, v87
	v_accvgpr_read_b32 v88, a2
	v_accvgpr_read_b32 v91, a3
	v_accvgpr_write_b32 a0, v246
	v_pack_b32_f16 v137, v86, v87
	ds_read_u16 v86, v158 offset:528
	ds_read_u16 v87, v158 offset:1056
	v_accvgpr_write_b32 a1, v247
	v_accvgpr_write_b32 a2, v248
	;; [unrolled: 1-line block ×3, first 2 shown]
	s_waitcnt lgkmcnt(1)
	v_perm_b32 v86, v86, v90, s17
	s_waitcnt lgkmcnt(0)
	v_perm_b32 v87, v89, v87, s17
	v_cvt_f16_f32_e32 v88, v88
	v_cvt_f16_f32_e32 v91, v91
	v_mfma_f32_16x16x16f16 a[0:3], v[86:87], v[36:37], a[0:3]
	v_pack_b32_f16 v135, v88, v91
	ds_read_u16 v90, v159 offset:16896
	ds_read_u16 v91, v160 offset:528
	;; [unrolled: 1-line block ×4, first 2 shown]
	s_nop 5
	v_accvgpr_read_b32 v86, a0
	v_cvt_f16_f32_e32 v86, v86
	v_accvgpr_read_b32 v87, a1
	v_accvgpr_read_b32 v88, a2
	v_accvgpr_read_b32 v89, a3
	v_cvt_f16_f32_e32 v87, v87
	v_cvt_f16_f32_e32 v88, v88
	v_cvt_f16_f32_e32 v89, v89
	v_cvt_f32_f16_e32 v246, v86
	v_cvt_f32_f16_e32 v247, v87
	v_cvt_f32_f16_e32 v248, v88
	v_cvt_f32_f16_e32 v249, v89
	s_waitcnt lgkmcnt(0)
	v_perm_b32 v87, v110, v93, s17
	v_perm_b32 v86, v91, v90, s17
	v_accvgpr_write_b32 a0, v246
	v_accvgpr_write_b32 a1, v247
	v_accvgpr_write_b32 a2, v248
	v_accvgpr_write_b32 a3, v249
	v_cvt_f32_f16_e32 v246, v98
	v_cvt_f32_f16_sdwa v247, v98 dst_sel:DWORD dst_unused:UNUSED_PAD src0_sel:WORD_1
	v_mfma_f32_16x16x16f16 a[0:3], v[86:87], v[34:35], a[0:3]
	v_cvt_f32_f16_e32 v248, v97
	v_cvt_f32_f16_sdwa v249, v97 dst_sel:DWORD dst_unused:UNUSED_PAD src0_sel:WORD_1
	s_nop 7
	s_nop 0
	v_accvgpr_read_b32 v86, a0
	v_accvgpr_read_b32 v87, a1
	v_accvgpr_read_b32 v88, a2
	v_accvgpr_read_b32 v89, a3
	v_cvt_f16_f32_e32 v86, v86
	v_cvt_f16_f32_e32 v87, v87
	v_cvt_f16_f32_e32 v88, v88
	v_cvt_f16_f32_e32 v89, v89
	v_accvgpr_write_b32 a0, v246
	v_pack_b32_f16 v139, v86, v87
	v_accvgpr_write_b32 a1, v247
	v_pack_b32_f16 v93, v88, v89
	ds_read_u16 v86, v154 offset:64
	ds_read_u16 v88, v163 offset:528
	ds_read_u16 v87, v163 offset:1056
	ds_read_u16 v89, v156 offset:64
	v_accvgpr_write_b32 a2, v248
	v_accvgpr_write_b32 a3, v249
	s_waitcnt lgkmcnt(2)
	v_perm_b32 v86, v88, v86, s17
	ds_read_u16 v90, v164 offset:16896
	ds_read_u16 v91, v165 offset:528
	ds_read_u16 v97, v166 offset:1056
	ds_read_u16 v98, v167 offset:16896
	s_waitcnt lgkmcnt(4)
	v_perm_b32 v87, v89, v87, s17
	s_nop 1
	v_mfma_f32_16x16x16f16 a[0:3], v[86:87], v[36:37], a[0:3]
	s_nop 7
	s_nop 2
	v_accvgpr_read_b32 v86, a0
	v_cvt_f16_f32_e32 v86, v86
	v_accvgpr_read_b32 v87, a1
	v_accvgpr_read_b32 v88, a2
	v_accvgpr_read_b32 v89, a3
	v_cvt_f16_f32_e32 v87, v87
	v_cvt_f16_f32_e32 v88, v88
	v_cvt_f16_f32_e32 v89, v89
	v_cvt_f32_f16_e32 v246, v86
	v_cvt_f32_f16_e32 v247, v87
	v_cvt_f32_f16_e32 v248, v88
	v_cvt_f32_f16_e32 v249, v89
	s_waitcnt lgkmcnt(0)
	v_perm_b32 v87, v98, v97, s17
	v_perm_b32 v86, v91, v90, s17
	v_accvgpr_write_b32 a0, v246
	v_accvgpr_write_b32 a1, v247
	v_accvgpr_write_b32 a2, v248
	v_accvgpr_write_b32 a3, v249
	v_cvt_f32_f16_e32 v246, v100
	v_cvt_f32_f16_sdwa v247, v100 dst_sel:DWORD dst_unused:UNUSED_PAD src0_sel:WORD_1
	v_mfma_f32_16x16x16f16 a[0:3], v[86:87], v[34:35], a[0:3]
	v_cvt_f32_f16_e32 v248, v99
	v_cvt_f32_f16_sdwa v249, v99 dst_sel:DWORD dst_unused:UNUSED_PAD src0_sel:WORD_1
	s_nop 7
	s_nop 0
	v_accvgpr_read_b32 v86, a0
	v_accvgpr_read_b32 v87, a1
	v_accvgpr_read_b32 v88, a2
	v_accvgpr_read_b32 v89, a3
	v_cvt_f16_f32_e32 v86, v86
	v_cvt_f16_f32_e32 v87, v87
	v_cvt_f16_f32_e32 v88, v88
	v_cvt_f16_f32_e32 v89, v89
	v_accvgpr_write_b32 a0, v246
	v_pack_b32_f16 v98, v86, v87
	v_accvgpr_write_b32 a1, v247
	v_pack_b32_f16 v97, v88, v89
	ds_read_u16 v86, v154 offset:96
	ds_read_u16 v88, v168 offset:528
	ds_read_u16 v87, v168 offset:1056
	ds_read_u16 v89, v156 offset:96
	v_accvgpr_write_b32 a2, v248
	v_accvgpr_write_b32 a3, v249
	s_waitcnt lgkmcnt(2)
	v_perm_b32 v86, v88, v86, s17
	ds_read_u16 v90, v169 offset:16896
	ds_read_u16 v91, v170 offset:528
	ds_read_u16 v99, v171 offset:1056
	ds_read_u16 v100, v172 offset:16896
	s_waitcnt lgkmcnt(4)
	v_perm_b32 v87, v89, v87, s17
	s_nop 1
	v_mfma_f32_16x16x16f16 a[0:3], v[86:87], v[36:37], a[0:3]
	s_nop 7
	;; [unrolled: 56-line block ×11, first 2 shown]
	s_nop 2
	v_accvgpr_read_b32 v86, a0
	v_cvt_f16_f32_e32 v86, v86
	v_accvgpr_read_b32 v87, a1
	v_accvgpr_read_b32 v88, a2
	;; [unrolled: 1-line block ×3, first 2 shown]
	v_cvt_f16_f32_e32 v87, v87
	v_cvt_f16_f32_e32 v88, v88
	;; [unrolled: 1-line block ×3, first 2 shown]
	v_cvt_f32_f16_e32 v246, v86
	v_cvt_f32_f16_e32 v247, v87
	;; [unrolled: 1-line block ×4, first 2 shown]
	s_waitcnt lgkmcnt(0)
	v_perm_b32 v87, v111, v110, s17
	v_perm_b32 v86, v91, v90, s17
	v_accvgpr_write_b32 a0, v246
	v_accvgpr_write_b32 a1, v247
	;; [unrolled: 1-line block ×4, first 2 shown]
	v_cvt_f32_f16_e32 v246, v205
	v_cvt_f32_f16_sdwa v247, v205 dst_sel:DWORD dst_unused:UNUSED_PAD src0_sel:WORD_1
	v_mfma_f32_16x16x16f16 a[0:3], v[86:87], v[34:35], a[0:3]
	v_cvt_f32_f16_e32 v248, v203
	v_cvt_f32_f16_sdwa v249, v203 dst_sel:DWORD dst_unused:UNUSED_PAD src0_sel:WORD_1
	s_nop 7
	s_nop 0
	v_accvgpr_read_b32 v86, a0
	v_accvgpr_read_b32 v87, a1
	v_cvt_f16_f32_e32 v86, v86
	v_cvt_f16_f32_e32 v87, v87
	v_accvgpr_read_b32 v88, a2
	v_accvgpr_read_b32 v89, a3
	v_accvgpr_write_b32 a0, v246
	v_pack_b32_f16 v134, v86, v87
	ds_read_u16 v117, v154 offset:416
	ds_read_u16 v121, v220 offset:528
	;; [unrolled: 1-line block ×4, first 2 shown]
	v_accvgpr_write_b32 a1, v247
	v_accvgpr_write_b32 a2, v248
	;; [unrolled: 1-line block ×3, first 2 shown]
	v_cvt_f16_f32_e32 v88, v88
	s_waitcnt lgkmcnt(0)
	v_perm_b32 v87, v86, v243, s17
	v_perm_b32 v86, v121, v117, s17
	v_cvt_f16_f32_e32 v89, v89
	ds_read_u16 v90, v221 offset:16896
	ds_read_u16 v91, v222 offset:528
	;; [unrolled: 1-line block ×4, first 2 shown]
	v_mfma_f32_16x16x16f16 a[0:3], v[86:87], v[36:37], a[0:3]
	v_pack_b32_f16 v133, v88, v89
	s_nop 7
	s_nop 1
	v_accvgpr_read_b32 v86, a0
	v_cvt_f16_f32_e32 v86, v86
	v_accvgpr_read_b32 v87, a1
	v_accvgpr_read_b32 v88, a2
	;; [unrolled: 1-line block ×3, first 2 shown]
	v_cvt_f16_f32_e32 v87, v87
	v_cvt_f16_f32_e32 v88, v88
	;; [unrolled: 1-line block ×3, first 2 shown]
	v_cvt_f32_f16_e32 v246, v86
	v_cvt_f32_f16_e32 v247, v87
	;; [unrolled: 1-line block ×4, first 2 shown]
	s_waitcnt lgkmcnt(0)
	v_perm_b32 v87, v111, v110, s17
	v_perm_b32 v86, v91, v90, s17
	v_accvgpr_write_b32 a0, v246
	v_accvgpr_write_b32 a1, v247
	;; [unrolled: 1-line block ×4, first 2 shown]
	v_cvt_f32_f16_e32 v246, v244
	v_cvt_f32_f16_sdwa v247, v244 dst_sel:DWORD dst_unused:UNUSED_PAD src0_sel:WORD_1
	v_mfma_f32_16x16x16f16 a[0:3], v[86:87], v[34:35], a[0:3]
	v_cvt_f32_f16_e32 v248, v115
	v_cvt_f32_f16_sdwa v249, v115 dst_sel:DWORD dst_unused:UNUSED_PAD src0_sel:WORD_1
	s_nop 7
	s_nop 0
	v_accvgpr_read_b32 v86, a0
	v_accvgpr_read_b32 v87, a1
	v_accvgpr_read_b32 v88, a2
	v_accvgpr_read_b32 v89, a3
	v_cvt_f16_f32_e32 v86, v86
	v_cvt_f16_f32_e32 v87, v87
	;; [unrolled: 1-line block ×4, first 2 shown]
	v_accvgpr_write_b32 a0, v246
	v_pack_b32_f16 v205, v86, v87
	v_accvgpr_write_b32 a1, v247
	v_pack_b32_f16 v203, v88, v89
	ds_read_u16 v86, v154 offset:448
	ds_read_u16 v88, v225 offset:528
	;; [unrolled: 1-line block ×4, first 2 shown]
	v_accvgpr_write_b32 a2, v248
	v_accvgpr_write_b32 a3, v249
	s_waitcnt lgkmcnt(2)
	v_perm_b32 v86, v88, v86, s17
	ds_read_u16 v90, v226 offset:16896
	ds_read_u16 v91, v227 offset:528
	;; [unrolled: 1-line block ×4, first 2 shown]
	s_waitcnt lgkmcnt(4)
	v_perm_b32 v87, v89, v87, s17
	v_cvt_f32_f16_e32 v248, v38
	v_cvt_f32_f16_sdwa v249, v38 dst_sel:DWORD dst_unused:UNUSED_PAD src0_sel:WORD_1
	v_mfma_f32_16x16x16f16 a[0:3], v[86:87], v[36:37], a[0:3]
	s_nop 7
	s_nop 2
	v_accvgpr_read_b32 v86, a0
	v_cvt_f16_f32_e32 v86, v86
	v_accvgpr_read_b32 v87, a1
	v_accvgpr_read_b32 v88, a2
	;; [unrolled: 1-line block ×3, first 2 shown]
	v_cvt_f16_f32_e32 v87, v87
	v_cvt_f16_f32_e32 v88, v88
	;; [unrolled: 1-line block ×3, first 2 shown]
	v_cvt_f32_f16_e32 v244, v86
	v_cvt_f32_f16_e32 v245, v87
	;; [unrolled: 1-line block ×4, first 2 shown]
	s_waitcnt lgkmcnt(0)
	v_perm_b32 v87, v111, v110, s17
	v_perm_b32 v86, v91, v90, s17
	v_accvgpr_write_b32 a0, v244
	v_accvgpr_write_b32 a1, v245
	;; [unrolled: 1-line block ×4, first 2 shown]
	v_cvt_f32_f16_e32 v246, v39
	v_cvt_f32_f16_sdwa v247, v39 dst_sel:DWORD dst_unused:UNUSED_PAD src0_sel:WORD_1
	v_mfma_f32_16x16x16f16 a[0:3], v[86:87], v[34:35], a[0:3]
	s_nop 7
	s_nop 2
	v_accvgpr_read_b32 v86, a0
	v_accvgpr_read_b32 v87, a1
	;; [unrolled: 1-line block ×4, first 2 shown]
	v_cvt_f16_f32_e32 v86, v86
	v_cvt_f16_f32_e32 v87, v87
	v_cvt_f16_f32_e32 v88, v88
	v_cvt_f16_f32_e32 v89, v89
	v_accvgpr_write_b32 a0, v246
	v_pack_b32_f16 v244, v86, v87
	v_accvgpr_write_b32 a1, v247
	v_pack_b32_f16 v243, v88, v89
	ds_read_u16 v86, v154 offset:480
	ds_read_u16 v87, v230 offset:528
	ds_read_u16 v88, v230 offset:1056
	ds_read_u16 v89, v156 offset:480
	v_accvgpr_write_b32 a2, v248
	v_accvgpr_write_b32 a3, v249
	s_waitcnt lgkmcnt(2)
	v_perm_b32 v38, v87, v86, s17
	s_waitcnt lgkmcnt(0)
	v_perm_b32 v39, v89, v88, s17
	ds_read_u16 v86, v231 offset:16896
	ds_read_u16 v88, v232 offset:528
	;; [unrolled: 1-line block ×4, first 2 shown]
	v_mfma_f32_16x16x16f16 a[0:3], v[38:39], v[36:37], a[0:3]
	s_waitcnt lgkmcnt(0)
	v_perm_b32 v87, v89, v87, s17
	v_perm_b32 v86, v88, v86, s17
	s_barrier
	s_nop 6
	v_accvgpr_read_b32 v36, a0
	v_cvt_f16_f32_e32 v36, v36
	v_accvgpr_read_b32 v37, a1
	v_accvgpr_read_b32 v38, a2
	;; [unrolled: 1-line block ×3, first 2 shown]
	v_cvt_f16_f32_e32 v37, v37
	v_cvt_f16_f32_e32 v38, v38
	;; [unrolled: 1-line block ×3, first 2 shown]
	v_cvt_f32_f16_e32 v36, v36
	v_cvt_f32_f16_e32 v37, v37
	;; [unrolled: 1-line block ×4, first 2 shown]
	v_accvgpr_write_b32 a0, v36
	v_accvgpr_write_b32 a1, v37
	;; [unrolled: 1-line block ×4, first 2 shown]
	s_nop 1
	v_mfma_f32_16x16x16f16 a[0:3], v[86:87], v[34:35], a[0:3]
	s_nop 7
	s_nop 2
	v_accvgpr_read_b32 v34, a0
	v_accvgpr_read_b32 v35, a1
	;; [unrolled: 1-line block ×4, first 2 shown]
	v_cvt_f16_f32_e32 v34, v34
	v_cvt_f16_f32_e32 v35, v35
	;; [unrolled: 1-line block ×4, first 2 shown]
	v_pack_b32_f16 v121, v34, v35
	v_pack_b32_f16 v117, v36, v37
	s_cbranch_vccz .LBB30_479
; %bb.478:                              ;   in Loop: Header=BB30_445 Depth=1
	v_mov_b32_e32 v245, v33
	v_mov_b32_e32 v115, v32
	s_branch .LBB30_445
.LBB30_479:
	s_lshl_b32 s2, s76, 6
	s_ashr_i32 s3, s2, 31
	s_lshl_b64 s[4:5], s[2:3], 1
	s_add_u32 s0, s10, s4
	s_addc_u32 s4, s11, s5
	v_mov_b32_e32 v34, s4
	v_add_co_u32_e32 v38, vcc, s0, v136
	s_mul_i32 s0, s40, s3
	s_mul_hi_u32 s3, s40, s2
	v_addc_co_u32_e32 v39, vcc, 0, v34, vcc
	v_lshlrev_b64 v[34:35], 1, v[42:43]
	s_add_i32 s0, s3, s0
	s_mul_i32 s1, s1, s2
	v_add_co_u32_e32 v34, vcc, v38, v34
	s_add_i32 s1, s0, s1
	s_mul_i32 s0, s40, s2
	v_addc_co_u32_e32 v35, vcc, v39, v35, vcc
	v_lshlrev_b64 v[36:37], 1, v[44:45]
	s_lshl_b64 s[0:1], s[0:1], 2
	v_add_co_u32_e32 v36, vcc, v38, v36
	s_add_u32 s0, s8, s0
	v_addc_co_u32_e32 v37, vcc, v39, v37, vcc
	global_load_dword v74, v[34:35], off
	global_load_dword v75, v[36:37], off
	s_addc_u32 s1, s9, s1
	v_lshlrev_b64 v[34:35], 2, v[46:47]
	v_mov_b32_e32 v36, s1
	v_add_co_u32_e32 v37, vcc, s0, v34
	v_addc_co_u32_e32 v38, vcc, v36, v35, vcc
	v_lshlrev_b64 v[34:35], 2, v[40:41]
	v_add_co_u32_e32 v36, vcc, v37, v34
	v_addc_co_u32_e32 v37, vcc, v38, v35, vcc
	v_lshlrev_b64 v[38:39], 2, v[48:49]
	v_mov_b32_e32 v41, s1
	v_add_co_u32_e32 v38, vcc, s0, v38
	v_addc_co_u32_e32 v39, vcc, v41, v39, vcc
	v_add_co_u32_e32 v38, vcc, v38, v34
	v_addc_co_u32_e32 v39, vcc, v39, v35, vcc
	global_load_dwordx4 v[42:45], v[36:37], off
	global_load_dwordx4 v[46:49], v[38:39], off
	v_lshlrev_b64 v[36:37], 2, v[50:51]
	v_mov_b32_e32 v38, s1
	v_add_co_u32_e32 v36, vcc, s0, v36
	v_addc_co_u32_e32 v37, vcc, v38, v37, vcc
	v_add_co_u32_e32 v36, vcc, v36, v34
	v_addc_co_u32_e32 v37, vcc, v37, v35, vcc
	v_lshlrev_b64 v[38:39], 2, v[52:53]
	v_add_co_u32_e32 v38, vcc, s0, v38
	v_addc_co_u32_e32 v39, vcc, v41, v39, vcc
	v_add_co_u32_e32 v38, vcc, v38, v34
	v_addc_co_u32_e32 v39, vcc, v39, v35, vcc
	global_load_dwordx4 v[50:53], v[36:37], off
	global_load_dwordx4 v[62:65], v[38:39], off
	v_lshlrev_b64 v[36:37], 2, v[54:55]
	v_mov_b32_e32 v38, s1
	v_add_co_u32_e32 v36, vcc, s0, v36
	v_addc_co_u32_e32 v37, vcc, v38, v37, vcc
	v_add_co_u32_e32 v36, vcc, v36, v34
	v_addc_co_u32_e32 v37, vcc, v37, v35, vcc
	v_lshlrev_b64 v[38:39], 2, v[56:57]
	v_add_co_u32_e32 v38, vcc, s0, v38
	v_addc_co_u32_e32 v39, vcc, v41, v39, vcc
	v_add_co_u32_e32 v38, vcc, v38, v34
	v_addc_co_u32_e32 v39, vcc, v39, v35, vcc
	global_load_dwordx4 v[54:57], v[36:37], off
	global_load_dwordx4 v[66:69], v[38:39], off
	v_lshlrev_b64 v[36:37], 2, v[58:59]
	v_mov_b32_e32 v38, s1
	v_add_co_u32_e32 v36, vcc, s0, v36
	v_addc_co_u32_e32 v37, vcc, v38, v37, vcc
	v_add_co_u32_e32 v36, vcc, v36, v34
	v_addc_co_u32_e32 v37, vcc, v37, v35, vcc
	global_load_dwordx4 v[70:73], v[36:37], off
	v_lshlrev_b64 v[36:37], 2, v[60:61]
	v_add_co_u32_e32 v36, vcc, s0, v36
	v_addc_co_u32_e32 v37, vcc, v38, v37, vcc
	v_add_co_u32_e32 v36, vcc, v36, v34
	v_addc_co_u32_e32 v37, vcc, v37, v35, vcc
	global_load_dwordx4 v[58:61], v[36:37], off
	v_add_u32_e32 v36, 0, v136
	v_add_u32_e32 v37, v36, v105
	s_waitcnt vmcnt(9)
	ds_write_b32 v37, v74 offset:33792
	v_add_u32_e32 v36, v36, v106
	v_lshlrev_b32_e32 v74, 2, v40
	s_waitcnt vmcnt(8)
	ds_write_b32 v36, v75 offset:33792
	v_add3_u32 v36, 0, v109, v74
	v_add3_u32 v37, 0, v254, v74
	;; [unrolled: 1-line block ×6, first 2 shown]
	s_mov_b32 s0, 0x3f200000
	s_waitcnt vmcnt(7)
	ds_write_b128 v36, v[42:45]
	v_accvgpr_read_b32 v44, a8
	v_add_u32_e32 v44, 0, v44
	v_accvgpr_read_b32 v45, a9
	s_waitcnt vmcnt(6)
	ds_write_b128 v37, v[46:49]
	v_add3_u32 v42, 0, v119, v74
	v_add3_u32 v43, 0, v120, v74
	;; [unrolled: 1-line block ×3, first 2 shown]
	v_add_u32_e32 v49, 0x4000, v48
	s_waitcnt vmcnt(5)
	ds_write_b128 v38, v[50:53]
	s_waitcnt vmcnt(4)
	ds_write_b128 v39, v[62:65]
	;; [unrolled: 2-line block ×6, first 2 shown]
	s_waitcnt lgkmcnt(0)
	s_barrier
	ds_read2_b64 v[44:47], v48 offset1:4
	s_waitcnt lgkmcnt(0)
	v_mfma_f32_16x16x16f16 a[0:3], v[44:45], v[28:29], 0
	v_mfma_f32_16x16x16f16 a[0:3], v[46:47], v[30:31], a[0:3]
	ds_read2_b64 v[44:47], v48 offset0:8 offset1:12
	s_waitcnt lgkmcnt(0)
	v_mfma_f32_16x16x16f16 a[0:3], v[44:45], v[24:25], a[0:3]
	v_mfma_f32_16x16x16f16 a[0:3], v[46:47], v[26:27], a[0:3]
	ds_read2_b64 v[44:47], v48 offset0:16 offset1:20
	;; [unrolled: 4-line block ×5, first 2 shown]
	ds_read2_b64 v[28:31], v48 offset0:32 offset1:36
	s_waitcnt lgkmcnt(1)
	v_mfma_f32_16x16x16f16 a[4:7], v[44:45], v[24:25], a[4:7]
	v_mfma_f32_16x16x16f16 a[4:7], v[46:47], v[26:27], a[4:7]
	ds_read2_b64 v[24:27], v49 offset0:80 offset1:84
	s_waitcnt lgkmcnt(0)
	v_mfma_f32_16x16x16f16 a[4:7], v[24:25], v[20:21], a[4:7]
	v_mfma_f32_16x16x16f16 a[4:7], v[26:27], v[22:23], a[4:7]
	;; [unrolled: 4-line block ×3, first 2 shown]
	ds_read2_b64 v[16:19], v49 offset0:96 offset1:100
	v_mfma_f32_16x16x16f16 a[0:3], v[28:29], v[12:13], a[0:3]
	s_waitcnt lgkmcnt(0)
	v_mfma_f32_16x16x16f16 a[4:7], v[16:17], v[12:13], a[4:7]
	v_mfma_f32_16x16x16f16 a[0:3], v[30:31], v[14:15], a[0:3]
	;; [unrolled: 1-line block ×3, first 2 shown]
	ds_read2_b64 v[12:15], v48 offset0:40 offset1:44
	ds_read2_b64 v[16:19], v49 offset0:104 offset1:108
	s_waitcnt lgkmcnt(1)
	v_mfma_f32_16x16x16f16 a[0:3], v[12:13], v[8:9], a[0:3]
	v_mfma_f32_16x16x16f16 a[0:3], v[14:15], v[10:11], a[0:3]
	ds_read2_b64 v[12:15], v48 offset0:48 offset1:52
	s_waitcnt lgkmcnt(0)
	v_mfma_f32_16x16x16f16 a[0:3], v[12:13], v[4:5], a[0:3]
	v_mfma_f32_16x16x16f16 a[0:3], v[14:15], v[6:7], a[0:3]
	ds_read2_b64 v[12:15], v48 offset0:56 offset1:60
	v_mfma_f32_16x16x16f16 a[8:11], v[16:17], v[8:9], a[4:7]
	s_waitcnt lgkmcnt(0)
	v_mfma_f32_16x16x16f16 a[0:3], v[12:13], v[0:1], a[0:3]
	v_mfma_f32_16x16x16f16 a[4:7], v[14:15], v[2:3], a[0:3]
	;; [unrolled: 1-line block ×3, first 2 shown]
	ds_read2_b64 v[8:11], v49 offset0:112 offset1:116
	s_waitcnt lgkmcnt(0)
	v_mfma_f32_16x16x16f16 a[0:3], v[8:9], v[4:5], a[0:3]
                                        ; implicit-def: $vgpr8
	v_mfma_f32_16x16x16f16 a[0:3], v[10:11], v[6:7], a[0:3]
	ds_read2_b64 v[4:7], v49 offset0:120 offset1:124
	s_waitcnt lgkmcnt(0)
	s_barrier
	v_mfma_f32_16x16x16f16 a[0:3], v[4:5], v[0:1], a[0:3]
	s_nop 1
	v_accvgpr_read_b32 v4, a4
	v_cmp_nlt_f32_e64 s[0:1], |v4|, s0
	v_mfma_f32_16x16x16f16 a[0:3], v[6:7], v[2:3], a[0:3]
	s_and_saveexec_b64 s[4:5], s[0:1]
	s_xor_b64 s[0:1], exec, s[4:5]
	s_cbranch_execz .LBB30_481
; %bb.480:
	v_add_f32_e64 v0, |v4|, |v4|
	v_mul_f32_e32 v1, 0x3fb8aa3b, v0
	s_mov_b32 s3, 0x3fb8aa3b
	v_rndne_f32_e32 v2, v1
	v_sub_f32_e32 v3, v1, v2
	v_fma_f32 v1, v0, s3, -v1
	v_fmac_f32_e32 v1, 0x32a5705f, v0
	v_add_f32_e32 v1, v3, v1
	v_exp_f32_e32 v1, v1
	v_cvt_i32_f32_e32 v2, v2
	s_mov_b32 s3, 0xc2ce8ed0
	v_cmp_ngt_f32_e32 vcc, s3, v0
	s_mov_b32 s3, 0x42b17218
	v_ldexp_f32 v1, v1, v2
	v_cndmask_b32_e32 v1, 0, v1, vcc
	v_mov_b32_e32 v2, 0x7f800000
	v_cmp_nlt_f32_e32 vcc, s3, v0
	v_cndmask_b32_e32 v0, v2, v1, vcc
	v_add_f32_e32 v0, 1.0, v0
	v_rcp_f32_e32 v0, v0
                                        ; implicit-def: $vgpr4
	v_fma_f32 v8, v0, -2.0, 1.0
.LBB30_481:
	s_or_saveexec_b64 s[0:1], s[0:1]
	v_accvgpr_read_b32 v0, a4
	v_accvgpr_read_b32 v1, a5
	;; [unrolled: 1-line block ×11, first 2 shown]
	s_xor_b64 exec, exec, s[0:1]
; %bb.482:
	v_mul_f32_e32 v5, v4, v4
	v_mov_b32_e32 v6, 0x3ca908c9
	v_fmac_f32_e32 v6, 0xbbbac73d, v5
	v_mov_b32_e32 v7, 0xbd5c1c4e
	v_fmac_f32_e32 v7, v5, v6
	;; [unrolled: 2-line block ×4, first 2 shown]
	v_mul_f32_e64 v6, |v4|, v7
	v_fma_f32 v8, v5, v6, |v4|
; %bb.483:
	s_or_b64 exec, exec, s[0:1]
	s_mov_b32 s0, 0x3f200000
	v_cmp_nlt_f32_e64 s[0:1], |v1|, s0
                                        ; implicit-def: $vgpr9
	s_and_saveexec_b64 s[4:5], s[0:1]
	s_xor_b64 s[0:1], exec, s[4:5]
	s_cbranch_execz .LBB30_485
; %bb.484:
	v_add_f32_e64 v4, |v1|, |v1|
	v_mul_f32_e32 v5, 0x3fb8aa3b, v4
	s_mov_b32 s3, 0x3fb8aa3b
	v_rndne_f32_e32 v6, v5
	v_sub_f32_e32 v7, v5, v6
	v_fma_f32 v5, v4, s3, -v5
	v_fmac_f32_e32 v5, 0x32a5705f, v4
	v_add_f32_e32 v5, v7, v5
	v_exp_f32_e32 v5, v5
	v_cvt_i32_f32_e32 v6, v6
	s_mov_b32 s3, 0xc2ce8ed0
	v_cmp_ngt_f32_e32 vcc, s3, v4
	s_mov_b32 s3, 0x42b17218
	v_ldexp_f32 v5, v5, v6
	v_cndmask_b32_e32 v5, 0, v5, vcc
	v_mov_b32_e32 v6, 0x7f800000
	v_cmp_nlt_f32_e32 vcc, s3, v4
	v_cndmask_b32_e32 v4, v6, v5, vcc
	v_add_f32_e32 v4, 1.0, v4
	v_rcp_f32_e32 v4, v4
	v_fma_f32 v9, v4, -2.0, 1.0
.LBB30_485:
	s_andn2_saveexec_b64 s[0:1], s[0:1]
; %bb.486:
	v_mul_f32_e32 v4, v1, v1
	v_mov_b32_e32 v5, 0x3ca908c9
	v_fmac_f32_e32 v5, 0xbbbac73d, v4
	v_mov_b32_e32 v6, 0xbd5c1c4e
	v_fmac_f32_e32 v6, v4, v5
	v_mov_b32_e32 v5, 0x3e088382
	v_fmac_f32_e32 v5, v4, v6
	v_mov_b32_e32 v6, 0xbeaaaa99
	v_fmac_f32_e32 v6, v4, v5
	v_mul_f32_e64 v5, |v1|, v6
	v_fma_f32 v9, v4, v5, |v1|
; %bb.487:
	s_or_b64 exec, exec, s[0:1]
	s_mov_b32 s0, 0x3f200000
	v_cmp_nlt_f32_e64 s[0:1], |v2|, s0
                                        ; implicit-def: $vgpr10
	s_and_saveexec_b64 s[4:5], s[0:1]
	s_xor_b64 s[0:1], exec, s[4:5]
	s_cbranch_execz .LBB30_489
; %bb.488:
	v_add_f32_e64 v4, |v2|, |v2|
	v_mul_f32_e32 v5, 0x3fb8aa3b, v4
	s_mov_b32 s3, 0x3fb8aa3b
	v_rndne_f32_e32 v6, v5
	v_sub_f32_e32 v7, v5, v6
	v_fma_f32 v5, v4, s3, -v5
	v_fmac_f32_e32 v5, 0x32a5705f, v4
	v_add_f32_e32 v5, v7, v5
	v_exp_f32_e32 v5, v5
	v_cvt_i32_f32_e32 v6, v6
	s_mov_b32 s3, 0xc2ce8ed0
	v_cmp_ngt_f32_e32 vcc, s3, v4
	s_mov_b32 s3, 0x42b17218
	v_ldexp_f32 v5, v5, v6
	v_cndmask_b32_e32 v5, 0, v5, vcc
	v_mov_b32_e32 v6, 0x7f800000
	v_cmp_nlt_f32_e32 vcc, s3, v4
	v_cndmask_b32_e32 v4, v6, v5, vcc
	v_add_f32_e32 v4, 1.0, v4
	v_rcp_f32_e32 v4, v4
	v_fma_f32 v10, v4, -2.0, 1.0
.LBB30_489:
	s_andn2_saveexec_b64 s[0:1], s[0:1]
; %bb.490:
	v_mul_f32_e32 v4, v2, v2
	v_mov_b32_e32 v5, 0x3ca908c9
	v_fmac_f32_e32 v5, 0xbbbac73d, v4
	v_mov_b32_e32 v6, 0xbd5c1c4e
	v_fmac_f32_e32 v6, v4, v5
	;; [unrolled: 2-line block ×4, first 2 shown]
	v_mul_f32_e64 v5, |v2|, v6
	v_fma_f32 v10, v4, v5, |v2|
; %bb.491:
	s_or_b64 exec, exec, s[0:1]
	s_mov_b32 s0, 0x3f200000
	v_cmp_nlt_f32_e64 s[0:1], |v3|, s0
                                        ; implicit-def: $vgpr11
	s_and_saveexec_b64 s[4:5], s[0:1]
	s_xor_b64 s[0:1], exec, s[4:5]
	s_cbranch_execz .LBB30_493
; %bb.492:
	v_add_f32_e64 v4, |v3|, |v3|
	v_mul_f32_e32 v5, 0x3fb8aa3b, v4
	s_mov_b32 s3, 0x3fb8aa3b
	v_rndne_f32_e32 v6, v5
	v_sub_f32_e32 v7, v5, v6
	v_fma_f32 v5, v4, s3, -v5
	v_fmac_f32_e32 v5, 0x32a5705f, v4
	v_add_f32_e32 v5, v7, v5
	v_exp_f32_e32 v5, v5
	v_cvt_i32_f32_e32 v6, v6
	s_mov_b32 s3, 0xc2ce8ed0
	v_cmp_ngt_f32_e32 vcc, s3, v4
	s_mov_b32 s3, 0x42b17218
	v_ldexp_f32 v5, v5, v6
	v_cndmask_b32_e32 v5, 0, v5, vcc
	v_mov_b32_e32 v6, 0x7f800000
	v_cmp_nlt_f32_e32 vcc, s3, v4
	v_cndmask_b32_e32 v4, v6, v5, vcc
	v_add_f32_e32 v4, 1.0, v4
	v_rcp_f32_e32 v4, v4
	v_fma_f32 v11, v4, -2.0, 1.0
.LBB30_493:
	s_or_saveexec_b64 s[0:1], s[0:1]
	v_accvgpr_read_b32 v7, a3
	v_accvgpr_read_b32 v6, a2
	;; [unrolled: 1-line block ×4, first 2 shown]
	s_xor_b64 exec, exec, s[0:1]
; %bb.494:
	v_mul_f32_e32 v11, v3, v3
	v_mov_b32_e32 v12, 0x3ca908c9
	v_fmac_f32_e32 v12, 0xbbbac73d, v11
	v_mov_b32_e32 v13, 0xbd5c1c4e
	v_fmac_f32_e32 v13, v11, v12
	v_mov_b32_e32 v12, 0x3e088382
	v_fmac_f32_e32 v12, v11, v13
	v_mov_b32_e32 v13, 0xbeaaaa99
	v_fmac_f32_e32 v13, v11, v12
	v_mul_f32_e64 v12, |v3|, v13
	v_fma_f32 v11, v11, v12, |v3|
; %bb.495:
	s_or_b64 exec, exec, s[0:1]
	s_mov_b32 s0, 0x3f200000
	v_cmp_nlt_f32_e64 s[0:1], |v4|, s0
                                        ; implicit-def: $vgpr12
	s_and_saveexec_b64 s[4:5], s[0:1]
	s_xor_b64 s[0:1], exec, s[4:5]
	s_cbranch_execz .LBB30_497
; %bb.496:
	v_add_f32_e64 v12, |v4|, |v4|
	v_mul_f32_e32 v13, 0x3fb8aa3b, v12
	s_mov_b32 s3, 0x3fb8aa3b
	v_rndne_f32_e32 v14, v13
	v_sub_f32_e32 v15, v13, v14
	v_fma_f32 v13, v12, s3, -v13
	v_fmac_f32_e32 v13, 0x32a5705f, v12
	v_add_f32_e32 v13, v15, v13
	v_exp_f32_e32 v13, v13
	v_cvt_i32_f32_e32 v14, v14
	s_mov_b32 s3, 0xc2ce8ed0
	v_cmp_ngt_f32_e32 vcc, s3, v12
	s_mov_b32 s3, 0x42b17218
	v_ldexp_f32 v13, v13, v14
	v_cndmask_b32_e32 v13, 0, v13, vcc
	v_mov_b32_e32 v14, 0x7f800000
	v_cmp_nlt_f32_e32 vcc, s3, v12
	v_cndmask_b32_e32 v12, v14, v13, vcc
	v_add_f32_e32 v12, 1.0, v12
	v_rcp_f32_e32 v12, v12
	v_fma_f32 v12, v12, -2.0, 1.0
.LBB30_497:
	s_andn2_saveexec_b64 s[0:1], s[0:1]
; %bb.498:
	v_mul_f32_e32 v12, v4, v4
	v_mov_b32_e32 v13, 0x3ca908c9
	v_fmac_f32_e32 v13, 0xbbbac73d, v12
	v_mov_b32_e32 v14, 0xbd5c1c4e
	v_fmac_f32_e32 v14, v12, v13
	;; [unrolled: 2-line block ×4, first 2 shown]
	v_mul_f32_e64 v13, |v4|, v14
	v_fma_f32 v12, v12, v13, |v4|
; %bb.499:
	s_or_b64 exec, exec, s[0:1]
	s_mov_b32 s0, 0x3f200000
	v_cmp_nlt_f32_e64 s[0:1], |v5|, s0
                                        ; implicit-def: $vgpr13
	s_and_saveexec_b64 s[4:5], s[0:1]
	s_xor_b64 s[0:1], exec, s[4:5]
	s_cbranch_execz .LBB30_501
; %bb.500:
	v_add_f32_e64 v13, |v5|, |v5|
	v_mul_f32_e32 v14, 0x3fb8aa3b, v13
	s_mov_b32 s3, 0x3fb8aa3b
	v_rndne_f32_e32 v15, v14
	v_sub_f32_e32 v16, v14, v15
	v_fma_f32 v14, v13, s3, -v14
	v_fmac_f32_e32 v14, 0x32a5705f, v13
	v_add_f32_e32 v14, v16, v14
	v_exp_f32_e32 v14, v14
	v_cvt_i32_f32_e32 v15, v15
	s_mov_b32 s3, 0xc2ce8ed0
	v_cmp_ngt_f32_e32 vcc, s3, v13
	s_mov_b32 s3, 0x42b17218
	v_ldexp_f32 v14, v14, v15
	v_cndmask_b32_e32 v14, 0, v14, vcc
	v_mov_b32_e32 v15, 0x7f800000
	v_cmp_nlt_f32_e32 vcc, s3, v13
	v_cndmask_b32_e32 v13, v15, v14, vcc
	v_add_f32_e32 v13, 1.0, v13
	v_rcp_f32_e32 v13, v13
	v_fma_f32 v13, v13, -2.0, 1.0
.LBB30_501:
	s_andn2_saveexec_b64 s[0:1], s[0:1]
; %bb.502:
	v_mul_f32_e32 v13, v5, v5
	v_mov_b32_e32 v14, 0x3ca908c9
	v_fmac_f32_e32 v14, 0xbbbac73d, v13
	v_mov_b32_e32 v15, 0xbd5c1c4e
	v_fmac_f32_e32 v15, v13, v14
	;; [unrolled: 2-line block ×4, first 2 shown]
	v_mul_f32_e64 v14, |v5|, v15
	v_fma_f32 v13, v13, v14, |v5|
; %bb.503:
	s_or_b64 exec, exec, s[0:1]
	s_mov_b32 s0, 0x3f200000
	v_cmp_nlt_f32_e64 s[0:1], |v6|, s0
                                        ; implicit-def: $vgpr14
	s_and_saveexec_b64 s[4:5], s[0:1]
	s_xor_b64 s[0:1], exec, s[4:5]
	s_cbranch_execz .LBB30_505
; %bb.504:
	v_add_f32_e64 v14, |v6|, |v6|
	v_mul_f32_e32 v15, 0x3fb8aa3b, v14
	s_mov_b32 s3, 0x3fb8aa3b
	v_rndne_f32_e32 v16, v15
	v_sub_f32_e32 v17, v15, v16
	v_fma_f32 v15, v14, s3, -v15
	v_fmac_f32_e32 v15, 0x32a5705f, v14
	v_add_f32_e32 v15, v17, v15
	v_exp_f32_e32 v15, v15
	v_cvt_i32_f32_e32 v16, v16
	s_mov_b32 s3, 0xc2ce8ed0
	v_cmp_ngt_f32_e32 vcc, s3, v14
	s_mov_b32 s3, 0x42b17218
	v_ldexp_f32 v15, v15, v16
	v_cndmask_b32_e32 v15, 0, v15, vcc
	v_mov_b32_e32 v16, 0x7f800000
	v_cmp_nlt_f32_e32 vcc, s3, v14
	v_cndmask_b32_e32 v14, v16, v15, vcc
	v_add_f32_e32 v14, 1.0, v14
	v_rcp_f32_e32 v14, v14
	v_fma_f32 v14, v14, -2.0, 1.0
.LBB30_505:
	s_andn2_saveexec_b64 s[0:1], s[0:1]
; %bb.506:
	v_mul_f32_e32 v14, v6, v6
	v_mov_b32_e32 v15, 0x3ca908c9
	v_fmac_f32_e32 v15, 0xbbbac73d, v14
	v_mov_b32_e32 v16, 0xbd5c1c4e
	v_fmac_f32_e32 v16, v14, v15
	;; [unrolled: 2-line block ×4, first 2 shown]
	v_mul_f32_e64 v15, |v6|, v16
	v_fma_f32 v14, v14, v15, |v6|
; %bb.507:
	s_or_b64 exec, exec, s[0:1]
	s_mov_b32 s0, 0x3f200000
	v_cmp_nlt_f32_e64 s[0:1], |v7|, s0
                                        ; implicit-def: $vgpr15
	s_and_saveexec_b64 s[4:5], s[0:1]
	s_xor_b64 s[0:1], exec, s[4:5]
	s_cbranch_execz .LBB30_509
; %bb.508:
	v_add_f32_e64 v15, |v7|, |v7|
	v_mul_f32_e32 v16, 0x3fb8aa3b, v15
	s_mov_b32 s3, 0x3fb8aa3b
	v_rndne_f32_e32 v17, v16
	v_sub_f32_e32 v18, v16, v17
	v_fma_f32 v16, v15, s3, -v16
	v_fmac_f32_e32 v16, 0x32a5705f, v15
	v_add_f32_e32 v16, v18, v16
	v_exp_f32_e32 v16, v16
	v_cvt_i32_f32_e32 v17, v17
	s_mov_b32 s3, 0xc2ce8ed0
	v_cmp_ngt_f32_e32 vcc, s3, v15
	s_mov_b32 s3, 0x42b17218
	v_ldexp_f32 v16, v16, v17
	v_cndmask_b32_e32 v16, 0, v16, vcc
	v_mov_b32_e32 v17, 0x7f800000
	v_cmp_nlt_f32_e32 vcc, s3, v15
	v_cndmask_b32_e32 v15, v17, v16, vcc
	v_add_f32_e32 v15, 1.0, v15
	v_rcp_f32_e32 v15, v15
	v_fma_f32 v15, v15, -2.0, 1.0
.LBB30_509:
	s_andn2_saveexec_b64 s[0:1], s[0:1]
; %bb.510:
	v_mul_f32_e32 v15, v7, v7
	v_mov_b32_e32 v16, 0x3ca908c9
	v_fmac_f32_e32 v16, 0xbbbac73d, v15
	v_mov_b32_e32 v17, 0xbd5c1c4e
	v_fmac_f32_e32 v17, v15, v16
	;; [unrolled: 2-line block ×4, first 2 shown]
	v_mul_f32_e64 v16, |v7|, v17
	v_fma_f32 v15, v15, v16, |v7|
; %bb.511:
	s_or_b64 exec, exec, s[0:1]
	s_brev_b32 s0, -2
	v_bfi_b32 v2, s0, v10, v2
	v_bfi_b32 v10, s0, v8, v0
	v_accvgpr_read_b32 v87, a16
	v_accvgpr_read_b32 v0, a21
	v_and_b32_e32 v72, 0xfc, v87
	v_lshrrev_b32_e32 v0, 1, v0
	v_bfi_b32 v3, s0, v11, v3
	v_bfi_b32 v11, s0, v9, v1
	v_mul_u32_u24_e32 v0, 0x90, v0
	v_add_lshl_u32 v1, v94, v72, 1
	v_add3_u32 v0, 0, v0, v1
	v_add_u32_e32 v0, 0x8400, v0
	v_bfi_b32 v5, s0, v13, v5
	v_bfi_b32 v4, s0, v12, v4
	ds_read2_b32 v[12:13], v0 offset1:1
	ds_read2_b32 v[0:1], v0 offset0:16 offset1:17
	v_bfi_b32 v7, s0, v15, v7
	v_bfi_b32 v6, s0, v14, v6
	v_accvgpr_read_b32 v8, a20
	v_mbcnt_hi_u32_b32 v9, -1, v8
	s_waitcnt lgkmcnt(0)
	v_cvt_f32_f16_e32 v14, v1
	v_cvt_f32_f16_sdwa v15, v1 dst_sel:DWORD dst_unused:UNUSED_PAD src0_sel:WORD_1
	v_cvt_f32_f16_e32 v16, v0
	v_cvt_f32_f16_sdwa v17, v0 dst_sel:DWORD dst_unused:UNUSED_PAD src0_sel:WORD_1
	v_and_b32_e32 v8, 64, v9
	v_pk_fma_f32 v[0:1], v[6:7], s[34:35], v[14:15] op_sel_hi:[1,0,1]
	v_cvt_f32_f16_e32 v14, v12
	v_cvt_f32_f16_sdwa v15, v12 dst_sel:DWORD dst_unused:UNUSED_PAD src0_sel:WORD_1
	v_pk_fma_f32 v[6:7], v[4:5], s[34:35], v[16:17] op_sel_hi:[1,0,1]
	v_cvt_f32_f16_e32 v4, v13
	v_cvt_f32_f16_sdwa v5, v13 dst_sel:DWORD dst_unused:UNUSED_PAD src0_sel:WORD_1
	v_pk_fma_f32 v[10:11], v[10:11], s[34:35], v[14:15] op_sel_hi:[1,0,1]
	v_add_f32_e32 v12, 0x40051340, v10
	v_add_f32_e32 v14, 0x40051340, v11
	v_pk_fma_f32 v[2:3], v[2:3], s[34:35], v[4:5] op_sel_hi:[1,0,1]
	v_add_u32_e32 v18, 64, v8
	v_xor_b32_e32 v8, 32, v9
	v_add_f32_e32 v4, 0x40051340, v2
	v_add_f32_e32 v5, 0x40051340, v3
	v_max3_f32 v12, v32, v12, v14
	v_cmp_lt_i32_e32 vcc, v8, v18
	v_add_f32_e32 v16, 0x40051340, v6
	v_add_f32_e32 v13, 0x40051340, v7
	v_max3_f32 v4, v12, v4, v5
	v_cndmask_b32_e32 v8, v9, v8, vcc
	v_add_f32_e32 v19, 0x40051340, v0
	v_add_f32_e32 v20, 0x40051340, v1
	v_max3_f32 v4, v4, v16, v13
	v_lshlrev_b32_e32 v8, 2, v8
	v_max3_f32 v4, v4, v19, v20
	ds_bpermute_b32 v12, v8, v4
	v_xor_b32_e32 v5, 16, v9
	v_cmp_lt_i32_e32 vcc, v5, v18
	v_cndmask_b32_e32 v5, v9, v5, vcc
	v_lshlrev_b32_e32 v5, 2, v5
	s_waitcnt lgkmcnt(0)
	v_max_f32_e32 v9, v12, v12
	v_max_f32_e32 v4, v4, v9
	ds_bpermute_b32 v9, v5, v4
	s_mov_b32 s3, 0x3fb8aa3b
	s_mov_b32 s0, 0xc2ce8ed0
	;; [unrolled: 1-line block ×3, first 2 shown]
	v_mov_b32_e32 v73, 0x7f800000
	s_waitcnt lgkmcnt(0)
	v_max_f32_e32 v9, v9, v9
	v_max_f32_e32 v4, v4, v9
	v_pk_add_f32 v[10:11], v[10:11], v[4:5] op_sel_hi:[1,0] neg_lo:[0,1] neg_hi:[0,1]
	v_mul_f32_e32 v9, 0x3fb8aa3b, v11
	v_fma_f32 v12, v11, s3, -v9
	v_rndne_f32_e32 v13, v9
	v_fmac_f32_e32 v12, 0x32a5705f, v11
	v_sub_f32_e32 v9, v9, v13
	v_add_f32_e32 v9, v9, v12
	v_exp_f32_e32 v9, v9
	v_cvt_i32_f32_e32 v12, v13
	v_cmp_ngt_f32_e32 vcc, s0, v11
	s_mul_hi_i32 s5, s2, s30
	s_mul_i32 s4, s2, s30
	v_ldexp_f32 v9, v9, v12
	v_mul_f32_e32 v12, 0x3fb8aa3b, v10
	v_fma_f32 v13, v10, s3, -v12
	v_rndne_f32_e32 v14, v12
	v_fmac_f32_e32 v13, 0x32a5705f, v10
	v_sub_f32_e32 v12, v12, v14
	v_add_f32_e32 v12, v12, v13
	v_exp_f32_e32 v12, v12
	v_cvt_i32_f32_e32 v13, v14
	v_cndmask_b32_e32 v9, 0, v9, vcc
	v_cmp_nlt_f32_e32 vcc, s1, v11
	v_cndmask_b32_e32 v9, v73, v9, vcc
	v_ldexp_f32 v11, v12, v13
	v_pk_add_f32 v[12:13], v[2:3], v[4:5] op_sel_hi:[1,0] neg_lo:[0,1] neg_hi:[0,1]
	v_mul_f32_e32 v2, 0x3fb8aa3b, v13
	v_fma_f32 v3, v13, s3, -v2
	v_rndne_f32_e32 v14, v2
	v_fmac_f32_e32 v3, 0x32a5705f, v13
	v_sub_f32_e32 v2, v2, v14
	v_add_f32_e32 v2, v2, v3
	v_exp_f32_e32 v2, v2
	v_cvt_i32_f32_e32 v3, v14
	v_cmp_ngt_f32_e32 vcc, s0, v10
	v_cndmask_b32_e32 v11, 0, v11, vcc
	v_cmp_nlt_f32_e32 vcc, s1, v10
	v_ldexp_f32 v2, v2, v3
	v_mul_f32_e32 v3, 0x3fb8aa3b, v12
	v_cndmask_b32_e32 v10, v73, v11, vcc
	v_fma_f32 v11, v12, s3, -v3
	v_rndne_f32_e32 v14, v3
	v_fmac_f32_e32 v11, 0x32a5705f, v12
	v_sub_f32_e32 v3, v3, v14
	v_add_f32_e32 v3, v3, v11
	v_exp_f32_e32 v3, v3
	v_cvt_i32_f32_e32 v14, v14
	v_cmp_ngt_f32_e32 vcc, s0, v13
	v_cndmask_b32_e32 v2, 0, v2, vcc
	v_cmp_nlt_f32_e32 vcc, s1, v13
	v_cndmask_b32_e32 v11, v73, v2, vcc
	v_ldexp_f32 v13, v3, v14
	v_pk_add_f32 v[2:3], v[6:7], v[4:5] op_sel_hi:[1,0] neg_lo:[0,1] neg_hi:[0,1]
	v_mul_f32_e32 v6, 0x3fb8aa3b, v3
	v_fma_f32 v7, v3, s3, -v6
	v_rndne_f32_e32 v14, v6
	v_fmac_f32_e32 v7, 0x32a5705f, v3
	v_sub_f32_e32 v6, v6, v14
	v_add_f32_e32 v6, v6, v7
	v_exp_f32_e32 v6, v6
	v_cvt_i32_f32_e32 v7, v14
	v_cmp_ngt_f32_e32 vcc, s0, v12
	v_cndmask_b32_e32 v13, 0, v13, vcc
	v_cmp_nlt_f32_e32 vcc, s1, v12
	v_cndmask_b32_e32 v12, v73, v13, vcc
	v_ldexp_f32 v13, v6, v7
	v_mul_f32_e32 v6, 0x3fb8aa3b, v2
	v_fma_f32 v7, v2, s3, -v6
	v_rndne_f32_e32 v74, v6
	v_fmac_f32_e32 v7, 0x32a5705f, v2
	v_sub_f32_e32 v6, v6, v74
	v_add_f32_e32 v75, v6, v7
	s_lshl_b64 s[4:5], s[4:5], 2
	v_mul_lo_u32 v6, v84, s30
	s_add_u32 s2, s6, s4
	v_ashrrev_i32_e32 v7, 31, v6
	s_addc_u32 s4, s7, s5
	v_lshlrev_b64 v[6:7], 2, v[6:7]
	v_mov_b32_e32 v14, s4
	v_add_co_u32_e32 v6, vcc, s2, v6
	v_addc_co_u32_e32 v7, vcc, v14, v7, vcc
	v_mul_lo_u32 v14, v85, s30
	v_add_co_u32_e32 v6, vcc, v6, v34
	v_ashrrev_i32_e32 v15, 31, v14
	v_addc_co_u32_e32 v7, vcc, v7, v35, vcc
	v_lshlrev_b64 v[14:15], 2, v[14:15]
	v_mov_b32_e32 v16, s4
	v_add_co_u32_e32 v14, vcc, s2, v14
	v_addc_co_u32_e32 v15, vcc, v16, v15, vcc
	v_mul_lo_u32 v16, v21, s30
	v_add_co_u32_e32 v14, vcc, v14, v34
	v_ashrrev_i32_e32 v17, 31, v16
	v_addc_co_u32_e32 v15, vcc, v15, v35, vcc
	;; [unrolled: 8-line block ×7, first 2 shown]
	v_lshlrev_b64 v[26:27], 2, v[26:27]
	v_mov_b32_e32 v28, s4
	v_add_co_u32_e32 v26, vcc, s2, v26
	v_addc_co_u32_e32 v27, vcc, v28, v27, vcc
	v_add_co_u32_e32 v26, vcc, v26, v34
	v_addc_co_u32_e32 v27, vcc, v27, v35, vcc
	global_load_dwordx4 v[28:31], v[6:7], off
	global_load_dwordx4 v[44:47], v[14:15], off
	;; [unrolled: 1-line block ×8, first 2 shown]
	v_exp_f32_e32 v6, v75
	v_cvt_i32_f32_e32 v7, v74
	v_cmp_ngt_f32_e32 vcc, s0, v3
	v_pk_add_f32 v[0:1], v[0:1], v[4:5] op_sel_hi:[1,0] neg_lo:[0,1] neg_hi:[0,1]
	v_cndmask_b32_e32 v13, 0, v13, vcc
	v_cmp_nlt_f32_e32 vcc, s1, v3
	v_ldexp_f32 v3, v6, v7
	v_mul_f32_e32 v6, 0x3fb8aa3b, v1
	v_fma_f32 v7, v1, s3, -v6
	v_rndne_f32_e32 v14, v6
	v_fmac_f32_e32 v7, 0x32a5705f, v1
	v_sub_f32_e32 v6, v6, v14
	v_add_f32_e32 v6, v6, v7
	v_exp_f32_e32 v6, v6
	v_cvt_i32_f32_e32 v7, v14
	v_cndmask_b32_e32 v13, v73, v13, vcc
	v_cmp_ngt_f32_e32 vcc, s0, v2
	v_cndmask_b32_e32 v3, 0, v3, vcc
	v_cmp_nlt_f32_e32 vcc, s1, v2
	v_cndmask_b32_e32 v15, v73, v3, vcc
	v_mul_f32_e32 v3, 0x3fb8aa3b, v0
	v_ldexp_f32 v2, v6, v7
	v_fma_f32 v6, v0, s3, -v3
	v_rndne_f32_e32 v7, v3
	v_fmac_f32_e32 v6, 0x32a5705f, v0
	v_sub_f32_e32 v3, v3, v7
	v_add_f32_e32 v3, v3, v6
	v_cvt_i32_f32_e32 v6, v7
	v_sub_f32_e32 v7, v32, v4
	v_mul_f32_e32 v14, 0x3fb8aa3b, v7
	v_fma_f32 v16, v7, s3, -v14
	v_rndne_f32_e32 v17, v14
	v_fmac_f32_e32 v16, 0x32a5705f, v7
	v_sub_f32_e32 v14, v14, v17
	v_add_f32_e32 v14, v14, v16
	v_exp_f32_e32 v14, v14
	v_cvt_i32_f32_e32 v17, v17
	v_cmp_ngt_f32_e32 vcc, s0, v1
	v_cndmask_b32_e32 v2, 0, v2, vcc
	v_exp_f32_e32 v3, v3
	v_cmp_nlt_f32_e32 vcc, s1, v1
	v_cndmask_b32_e32 v16, v73, v2, vcc
	v_ldexp_f32 v2, v14, v17
	v_cmp_ngt_f32_e32 vcc, s0, v7
	v_cndmask_b32_e32 v2, 0, v2, vcc
	v_cmp_nlt_f32_e32 vcc, s1, v7
	s_mov_b32 s2, 0xc1a00000
	v_cndmask_b32_e32 v2, v73, v2, vcc
	v_cmp_le_f32_e32 vcc, s2, v7
	v_ldexp_f32 v1, v3, v6
	v_cndmask_b32_e32 v14, 0, v2, vcc
	v_cmp_ngt_f32_e32 vcc, s0, v0
	v_cndmask_b32_e32 v1, 0, v1, vcc
	v_cmp_nlt_f32_e32 vcc, s1, v0
	v_cvt_f16_f32_e32 v0, v9
	v_cvt_f16_f32_e32 v2, v10
	;; [unrolled: 1-line block ×5, first 2 shown]
	v_pack_b32_f16 v6, v2, v0
	v_mul_u32_u24_e32 v0, 0x108, v72
	v_or_b32_e32 v2, 3, v87
	s_movk_i32 s1, 0x420
	v_or_b32_e32 v0, v0, v79
	v_mul_u32_u24_e32 v20, 0x210, v72
	v_mul_u32_u24_e32 v19, 0x210, v2
	v_mad_u32_u24 v2, v83, s1, 0
	v_pk_mul_f16 v32, v18, v135 op_sel_hi:[0,1]
	v_lshlrev_b32_e32 v21, 1, v0
	v_add3_u32 v24, v2, v20, v82
	v_cndmask_b32_e32 v17, v73, v1, vcc
	v_pk_mul_f16 v1, v18, v137 op_sel_hi:[0,1]
	v_pack_b32_f16 v7, v7, v3
	s_waitcnt vmcnt(7)
	ds_write_b128 v36, v[28:31]
	s_waitcnt vmcnt(6)
	ds_write_b128 v37, v[44:47]
	;; [unrolled: 2-line block ×8, first 2 shown]
	s_waitcnt lgkmcnt(0)
	s_barrier
	v_add_u32_e32 v23, v2, v21
	v_add3_u32 v22, v2, v19, v82
	v_cvt_f32_f16_e32 v2, v32
	v_cvt_f32_f16_sdwa v3, v32 dst_sel:DWORD dst_unused:UNUSED_PAD src0_sel:WORD_1
	s_mov_b32 s0, 0x5040100
	ds_read_u16 v29, v24 offset:17424
	ds_read_u16 v28, v22 offset:32
	ds_read_u16 v30, v22 offset:64
	ds_read_u16 v31, v22 offset:96
	ds_read_u16 v32, v22 offset:128
	ds_read_u16 v42, v22
	ds_read_u16 v41, v24 offset:17952
	ds_read_u16 v43, v24 offset:1056
	;; [unrolled: 1-line block ×9, first 2 shown]
	v_cvt_f32_f16_e32 v0, v1
	s_waitcnt lgkmcnt(7)
	v_perm_b32 v43, v42, v43, s0
	ds_read_u16 v48, v24 offset:560
	ds_read_u16 v49, v24 offset:592
	;; [unrolled: 1-line block ×8, first 2 shown]
	ds_read_u16 v44, v23
	ds_read_u16 v54, v23 offset:32
	ds_read_u16 v55, v23 offset:64
	;; [unrolled: 1-line block ×7, first 2 shown]
	v_cvt_f32_f16_sdwa v1, v1 dst_sel:DWORD dst_unused:UNUSED_PAD src0_sel:WORD_1
	s_waitcnt lgkmcnt(7)
	v_perm_b32 v42, v42, v44, s0
	v_accvgpr_write_b32 a0, v0
	v_accvgpr_write_b32 a2, v2
	;; [unrolled: 1-line block ×4, first 2 shown]
	v_cvt_f16_f32_e32 v26, v13
	v_cvt_f16_f32_e32 v27, v15
	v_mfma_f32_16x16x16f16 a[0:3], v[42:43], v[6:7], a[0:3]
	v_mul_u32_u24_e32 v63, 0x420, v83
	v_pk_mul_f16 v25, v18, v139 op_sel_hi:[0,1]
	v_perm_b32 v46, v29, v46, s0
	v_pk_mul_f16 v29, v18, v93 op_sel_hi:[0,1]
	v_cvt_f16_f32_e32 v61, v16
	v_cvt_f16_f32_e32 v62, v17
	s_add_i32 s2, 0, 0x60
	v_perm_b32 v31, v31, v37, s0
	v_pk_mul_f16 v37, v18, v103 op_sel_hi:[0,1]
	v_add_f32_e32 v9, v10, v9
	v_add_f32_e32 v9, v12, v9
	v_accvgpr_read_b32 v0, a0
	v_cvt_f16_f32_e32 v0, v0
	v_accvgpr_read_b32 v1, a1
	v_accvgpr_read_b32 v2, a2
	;; [unrolled: 1-line block ×3, first 2 shown]
	v_cvt_f16_f32_e32 v1, v1
	v_cvt_f16_f32_e32 v2, v2
	;; [unrolled: 1-line block ×3, first 2 shown]
	v_cvt_f32_f16_e32 v42, v0
	v_cvt_f32_f16_e32 v43, v1
	;; [unrolled: 1-line block ×4, first 2 shown]
	v_add3_u32 v0, 0, 32, v63
	v_accvgpr_write_b32 a0, v42
	v_add_u32_e32 v1, v0, v21
	v_add3_u32 v2, v0, v20, v82
	v_add3_u32 v0, v0, v19, v82
	v_accvgpr_write_b32 a1, v43
	v_accvgpr_write_b32 a2, v44
	;; [unrolled: 1-line block ×3, first 2 shown]
	v_cvt_f32_f16_e32 v42, v25
	ds_read_u16 v3, v22 offset:16896
	ds_read_u16 v64, v1 offset:16896
	;; [unrolled: 1-line block ×6, first 2 shown]
	v_pack_b32_f16 v0, v27, v26
	v_cvt_f32_f16_sdwa v43, v25 dst_sel:DWORD dst_unused:UNUSED_PAD src0_sel:WORD_1
	v_cvt_f32_f16_e32 v44, v29
	v_cvt_f32_f16_sdwa v45, v29 dst_sel:DWORD dst_unused:UNUSED_PAD src0_sel:WORD_1
	v_perm_b32 v27, v28, v40, s0
	s_waitcnt lgkmcnt(12)
	v_perm_b32 v26, v48, v54, s0
	v_accvgpr_write_b32 a4, v42
	v_accvgpr_write_b32 a5, v43
	v_accvgpr_write_b32 a6, v44
	v_accvgpr_write_b32 a7, v45
	s_waitcnt lgkmcnt(5)
	v_perm_b32 v47, v3, v41, s0
	s_waitcnt lgkmcnt(1)
	v_perm_b32 v41, v67, v66, s0
	v_mfma_f32_16x16x16f16 a[4:7], v[26:27], v[6:7], a[4:7]
	v_perm_b32 v40, v65, v64, s0
	v_pack_b32_f16 v1, v62, v61
	v_pk_mul_f16 v42, v18, v97 op_sel_hi:[0,1]
	ds_read_u16 v3, v24 offset:1536
	v_add_f32_e32 v9, v11, v9
	v_add_f32_e32 v9, v15, v9
	v_pk_mul_f16 v15, v18, v117 op_sel_hi:[0,1]
	v_mfma_f32_16x16x16f16 a[0:3], v[46:47], v[0:1], a[0:3]
	s_waitcnt lgkmcnt(0)
	v_perm_b32 v3, v2, v3, s0
	v_add_f32_e32 v9, v13, v9
	v_add_f32_e32 v9, v17, v9
	v_accvgpr_read_b32 v26, a5
	v_accvgpr_read_b32 v25, a4
	v_cvt_f16_f32_e32 v27, v26
	v_accvgpr_read_b32 v26, a6
	v_cvt_f16_f32_e32 v25, v25
	v_cvt_f16_f32_e32 v28, v26
	v_accvgpr_read_b32 v26, a7
	v_cvt_f16_f32_e32 v29, v26
	v_cvt_f32_f16_e32 v26, v25
	v_cvt_f32_f16_e32 v27, v27
	;; [unrolled: 1-line block ×4, first 2 shown]
	v_pk_mul_f16 v25, v18, v98 op_sel_hi:[0,1]
	v_accvgpr_write_b32 a4, v26
	v_accvgpr_write_b32 a5, v27
	;; [unrolled: 1-line block ×4, first 2 shown]
	v_cvt_f32_f16_e32 v26, v25
	v_cvt_f32_f16_sdwa v27, v25 dst_sel:DWORD dst_unused:UNUSED_PAD src0_sel:WORD_1
	v_mfma_f32_16x16x16f16 a[4:7], v[40:41], v[0:1], a[4:7]
	v_cvt_f32_f16_e32 v28, v42
	v_cvt_f32_f16_sdwa v29, v42 dst_sel:DWORD dst_unused:UNUSED_PAD src0_sel:WORD_1
	v_perm_b32 v41, v30, v38, s0
	v_perm_b32 v40, v49, v55, s0
	v_accvgpr_write_b32 a8, v26
	v_accvgpr_write_b32 a9, v27
	v_accvgpr_write_b32 a10, v28
	v_accvgpr_write_b32 a11, v29
	v_add_f32_e32 v9, v16, v9
	v_fmac_f32_e32 v9, v33, v14
	v_mfma_f32_16x16x16f16 a[8:11], v[40:41], v[6:7], a[8:11]
	s_movk_i32 s4, 0x210
	s_nop 7
	s_nop 1
	v_accvgpr_read_b32 v26, a9
	v_accvgpr_read_b32 v25, a8
	v_cvt_f16_f32_e32 v27, v26
	v_accvgpr_read_b32 v26, a10
	v_cvt_f16_f32_e32 v25, v25
	v_cvt_f16_f32_e32 v28, v26
	v_accvgpr_read_b32 v26, a11
	v_cvt_f16_f32_e32 v29, v26
	v_add3_u32 v26, 0, 64, v63
	v_add_u32_e32 v30, v26, v21
	v_add3_u32 v38, v26, v20, v82
	v_add3_u32 v40, v26, v19, v82
	v_cvt_f32_f16_e32 v26, v25
	v_mov_b32_e32 v25, s2
	v_cvt_f32_f16_e32 v27, v27
	v_cvt_f32_f16_e32 v28, v28
	v_cvt_f32_f16_e32 v29, v29
	v_mad_u32_u24 v25, v83, s1, v25
	v_add_u32_e32 v41, v25, v21
	v_add3_u32 v42, v25, v20, v82
	v_add3_u32 v25, v25, v19, v82
	ds_read_u16 v30, v30 offset:16896
	ds_read_u16 v43, v38 offset:17424
	;; [unrolled: 1-line block ×8, first 2 shown]
	s_waitcnt lgkmcnt(4)
	v_perm_b32 v41, v40, v38, s0
	v_perm_b32 v40, v43, v30, s0
	v_pk_mul_f16 v30, v18, v100 op_sel_hi:[0,1]
	v_accvgpr_write_b32 a8, v26
	v_pk_mul_f16 v38, v18, v99 op_sel_hi:[0,1]
	v_accvgpr_write_b32 a9, v27
	v_accvgpr_write_b32 a10, v28
	;; [unrolled: 1-line block ×3, first 2 shown]
	v_cvt_f32_f16_e32 v26, v30
	v_cvt_f32_f16_sdwa v27, v30 dst_sel:DWORD dst_unused:UNUSED_PAD src0_sel:WORD_1
	v_cvt_f32_f16_e32 v28, v38
	v_cvt_f32_f16_sdwa v29, v38 dst_sel:DWORD dst_unused:UNUSED_PAD src0_sel:WORD_1
	v_perm_b32 v30, v50, v56, s0
	v_accvgpr_write_b32 a12, v26
	v_accvgpr_write_b32 a13, v27
	;; [unrolled: 1-line block ×4, first 2 shown]
	s_add_i32 s2, 0, 0x80
	v_mfma_f32_16x16x16f16 a[8:11], v[40:41], v[0:1], a[8:11]
	v_mfma_f32_16x16x16f16 a[12:15], v[30:31], v[6:7], a[12:15]
	s_waitcnt lgkmcnt(0)
	v_perm_b32 v31, v25, v42, s0
	v_perm_b32 v30, v45, v44, s0
	v_pk_mul_f16 v25, v18, v104 op_sel_hi:[0,1]
	s_nop 6
	v_accvgpr_read_b32 v26, a12
	v_cvt_f16_f32_e32 v26, v26
	v_accvgpr_read_b32 v27, a13
	v_accvgpr_read_b32 v28, a14
	;; [unrolled: 1-line block ×3, first 2 shown]
	v_cvt_f16_f32_e32 v27, v27
	v_cvt_f16_f32_e32 v28, v28
	;; [unrolled: 1-line block ×3, first 2 shown]
	v_cvt_f32_f16_e32 v26, v26
	v_cvt_f32_f16_e32 v27, v27
	;; [unrolled: 1-line block ×4, first 2 shown]
	v_accvgpr_write_b32 a12, v26
	v_accvgpr_write_b32 a13, v27
	;; [unrolled: 1-line block ×4, first 2 shown]
	v_cvt_f32_f16_e32 v26, v25
	v_cvt_f32_f16_sdwa v27, v25 dst_sel:DWORD dst_unused:UNUSED_PAD src0_sel:WORD_1
	v_mfma_f32_16x16x16f16 a[12:15], v[30:31], v[0:1], a[12:15]
	v_cvt_f32_f16_e32 v28, v37
	v_cvt_f32_f16_sdwa v29, v37 dst_sel:DWORD dst_unused:UNUSED_PAD src0_sel:WORD_1
	v_perm_b32 v31, v32, v35, s0
	v_perm_b32 v30, v51, v57, s0
	v_accvgpr_write_b32 a16, v26
	v_accvgpr_write_b32 a17, v27
	;; [unrolled: 1-line block ×4, first 2 shown]
	s_nop 1
	v_mfma_f32_16x16x16f16 a[16:19], v[30:31], v[6:7], a[16:19]
	s_nop 7
	s_nop 2
	v_accvgpr_read_b32 v25, a16
	v_accvgpr_read_b32 v26, a17
	v_cvt_f16_f32_e32 v25, v25
	v_cvt_f16_f32_e32 v27, v26
	v_accvgpr_read_b32 v26, a18
	v_cvt_f16_f32_e32 v28, v26
	v_accvgpr_read_b32 v26, a19
	v_cvt_f16_f32_e32 v29, v26
	v_mov_b32_e32 v26, s2
	v_mad_u32_u24 v26, v83, s1, v26
	s_add_i32 s2, 0, 0xa0
	v_add_u32_e32 v30, v26, v21
	v_add3_u32 v31, v26, v20, v82
	v_add3_u32 v32, v26, v19, v82
	v_cvt_f32_f16_e32 v26, v25
	v_mov_b32_e32 v25, s2
	v_mad_u32_u24 v25, v83, s1, v25
	v_add_u32_e32 v35, v25, v21
	v_add3_u32 v37, v25, v20, v82
	v_add3_u32 v25, v25, v19, v82
	ds_read_u16 v30, v30 offset:16896
	ds_read_u16 v38, v31 offset:17424
	;; [unrolled: 1-line block ×8, first 2 shown]
	v_cvt_f32_f16_e32 v27, v27
	v_cvt_f32_f16_e32 v28, v28
	v_cvt_f32_f16_e32 v29, v29
	s_waitcnt lgkmcnt(4)
	v_perm_b32 v31, v32, v31, s0
	v_perm_b32 v30, v38, v30, s0
	v_accvgpr_write_b32 a16, v26
	v_pk_mul_f16 v32, v18, v108 op_sel_hi:[0,1]
	v_pk_mul_f16 v38, v18, v107 op_sel_hi:[0,1]
	v_accvgpr_write_b32 a17, v27
	v_accvgpr_write_b32 a18, v28
	;; [unrolled: 1-line block ×3, first 2 shown]
	v_cvt_f32_f16_e32 v26, v32
	v_cvt_f32_f16_sdwa v27, v32 dst_sel:DWORD dst_unused:UNUSED_PAD src0_sel:WORD_1
	v_mfma_f32_16x16x16f16 a[16:19], v[30:31], v[0:1], a[16:19]
	v_cvt_f32_f16_e32 v28, v38
	v_cvt_f32_f16_sdwa v29, v38 dst_sel:DWORD dst_unused:UNUSED_PAD src0_sel:WORD_1
	ds_read_u16 v30, v22 offset:160
	ds_read_u16 v32, v22 offset:192
	;; [unrolled: 1-line block ×8, first 2 shown]
	s_waitcnt lgkmcnt(7)
	v_perm_b32 v31, v30, v34, s0
	v_perm_b32 v30, v52, v58, s0
	v_accvgpr_write_b32 a20, v26
	v_accvgpr_write_b32 a21, v27
	;; [unrolled: 1-line block ×4, first 2 shown]
	v_pk_mul_f16 v34, v18, v114 op_sel_hi:[0,1]
	s_add_i32 s2, 0, 0xc0
	v_mfma_f32_16x16x16f16 a[20:23], v[30:31], v[6:7], a[20:23]
	v_perm_b32 v31, v25, v37, s0
	v_perm_b32 v30, v40, v35, s0
	v_pk_mul_f16 v25, v18, v116 op_sel_hi:[0,1]
	s_nop 7
	v_accvgpr_read_b32 v26, a20
	v_cvt_f16_f32_e32 v26, v26
	v_accvgpr_read_b32 v27, a21
	v_accvgpr_read_b32 v28, a22
	;; [unrolled: 1-line block ×3, first 2 shown]
	v_cvt_f16_f32_e32 v27, v27
	v_cvt_f16_f32_e32 v28, v28
	;; [unrolled: 1-line block ×3, first 2 shown]
	v_cvt_f32_f16_e32 v26, v26
	v_cvt_f32_f16_e32 v27, v27
	;; [unrolled: 1-line block ×4, first 2 shown]
	v_accvgpr_write_b32 a20, v26
	v_accvgpr_write_b32 a21, v27
	;; [unrolled: 1-line block ×4, first 2 shown]
	v_cvt_f32_f16_e32 v26, v25
	v_cvt_f32_f16_sdwa v27, v25 dst_sel:DWORD dst_unused:UNUSED_PAD src0_sel:WORD_1
	v_mfma_f32_16x16x16f16 a[20:23], v[30:31], v[0:1], a[20:23]
	v_cvt_f32_f16_e32 v28, v34
	v_cvt_f32_f16_sdwa v29, v34 dst_sel:DWORD dst_unused:UNUSED_PAD src0_sel:WORD_1
	s_waitcnt lgkmcnt(6)
	v_perm_b32 v31, v32, v36, s0
	v_perm_b32 v30, v53, v59, s0
	v_accvgpr_write_b32 a24, v26
	v_accvgpr_write_b32 a25, v27
	;; [unrolled: 1-line block ×4, first 2 shown]
	s_nop 1
	v_mfma_f32_16x16x16f16 a[24:27], v[30:31], v[6:7], a[24:27]
	s_nop 7
	s_nop 2
	v_accvgpr_read_b32 v25, a24
	v_accvgpr_read_b32 v26, a25
	v_cvt_f16_f32_e32 v25, v25
	v_cvt_f16_f32_e32 v27, v26
	v_accvgpr_read_b32 v26, a26
	v_cvt_f16_f32_e32 v28, v26
	v_accvgpr_read_b32 v26, a27
	v_cvt_f16_f32_e32 v29, v26
	v_mov_b32_e32 v26, s2
	v_mad_u32_u24 v26, v83, s1, v26
	s_add_i32 s2, 0, 0xe0
	v_add_u32_e32 v30, v26, v21
	v_add3_u32 v31, v26, v20, v82
	v_add3_u32 v32, v26, v19, v82
	v_cvt_f32_f16_e32 v26, v25
	v_mov_b32_e32 v25, s2
	v_mad_u32_u24 v25, v83, s1, v25
	v_add_u32_e32 v34, v25, v21
	v_add3_u32 v35, v25, v20, v82
	v_add3_u32 v25, v25, v19, v82
	ds_read_u16 v30, v30 offset:16896
	ds_read_u16 v36, v31 offset:17424
	;; [unrolled: 1-line block ×8, first 2 shown]
	v_cvt_f32_f16_e32 v27, v27
	v_cvt_f32_f16_e32 v28, v28
	;; [unrolled: 1-line block ×3, first 2 shown]
	s_waitcnt lgkmcnt(4)
	v_perm_b32 v31, v32, v31, s0
	v_perm_b32 v30, v36, v30, s0
	v_accvgpr_write_b32 a24, v26
	v_pk_mul_f16 v25, v18, v132 op_sel_hi:[0,1]
	v_pk_mul_f16 v32, v18, v131 op_sel_hi:[0,1]
	v_accvgpr_write_b32 a25, v27
	v_accvgpr_write_b32 a26, v28
	;; [unrolled: 1-line block ×3, first 2 shown]
	v_cvt_f32_f16_e32 v26, v25
	v_cvt_f32_f16_sdwa v27, v25 dst_sel:DWORD dst_unused:UNUSED_PAD src0_sel:WORD_1
	v_mfma_f32_16x16x16f16 a[24:27], v[30:31], v[0:1], a[24:27]
	v_cvt_f32_f16_e32 v28, v32
	v_cvt_f32_f16_sdwa v29, v32 dst_sel:DWORD dst_unused:UNUSED_PAD src0_sel:WORD_1
	ds_read_u16 v25, v24 offset:1280
	ds_read_u16 v30, v24 offset:1312
	;; [unrolled: 1-line block ×8, first 2 shown]
	s_waitcnt lgkmcnt(7)
	v_perm_b32 v25, v38, v25, s0
	ds_read_u16 v38, v24 offset:752
	ds_read_u16 v49, v24 offset:784
	;; [unrolled: 1-line block ×8, first 2 shown]
	s_waitcnt lgkmcnt(7)
	v_perm_b32 v24, v38, v60, s0
	v_accvgpr_write_b32 a31, v29
	v_accvgpr_write_b32 a30, v28
	;; [unrolled: 1-line block ×4, first 2 shown]
	v_perm_b32 v29, v40, v35, s0
	v_perm_b32 v28, v37, v34, s0
	v_mfma_f32_16x16x16f16 a[28:31], v[24:25], v[6:7], a[28:31]
	v_pk_mul_f16 v34, v18, v129 op_sel_hi:[0,1]
	v_pk_mul_f16 v35, v18, v127 op_sel_hi:[0,1]
	s_add_i32 s2, 0, 0x100
	s_nop 7
	v_accvgpr_read_b32 v27, a31
	v_accvgpr_read_b32 v24, a28
	;; [unrolled: 1-line block ×4, first 2 shown]
	v_cvt_f16_f32_e32 v27, v27
	v_cvt_f16_f32_e32 v24, v24
	;; [unrolled: 1-line block ×4, first 2 shown]
	v_cvt_f32_f16_e32 v27, v27
	v_cvt_f32_f16_e32 v24, v24
	;; [unrolled: 1-line block ×4, first 2 shown]
	v_accvgpr_write_b32 a31, v27
	v_accvgpr_write_b32 a28, v24
	;; [unrolled: 1-line block ×4, first 2 shown]
	v_cvt_f32_f16_e32 v24, v34
	v_cvt_f32_f16_sdwa v25, v34 dst_sel:DWORD dst_unused:UNUSED_PAD src0_sel:WORD_1
	v_mfma_f32_16x16x16f16 a[28:31], v[28:29], v[0:1], a[28:31]
	v_cvt_f32_f16_e32 v26, v35
	v_cvt_f32_f16_sdwa v27, v35 dst_sel:DWORD dst_unused:UNUSED_PAD src0_sel:WORD_1
	v_perm_b32 v29, v41, v30, s0
	ds_read_u16 v28, v23 offset:256
	ds_read_u16 v30, v23 offset:288
	;; [unrolled: 1-line block ×8, first 2 shown]
	s_waitcnt lgkmcnt(7)
	v_perm_b32 v28, v49, v28, s0
	v_accvgpr_write_b32 a35, v27
	v_accvgpr_write_b32 a34, v26
	;; [unrolled: 1-line block ×4, first 2 shown]
	s_waitcnt lgkmcnt(0)
	v_perm_b32 v2, v39, v41, s0
	v_mfma_f32_16x16x16f16 a[32:35], v[28:29], v[6:7], a[32:35]
	s_nop 7
	s_nop 2
	v_accvgpr_read_b32 v23, a32
	v_accvgpr_read_b32 v24, a33
	v_cvt_f16_f32_e32 v23, v23
	v_cvt_f16_f32_e32 v25, v24
	v_accvgpr_read_b32 v24, a34
	v_cvt_f16_f32_e32 v26, v24
	v_accvgpr_read_b32 v24, a35
	v_cvt_f16_f32_e32 v27, v24
	v_mov_b32_e32 v24, s2
	v_mad_u32_u24 v24, v83, s1, v24
	s_add_i32 s2, 0, 0x120
	v_add_u32_e32 v28, v24, v21
	v_add3_u32 v29, v24, v20, v82
	v_add3_u32 v49, v24, v19, v82
	v_cvt_f32_f16_e32 v24, v23
	v_mov_b32_e32 v23, s2
	v_mad_u32_u24 v23, v83, s1, v23
	v_add_u32_e32 v56, v23, v21
	v_add3_u32 v57, v23, v20, v82
	v_add3_u32 v23, v23, v19, v82
	v_cvt_f32_f16_e32 v27, v27
	ds_read_u16 v28, v28 offset:16896
	ds_read_u16 v58, v29 offset:17424
	;; [unrolled: 1-line block ×8, first 2 shown]
	v_cvt_f32_f16_e32 v25, v25
	v_cvt_f32_f16_e32 v26, v26
	s_waitcnt lgkmcnt(4)
	v_perm_b32 v29, v49, v29, s0
	v_perm_b32 v28, v58, v28, s0
	v_pk_mul_f16 v58, v18, v123 op_sel_hi:[0,1]
	v_accvgpr_write_b32 a35, v27
	v_pk_mul_f16 v49, v18, v124 op_sel_hi:[0,1]
	v_accvgpr_write_b32 a34, v26
	v_accvgpr_write_b32 a33, v25
	;; [unrolled: 1-line block ×3, first 2 shown]
	v_cvt_f32_f16_sdwa v27, v58 dst_sel:DWORD dst_unused:UNUSED_PAD src0_sel:WORD_1
	v_cvt_f32_f16_e32 v24, v49
	v_mfma_f32_16x16x16f16 a[32:35], v[28:29], v[0:1], a[32:35]
	v_cvt_f32_f16_sdwa v25, v49 dst_sel:DWORD dst_unused:UNUSED_PAD src0_sel:WORD_1
	v_cvt_f32_f16_e32 v26, v58
	v_perm_b32 v29, v42, v31, s0
	v_perm_b32 v28, v50, v30, s0
	v_accvgpr_write_b32 a39, v27
	v_accvgpr_write_b32 a38, v26
	;; [unrolled: 1-line block ×4, first 2 shown]
	v_pk_mul_f16 v30, v18, v128 op_sel_hi:[0,1]
	s_add_i32 s2, 0, 0x140
	v_mfma_f32_16x16x16f16 a[36:39], v[28:29], v[6:7], a[36:39]
	s_waitcnt lgkmcnt(0)
	v_perm_b32 v29, v23, v57, s0
	v_perm_b32 v28, v59, v56, s0
	v_pk_mul_f16 v23, v18, v130 op_sel_hi:[0,1]
	s_nop 6
	v_accvgpr_read_b32 v27, a39
	v_accvgpr_read_b32 v24, a36
	;; [unrolled: 1-line block ×4, first 2 shown]
	v_cvt_f16_f32_e32 v27, v27
	v_cvt_f16_f32_e32 v24, v24
	;; [unrolled: 1-line block ×4, first 2 shown]
	v_cvt_f32_f16_e32 v27, v27
	v_cvt_f32_f16_e32 v24, v24
	;; [unrolled: 1-line block ×4, first 2 shown]
	v_accvgpr_write_b32 a39, v27
	v_accvgpr_write_b32 a36, v24
	;; [unrolled: 1-line block ×4, first 2 shown]
	v_cvt_f32_f16_sdwa v27, v30 dst_sel:DWORD dst_unused:UNUSED_PAD src0_sel:WORD_1
	v_cvt_f32_f16_e32 v24, v23
	v_mfma_f32_16x16x16f16 a[36:39], v[28:29], v[0:1], a[36:39]
	v_cvt_f32_f16_sdwa v25, v23 dst_sel:DWORD dst_unused:UNUSED_PAD src0_sel:WORD_1
	v_cvt_f32_f16_e32 v26, v30
	v_perm_b32 v29, v43, v32, s0
	v_perm_b32 v28, v51, v34, s0
	v_accvgpr_write_b32 a43, v27
	v_accvgpr_write_b32 a42, v26
	;; [unrolled: 1-line block ×4, first 2 shown]
	s_nop 1
	v_mfma_f32_16x16x16f16 a[40:43], v[28:29], v[6:7], a[40:43]
	s_nop 7
	s_nop 2
	v_accvgpr_read_b32 v23, a40
	v_accvgpr_read_b32 v24, a41
	v_cvt_f16_f32_e32 v23, v23
	v_cvt_f16_f32_e32 v25, v24
	v_accvgpr_read_b32 v24, a42
	v_cvt_f16_f32_e32 v26, v24
	v_accvgpr_read_b32 v24, a43
	v_cvt_f16_f32_e32 v27, v24
	v_mov_b32_e32 v24, s2
	v_mad_u32_u24 v24, v83, s1, v24
	s_add_i32 s2, 0, 0x160
	v_add_u32_e32 v28, v24, v21
	v_add3_u32 v29, v24, v20, v82
	v_add3_u32 v30, v24, v19, v82
	v_cvt_f32_f16_e32 v24, v23
	v_mov_b32_e32 v23, s2
	v_mad_u32_u24 v23, v83, s1, v23
	v_add_u32_e32 v31, v23, v21
	v_add3_u32 v32, v23, v20, v82
	v_add3_u32 v23, v23, v19, v82
	v_cvt_f32_f16_e32 v27, v27
	ds_read_u16 v28, v28 offset:16896
	ds_read_u16 v34, v29 offset:17424
	;; [unrolled: 1-line block ×8, first 2 shown]
	v_cvt_f32_f16_e32 v25, v25
	v_cvt_f32_f16_e32 v26, v26
	s_waitcnt lgkmcnt(4)
	v_perm_b32 v29, v30, v29, s0
	v_perm_b32 v28, v34, v28, s0
	v_pk_mul_f16 v34, v18, v125 op_sel_hi:[0,1]
	v_accvgpr_write_b32 a43, v27
	v_pk_mul_f16 v30, v18, v126 op_sel_hi:[0,1]
	v_accvgpr_write_b32 a42, v26
	v_accvgpr_write_b32 a41, v25
	;; [unrolled: 1-line block ×3, first 2 shown]
	v_cvt_f32_f16_sdwa v27, v34 dst_sel:DWORD dst_unused:UNUSED_PAD src0_sel:WORD_1
	v_cvt_f32_f16_e32 v24, v30
	v_mfma_f32_16x16x16f16 a[40:43], v[28:29], v[0:1], a[40:43]
	v_cvt_f32_f16_sdwa v25, v30 dst_sel:DWORD dst_unused:UNUSED_PAD src0_sel:WORD_1
	v_cvt_f32_f16_e32 v26, v34
	v_perm_b32 v29, v44, v36, s0
	v_perm_b32 v28, v52, v35, s0
	v_accvgpr_write_b32 a47, v27
	v_accvgpr_write_b32 a46, v26
	;; [unrolled: 1-line block ×4, first 2 shown]
	v_pk_mul_f16 v30, v18, v133 op_sel_hi:[0,1]
	s_add_i32 s2, 0, 0x180
	v_mfma_f32_16x16x16f16 a[44:47], v[28:29], v[6:7], a[44:47]
	s_waitcnt lgkmcnt(0)
	v_perm_b32 v29, v23, v32, s0
	v_perm_b32 v28, v42, v31, s0
	v_pk_mul_f16 v23, v18, v134 op_sel_hi:[0,1]
	s_nop 6
	v_accvgpr_read_b32 v27, a47
	v_accvgpr_read_b32 v24, a44
	;; [unrolled: 1-line block ×4, first 2 shown]
	v_cvt_f16_f32_e32 v27, v27
	v_cvt_f16_f32_e32 v24, v24
	;; [unrolled: 1-line block ×4, first 2 shown]
	v_cvt_f32_f16_e32 v27, v27
	v_cvt_f32_f16_e32 v24, v24
	;; [unrolled: 1-line block ×4, first 2 shown]
	v_accvgpr_write_b32 a47, v27
	v_accvgpr_write_b32 a44, v24
	;; [unrolled: 1-line block ×4, first 2 shown]
	v_cvt_f32_f16_sdwa v27, v30 dst_sel:DWORD dst_unused:UNUSED_PAD src0_sel:WORD_1
	v_cvt_f32_f16_e32 v24, v23
	v_mfma_f32_16x16x16f16 a[44:47], v[28:29], v[0:1], a[44:47]
	v_cvt_f32_f16_sdwa v25, v23 dst_sel:DWORD dst_unused:UNUSED_PAD src0_sel:WORD_1
	v_cvt_f32_f16_e32 v26, v30
	v_perm_b32 v29, v45, v46, s0
	v_perm_b32 v28, v53, v37, s0
	v_accvgpr_write_b32 a51, v27
	v_accvgpr_write_b32 a50, v26
	;; [unrolled: 1-line block ×4, first 2 shown]
	v_pk_mul_f16 v37, v18, v203 op_sel_hi:[0,1]
	s_nop 0
	v_mfma_f32_16x16x16f16 a[48:51], v[28:29], v[6:7], a[48:51]
	s_nop 7
	s_nop 2
	v_accvgpr_read_b32 v23, a48
	v_accvgpr_read_b32 v24, a49
	v_cvt_f16_f32_e32 v23, v23
	v_cvt_f16_f32_e32 v25, v24
	v_accvgpr_read_b32 v24, a50
	v_cvt_f16_f32_e32 v26, v24
	v_accvgpr_read_b32 v24, a51
	v_cvt_f16_f32_e32 v27, v24
	v_mov_b32_e32 v24, s2
	v_mad_u32_u24 v24, v83, s1, v24
	s_add_i32 s2, 0, 0x1a0
	v_add_u32_e32 v28, v24, v21
	v_add3_u32 v29, v24, v20, v82
	v_add3_u32 v30, v24, v19, v82
	v_cvt_f32_f16_e32 v24, v23
	v_mov_b32_e32 v23, s2
	v_mad_u32_u24 v23, v83, s1, v23
	v_cvt_f32_f16_e32 v27, v27
	v_add_u32_e32 v31, v23, v21
	v_add3_u32 v32, v23, v20, v82
	v_cvt_f32_f16_e32 v25, v25
	v_cvt_f32_f16_e32 v26, v26
	v_add3_u32 v23, v23, v19, v82
	ds_read_u16 v28, v28 offset:16896
	ds_read_u16 v34, v29 offset:17424
	;; [unrolled: 1-line block ×8, first 2 shown]
	s_waitcnt lgkmcnt(4)
	v_perm_b32 v29, v30, v29, s0
	v_perm_b32 v28, v34, v28, s0
	ds_read_u16 v30, v22 offset:416
	ds_read_u16 v34, v22 offset:448
	v_accvgpr_write_b32 a51, v27
	v_pk_mul_f16 v23, v18, v205 op_sel_hi:[0,1]
	v_accvgpr_write_b32 a50, v26
	v_accvgpr_write_b32 a49, v25
	;; [unrolled: 1-line block ×3, first 2 shown]
	v_cvt_f32_f16_sdwa v25, v37 dst_sel:DWORD dst_unused:UNUSED_PAD src0_sel:WORD_1
	v_cvt_f32_f16_e32 v22, v23
	v_cvt_f32_f16_sdwa v23, v23 dst_sel:DWORD dst_unused:UNUSED_PAD src0_sel:WORD_1
	v_cvt_f32_f16_e32 v24, v37
	s_waitcnt lgkmcnt(1)
	v_perm_b32 v27, v30, v47, s0
	v_perm_b32 v26, v54, v38, s0
	v_accvgpr_write_b32 a55, v25
	v_accvgpr_write_b32 a54, v24
	;; [unrolled: 1-line block ×4, first 2 shown]
	v_mfma_f32_16x16x16f16 a[48:51], v[28:29], v[0:1], a[48:51]
	v_pk_mul_f16 v29, v18, v243 op_sel_hi:[0,1]
	v_pk_mul_f16 v28, v18, v244 op_sel_hi:[0,1]
	s_add_i32 s2, 0, 0x1c0
	v_mfma_f32_16x16x16f16 a[52:55], v[26:27], v[6:7], a[52:55]
	v_perm_b32 v27, v36, v32, s0
	v_perm_b32 v26, v35, v31, s0
	s_nop 7
	s_nop 0
	v_accvgpr_read_b32 v25, a55
	v_accvgpr_read_b32 v22, a52
	;; [unrolled: 1-line block ×4, first 2 shown]
	v_cvt_f16_f32_e32 v25, v25
	v_cvt_f16_f32_e32 v22, v22
	v_cvt_f16_f32_e32 v23, v23
	v_cvt_f16_f32_e32 v24, v24
	v_cvt_f32_f16_e32 v25, v25
	v_cvt_f32_f16_e32 v22, v22
	;; [unrolled: 1-line block ×4, first 2 shown]
	v_accvgpr_write_b32 a55, v25
	v_accvgpr_write_b32 a52, v22
	;; [unrolled: 1-line block ×4, first 2 shown]
	v_cvt_f32_f16_sdwa v25, v29 dst_sel:DWORD dst_unused:UNUSED_PAD src0_sel:WORD_1
	v_cvt_f32_f16_e32 v22, v28
	v_mfma_f32_16x16x16f16 a[52:55], v[26:27], v[0:1], a[52:55]
	v_cvt_f32_f16_sdwa v23, v28 dst_sel:DWORD dst_unused:UNUSED_PAD src0_sel:WORD_1
	v_cvt_f32_f16_e32 v24, v29
	s_waitcnt lgkmcnt(0)
	v_perm_b32 v27, v34, v48, s0
	v_perm_b32 v26, v55, v40, s0
	v_accvgpr_write_b32 a59, v25
	v_accvgpr_write_b32 a58, v24
	v_accvgpr_write_b32 a57, v23
	v_accvgpr_write_b32 a56, v22
	s_nop 1
	v_mfma_f32_16x16x16f16 a[56:59], v[26:27], v[6:7], a[56:59]
	s_nop 7
	s_nop 2
	v_accvgpr_read_b32 v10, a56
	v_cvt_f16_f32_e32 v10, v10
	v_accvgpr_read_b32 v11, a57
	v_accvgpr_read_b32 v12, a58
	;; [unrolled: 1-line block ×3, first 2 shown]
	v_cvt_f16_f32_e32 v11, v11
	v_cvt_f16_f32_e32 v12, v12
	;; [unrolled: 1-line block ×3, first 2 shown]
	v_mov_b32_e32 v22, s2
	v_mad_u32_u24 v22, v83, s1, v22
	s_add_i32 s2, 0, 0x1e0
	v_add_u32_e32 v26, v22, v21
	v_add3_u32 v27, v22, v20, v82
	v_add3_u32 v28, v22, v19, v82
	v_cvt_f32_f16_e32 v22, v10
	v_mov_b32_e32 v10, s2
	v_mad_u32_u24 v10, v83, s1, v10
	v_cvt_f32_f16_e32 v23, v11
	v_cvt_f32_f16_e32 v24, v12
	v_add_u32_e32 v11, v10, v21
	v_add3_u32 v12, v10, v20, v82
	v_add3_u32 v10, v10, v19, v82
	ds_read_u16 v19, v26 offset:16896
	ds_read_u16 v20, v27 offset:17424
	;; [unrolled: 1-line block ×8, first 2 shown]
	s_waitcnt lgkmcnt(4)
	v_perm_b32 v11, v26, v21, s0
	v_pk_mul_f16 v12, v18, v121 op_sel_hi:[0,1]
	v_cvt_f32_f16_sdwa v21, v15 dst_sel:DWORD dst_unused:UNUSED_PAD src0_sel:WORD_1
	v_perm_b32 v10, v20, v19, s0
	v_cvt_f32_f16_e32 v18, v12
	v_cvt_f32_f16_sdwa v19, v12 dst_sel:DWORD dst_unused:UNUSED_PAD src0_sel:WORD_1
	v_cvt_f32_f16_e32 v20, v15
	v_accvgpr_write_b32 a63, v21
	v_accvgpr_write_b32 a60, v18
	;; [unrolled: 1-line block ×4, first 2 shown]
	v_cvt_f32_f16_e32 v25, v25
	s_waitcnt lgkmcnt(0)
	v_mfma_f32_16x16x16f16 a[60:63], v[2:3], v[6:7], a[60:63]
	s_barrier
	v_accvgpr_write_b32 a59, v25
	v_accvgpr_write_b32 a58, v24
	;; [unrolled: 1-line block ×4, first 2 shown]
	s_nop 1
	v_mfma_f32_16x16x16f16 a[56:59], v[10:11], v[0:1], a[56:59]
	s_nop 2
	v_accvgpr_read_b32 v7, a63
	v_accvgpr_read_b32 v2, a60
	;; [unrolled: 1-line block ×4, first 2 shown]
	v_cvt_f16_f32_e32 v7, v7
	v_cvt_f16_f32_e32 v2, v2
	;; [unrolled: 1-line block ×4, first 2 shown]
	v_cvt_f32_f16_e32 v13, v7
	v_cvt_f32_f16_e32 v10, v2
	;; [unrolled: 1-line block ×4, first 2 shown]
	v_perm_b32 v3, v30, v29, s0
	v_perm_b32 v2, v28, v27, s0
	ds_bpermute_b32 v6, v8, v9
	v_accvgpr_write_b32 a63, v13
	v_accvgpr_write_b32 a62, v12
	;; [unrolled: 1-line block ×4, first 2 shown]
	v_cmp_gt_u32_e64 s[0:1], 16, v78
	s_nop 0
	v_mfma_f32_16x16x16f16 a[60:63], v[2:3], v[0:1], a[60:63]
	s_waitcnt lgkmcnt(0)
	v_add_f32_e32 v0, v9, v6
	ds_bpermute_b32 v1, v5, v0
	s_and_saveexec_b64 s[2:3], s[0:1]
	s_cbranch_execz .LBB30_513
; %bb.512:
	s_waitcnt lgkmcnt(0)
	v_add_f32_e32 v0, v0, v1
	v_or_b32_e32 v1, v81, v78
	v_mad_i32_i24 v1, v1, s4, 0
	ds_write2_b32 v1, v4, v0 offset0:128 offset1:129
.LBB30_513:
	s_or_b64 exec, exec, s[2:3]
	v_cmp_eq_u32_e32 vcc, 0, v86
	v_cmp_ne_u32_e64 s[2:3], 0, v86
	s_waitcnt lgkmcnt(0)
	s_barrier
	s_and_saveexec_b64 s[4:5], s[2:3]
	s_xor_b64 s[2:3], exec, s[4:5]
	s_cbranch_execz .LBB30_515
; %bb.514:
	s_barrier
	s_waitcnt lgkmcnt(0)
                                        ; implicit-def: $vgpr80
                                        ; implicit-def: $vgpr5
.LBB30_515:
	s_andn2_saveexec_b64 s[4:5], s[2:3]
	s_cbranch_execz .LBB30_521
; %bb.516:
	v_and_b32_e32 v0, 31, v78
	v_add_u32_e32 v1, v81, v0
	s_movk_i32 s2, 0x210
	v_mad_i32_i24 v0, v1, s2, 0
	ds_read_b64 v[6:7], v0 offset:512
	s_mov_b32 s2, 0x3fb8aa3b
	s_mov_b32 s6, 0x42b17218
	s_waitcnt lgkmcnt(0)
	s_barrier
	ds_bpermute_b32 v0, v5, v6
	v_max_f32_e32 v2, v6, v6
	s_waitcnt lgkmcnt(0)
	v_max_f32_e32 v0, v0, v0
	v_max_f32_e32 v0, v2, v0
	v_sub_f32_e32 v2, v6, v0
	v_mul_f32_e32 v3, 0x3fb8aa3b, v2
	v_fma_f32 v4, v2, s2, -v3
	v_rndne_f32_e32 v6, v3
	v_fmac_f32_e32 v4, 0x32a5705f, v2
	v_sub_f32_e32 v3, v3, v6
	v_add_f32_e32 v3, v3, v4
	v_cvt_i32_f32_e32 v6, v6
	v_exp_f32_e32 v3, v3
	s_mov_b32 s2, 0xc2ce8ed0
	v_cmp_ngt_f32_e64 s[2:3], s2, v2
	v_mov_b32_e32 v4, 0x7f800000
	v_ldexp_f32 v3, v3, v6
	v_cndmask_b32_e64 v3, 0, v3, s[2:3]
	v_cmp_nlt_f32_e64 s[2:3], s6, v2
	v_cndmask_b32_e64 v2, v4, v3, s[2:3]
	v_mul_f32_e32 v3, v7, v2
	ds_bpermute_b32 v3, v5, v3
	v_cmp_gt_u32_e64 s[2:3], 32, v78
	s_waitcnt lgkmcnt(0)
	v_fmac_f32_e32 v3, v7, v2
	s_and_saveexec_b64 s[8:9], s[2:3]
	s_cbranch_execz .LBB30_518
; %bb.517:
	v_mul_i32_i24_e32 v1, 0x210, v1
	v_add_u32_e32 v1, 0, v1
	ds_write_b64 v1, v[2:3] offset:512
.LBB30_518:
	s_or_b64 exec, exec, s[8:9]
	s_and_saveexec_b64 s[2:3], s[0:1]
	s_cbranch_execz .LBB30_520
; %bb.519:
	s_add_i32 s0, s41, s51
	s_lshl_b32 s0, s0, 5
	s_mov_b32 s1, 0
	s_lshl_b64 s[0:1], s[0:1], 3
	s_add_u32 s0, s26, s0
	v_or_b32_e32 v1, v80, v78
	s_addc_u32 s1, s27, s1
	v_lshlrev_b32_e32 v2, 3, v1
	v_mov_b32_e32 v1, v3
	global_store_dwordx2 v2, v[0:1], s[0:1]
.LBB30_520:
	s_or_b64 exec, exec, s[2:3]
.LBB30_521:
	s_or_b64 exec, exec, s[4:5]
	v_accvgpr_read_b32 v0, a60
	v_accvgpr_read_b32 v1, a61
	v_accvgpr_read_b32 v2, a62
	v_accvgpr_read_b32 v3, a63
	v_accvgpr_read_b32 v63, a3
	v_cvt_f16_f32_e32 v0, v0
	v_cvt_f16_f32_e32 v2, v2
	;; [unrolled: 1-line block ×4, first 2 shown]
	v_accvgpr_read_b32 v62, a2
	v_accvgpr_read_b32 v61, a1
	;; [unrolled: 1-line block ×59, first 2 shown]
	v_cvt_f16_f32_e32 v60, v60
	v_cvt_f16_f32_e32 v61, v61
	;; [unrolled: 1-line block ×60, first 2 shown]
	v_pack_b32_f16 v2, v2, v3
	v_pack_b32_f16 v0, v0, v1
	v_or_b32_e32 v1, v81, v79
	s_movk_i32 s0, 0x84
	v_accvgpr_read_b32 v3, a64
	v_mad_i32_i24 v1, v1, s0, v3
	v_pack_b32_f16 v62, v62, v63
	v_pack_b32_f16 v60, v60, v61
	s_mov_b32 s3, 0
	v_lshl_add_u32 v1, v1, 2, 0
	v_pack_b32_f16 v58, v58, v59
	v_pack_b32_f16 v56, v56, v57
	;; [unrolled: 1-line block ×28, first 2 shown]
	ds_write2_b32 v1, v60, v62 offset1:1
	ds_write2_b32 v1, v56, v58 offset0:8 offset1:9
	ds_write2_b32 v1, v52, v54 offset0:16 offset1:17
	;; [unrolled: 1-line block ×15, first 2 shown]
	s_waitcnt lgkmcnt(0)
	s_barrier
	s_and_saveexec_b64 s[0:1], vcc
	s_cbranch_execz .LBB30_523
; %bb.522:
	s_lshl_b32 s2, s41, 6
	s_lshl_b64 s[4:5], s[2:3], 3
	v_bfe_u32 v1, v77, 1, 4
	s_movk_i32 s2, 0x3e0
	s_add_u32 s6, s26, s4
	v_and_or_b32 v0, v77, s2, v1
	s_movk_i32 s4, 0x210
	v_mad_u32_u24 v4, v0, s4, 0
	v_lshlrev_b32_e32 v0, 2, v78
	v_add_u32_e32 v6, v4, v0
	ds_read2st64_b32 v[2:3], v6 offset1:1
	ds_read2st64_b32 v[4:5], v4 offset0:2 offset1:35
	ds_read2st64_b32 v[6:7], v6 offset0:33 offset1:34
	s_addc_u32 s5, s27, s5
	s_lshl_b32 s2, s51, 12
	s_lshl_b64 s[2:3], s[2:3], 3
	s_waitcnt lgkmcnt(2)
	v_cvt_f32_f16_e32 v8, v2
	v_cvt_f32_f16_sdwa v9, v2 dst_sel:DWORD dst_unused:UNUSED_PAD src0_sel:WORD_1
	s_waitcnt lgkmcnt(0)
	v_cvt_f32_f16_e32 v10, v6
	v_cvt_f32_f16_sdwa v11, v6 dst_sel:DWORD dst_unused:UNUSED_PAD src0_sel:WORD_1
	s_add_u32 s2, s6, s2
	v_pk_fma_f32 v[8:9], v[4:5], v[8:9], 0 op_sel_hi:[0,1,0]
	v_mov_b32_e32 v2, v5
	v_cvt_f32_f16_e32 v12, v3
	v_cvt_f32_f16_sdwa v13, v3 dst_sel:DWORD dst_unused:UNUSED_PAD src0_sel:WORD_1
	v_add_u32_e32 v17, 2, v76
	s_addc_u32 s3, s5, s3
	v_pk_fma_f32 v[8:9], v[2:3], v[10:11], v[8:9] op_sel_hi:[0,1,1]
	v_lshlrev_b32_e32 v3, 1, v17
	v_and_b32_e32 v6, 15, v17
	s_movk_i32 s5, 0x7e0
	v_and_or_b32 v3, v3, s5, v6
	v_lshlrev_b32_e32 v14, 6, v77
	v_mad_u32_u24 v3, v3, s4, 0
	v_add_lshl_u32 v16, v78, v14, 3
	v_pk_fma_f32 v[4:5], v[4:5], v[12:13], 0 op_sel_hi:[0,1,0]
	v_add_u32_e32 v12, v3, v0
	global_store_dwordx2 v16, v[8:9], s[2:3]
	ds_read2st64_b32 v[8:9], v12 offset1:1
	ds_read2st64_b32 v[10:11], v3 offset0:2 offset1:35
	ds_read2st64_b32 v[12:13], v12 offset0:33 offset1:34
	v_cvt_f32_f16_e32 v6, v7
	v_cvt_f32_f16_sdwa v7, v7 dst_sel:DWORD dst_unused:UNUSED_PAD src0_sel:WORD_1
	s_waitcnt lgkmcnt(2)
	v_cvt_f32_f16_e32 v14, v8
	v_cvt_f32_f16_sdwa v15, v8 dst_sel:DWORD dst_unused:UNUSED_PAD src0_sel:WORD_1
	v_pk_fma_f32 v[2:3], v[2:3], v[6:7], v[4:5] op_sel_hi:[0,1,1]
	s_waitcnt lgkmcnt(0)
	v_cvt_f32_f16_e32 v4, v12
	v_cvt_f32_f16_sdwa v5, v12 dst_sel:DWORD dst_unused:UNUSED_PAD src0_sel:WORD_1
	v_cvt_f32_f16_e32 v8, v9
	v_cvt_f32_f16_sdwa v9, v9 dst_sel:DWORD dst_unused:UNUSED_PAD src0_sel:WORD_1
	global_store_dwordx2 v16, v[2:3], s[2:3] offset:512
	v_lshlrev_b32_e32 v7, 7, v17
	v_pk_fma_f32 v[2:3], v[10:11], v[14:15], 0 op_sel_hi:[0,1,0]
	v_mov_b32_e32 v6, v11
	v_add_u32_e32 v16, 4, v76
	v_pk_fma_f32 v[2:3], v[6:7], v[4:5], v[2:3] op_sel_hi:[0,1,1]
	v_lshlrev_b32_e32 v4, 1, v16
	v_and_b32_e32 v5, 15, v16
	v_add_lshl_u32 v7, v78, v7, 3
	v_and_or_b32 v4, v4, s5, v5
	global_store_dwordx2 v7, v[2:3], s[2:3]
	v_pk_fma_f32 v[2:3], v[10:11], v[8:9], 0 op_sel_hi:[0,1,0]
	v_mad_u32_u24 v10, v4, s4, 0
	v_add_u32_e32 v12, v10, v0
	ds_read2st64_b32 v[4:5], v12 offset1:1
	v_cvt_f32_f16_e32 v8, v13
	v_cvt_f32_f16_sdwa v9, v13 dst_sel:DWORD dst_unused:UNUSED_PAD src0_sel:WORD_1
	ds_read2st64_b32 v[10:11], v10 offset0:2 offset1:35
	ds_read2st64_b32 v[12:13], v12 offset0:33 offset1:34
	v_lshlrev_b32_e32 v16, 7, v16
	s_waitcnt lgkmcnt(2)
	v_cvt_f32_f16_e32 v14, v4
	v_cvt_f32_f16_sdwa v15, v4 dst_sel:DWORD dst_unused:UNUSED_PAD src0_sel:WORD_1
	v_pk_fma_f32 v[2:3], v[6:7], v[8:9], v[2:3] op_sel_hi:[0,1,1]
	global_store_dwordx2 v7, v[2:3], s[2:3] offset:512
	s_waitcnt lgkmcnt(0)
	v_cvt_f32_f16_e32 v6, v12
	v_cvt_f32_f16_sdwa v7, v12 dst_sel:DWORD dst_unused:UNUSED_PAD src0_sel:WORD_1
	v_pk_fma_f32 v[2:3], v[10:11], v[14:15], 0 op_sel_hi:[0,1,0]
	v_mov_b32_e32 v4, v11
	v_cvt_f32_f16_e32 v8, v5
	v_cvt_f32_f16_sdwa v9, v5 dst_sel:DWORD dst_unused:UNUSED_PAD src0_sel:WORD_1
	v_pk_fma_f32 v[2:3], v[4:5], v[6:7], v[2:3] op_sel_hi:[0,1,1]
	v_add_lshl_u32 v5, v78, v16, 3
	v_add_u32_e32 v16, 6, v76
	v_lshlrev_b32_e32 v6, 1, v16
	v_and_b32_e32 v7, 15, v16
	v_and_or_b32 v6, v6, s5, v7
	global_store_dwordx2 v5, v[2:3], s[2:3]
	v_pk_fma_f32 v[2:3], v[10:11], v[8:9], 0 op_sel_hi:[0,1,0]
	v_mad_u32_u24 v10, v6, s4, 0
	v_add_u32_e32 v12, v10, v0
	ds_read2st64_b32 v[6:7], v12 offset1:1
	v_cvt_f32_f16_e32 v8, v13
	v_cvt_f32_f16_sdwa v9, v13 dst_sel:DWORD dst_unused:UNUSED_PAD src0_sel:WORD_1
	ds_read2st64_b32 v[10:11], v10 offset0:2 offset1:35
	ds_read2st64_b32 v[12:13], v12 offset0:33 offset1:34
	v_lshlrev_b32_e32 v16, 7, v16
	s_waitcnt lgkmcnt(2)
	v_cvt_f32_f16_e32 v14, v6
	v_cvt_f32_f16_sdwa v15, v6 dst_sel:DWORD dst_unused:UNUSED_PAD src0_sel:WORD_1
	v_pk_fma_f32 v[2:3], v[4:5], v[8:9], v[2:3] op_sel_hi:[0,1,1]
	global_store_dwordx2 v5, v[2:3], s[2:3] offset:512
	s_waitcnt lgkmcnt(0)
	v_cvt_f32_f16_e32 v4, v12
	v_cvt_f32_f16_sdwa v5, v12 dst_sel:DWORD dst_unused:UNUSED_PAD src0_sel:WORD_1
	v_pk_fma_f32 v[2:3], v[10:11], v[14:15], 0 op_sel_hi:[0,1,0]
	v_mov_b32_e32 v6, v11
	v_cvt_f32_f16_e32 v8, v7
	v_cvt_f32_f16_sdwa v9, v7 dst_sel:DWORD dst_unused:UNUSED_PAD src0_sel:WORD_1
	v_pk_fma_f32 v[2:3], v[6:7], v[4:5], v[2:3] op_sel_hi:[0,1,1]
	v_add_lshl_u32 v7, v78, v16, 3
	v_add_u32_e32 v16, 8, v76
	v_lshlrev_b32_e32 v4, 1, v16
	v_and_b32_e32 v5, 15, v16
	;; [unrolled: 28-line block ×5, first 2 shown]
	v_and_or_b32 v6, v6, s5, v7
	global_store_dwordx2 v5, v[2:3], s[2:3]
	v_pk_fma_f32 v[2:3], v[10:11], v[8:9], 0 op_sel_hi:[0,1,0]
	v_mad_u32_u24 v10, v6, s4, 0
	v_add_u32_e32 v12, v10, v0
	ds_read2st64_b32 v[6:7], v12 offset1:1
	v_cvt_f32_f16_e32 v8, v13
	v_cvt_f32_f16_sdwa v9, v13 dst_sel:DWORD dst_unused:UNUSED_PAD src0_sel:WORD_1
	ds_read2st64_b32 v[10:11], v10 offset0:2 offset1:35
	ds_read2st64_b32 v[12:13], v12 offset0:33 offset1:34
	v_lshlrev_b32_e32 v16, 7, v16
	s_waitcnt lgkmcnt(2)
	v_cvt_f32_f16_e32 v14, v6
	v_cvt_f32_f16_sdwa v15, v6 dst_sel:DWORD dst_unused:UNUSED_PAD src0_sel:WORD_1
	v_pk_fma_f32 v[2:3], v[4:5], v[8:9], v[2:3] op_sel_hi:[0,1,1]
	global_store_dwordx2 v5, v[2:3], s[2:3] offset:512
	s_waitcnt lgkmcnt(0)
	v_cvt_f32_f16_e32 v4, v12
	v_cvt_f32_f16_sdwa v5, v12 dst_sel:DWORD dst_unused:UNUSED_PAD src0_sel:WORD_1
	v_pk_fma_f32 v[2:3], v[10:11], v[14:15], 0 op_sel_hi:[0,1,0]
	v_mov_b32_e32 v6, v11
	v_cvt_f32_f16_e32 v8, v7
	v_cvt_f32_f16_sdwa v9, v7 dst_sel:DWORD dst_unused:UNUSED_PAD src0_sel:WORD_1
	v_pk_fma_f32 v[2:3], v[6:7], v[4:5], v[2:3] op_sel_hi:[0,1,1]
	v_add_lshl_u32 v7, v78, v16, 3
	v_add_u32_e32 v16, 16, v76
	v_lshlrev_b32_e32 v4, 1, v16
	v_and_or_b32 v1, v4, s5, v1
	v_mad_u32_u24 v1, v1, s4, 0
	v_add_u32_e32 v12, v1, v0
	global_store_dwordx2 v7, v[2:3], s[2:3]
	ds_read2st64_b32 v[4:5], v12 offset1:1
	v_pk_fma_f32 v[2:3], v[10:11], v[8:9], 0 op_sel_hi:[0,1,0]
	v_cvt_f32_f16_e32 v8, v13
	v_cvt_f32_f16_sdwa v9, v13 dst_sel:DWORD dst_unused:UNUSED_PAD src0_sel:WORD_1
	ds_read2st64_b32 v[10:11], v1 offset0:2 offset1:35
	ds_read2st64_b32 v[12:13], v12 offset0:33 offset1:34
	s_waitcnt lgkmcnt(2)
	v_cvt_f32_f16_e32 v14, v4
	v_cvt_f32_f16_sdwa v15, v4 dst_sel:DWORD dst_unused:UNUSED_PAD src0_sel:WORD_1
	v_pk_fma_f32 v[2:3], v[6:7], v[8:9], v[2:3] op_sel_hi:[0,1,1]
	global_store_dwordx2 v7, v[2:3], s[2:3] offset:512
	s_waitcnt lgkmcnt(0)
	v_cvt_f32_f16_e32 v6, v12
	v_cvt_f32_f16_sdwa v7, v12 dst_sel:DWORD dst_unused:UNUSED_PAD src0_sel:WORD_1
	v_pk_fma_f32 v[2:3], v[10:11], v[14:15], 0 op_sel_hi:[0,1,0]
	v_mov_b32_e32 v4, v11
	v_cvt_f32_f16_e32 v8, v5
	v_cvt_f32_f16_sdwa v9, v5 dst_sel:DWORD dst_unused:UNUSED_PAD src0_sel:WORD_1
	v_pk_fma_f32 v[2:3], v[4:5], v[6:7], v[2:3] op_sel_hi:[0,1,1]
	v_add_u32_e32 v5, 18, v76
	v_lshlrev_b32_e32 v1, 7, v16
	v_lshlrev_b32_e32 v6, 1, v5
	v_and_b32_e32 v7, 15, v5
	v_add_lshl_u32 v1, v78, v1, 3
	v_and_or_b32 v6, v6, s5, v7
	global_store_dwordx2 v1, v[2:3], s[2:3]
	v_pk_fma_f32 v[2:3], v[10:11], v[8:9], 0 op_sel_hi:[0,1,0]
	v_mad_u32_u24 v10, v6, s4, 0
	v_add_u32_e32 v12, v10, v0
	ds_read2st64_b32 v[6:7], v12 offset1:1
	v_cvt_f32_f16_e32 v8, v13
	v_cvt_f32_f16_sdwa v9, v13 dst_sel:DWORD dst_unused:UNUSED_PAD src0_sel:WORD_1
	ds_read2st64_b32 v[10:11], v10 offset0:2 offset1:35
	ds_read2st64_b32 v[12:13], v12 offset0:33 offset1:34
	s_waitcnt lgkmcnt(2)
	v_cvt_f32_f16_e32 v14, v6
	v_cvt_f32_f16_sdwa v15, v6 dst_sel:DWORD dst_unused:UNUSED_PAD src0_sel:WORD_1
	v_pk_fma_f32 v[2:3], v[4:5], v[8:9], v[2:3] op_sel_hi:[0,1,1]
	global_store_dwordx2 v1, v[2:3], s[2:3] offset:512
	v_lshlrev_b32_e32 v1, 7, v5
	s_waitcnt lgkmcnt(0)
	v_cvt_f32_f16_e32 v4, v12
	v_cvt_f32_f16_sdwa v5, v12 dst_sel:DWORD dst_unused:UNUSED_PAD src0_sel:WORD_1
	v_pk_fma_f32 v[2:3], v[10:11], v[14:15], 0 op_sel_hi:[0,1,0]
	v_mov_b32_e32 v6, v11
	v_cvt_f32_f16_e32 v8, v7
	v_cvt_f32_f16_sdwa v9, v7 dst_sel:DWORD dst_unused:UNUSED_PAD src0_sel:WORD_1
	v_pk_fma_f32 v[2:3], v[6:7], v[4:5], v[2:3] op_sel_hi:[0,1,1]
	v_add_u32_e32 v7, 20, v76
	v_lshlrev_b32_e32 v4, 1, v7
	v_and_b32_e32 v5, 15, v7
	v_add_lshl_u32 v1, v78, v1, 3
	v_and_or_b32 v4, v4, s5, v5
	global_store_dwordx2 v1, v[2:3], s[2:3]
	v_pk_fma_f32 v[2:3], v[10:11], v[8:9], 0 op_sel_hi:[0,1,0]
	v_mad_u32_u24 v10, v4, s4, 0
	v_add_u32_e32 v12, v10, v0
	ds_read2st64_b32 v[4:5], v12 offset1:1
	v_cvt_f32_f16_e32 v8, v13
	v_cvt_f32_f16_sdwa v9, v13 dst_sel:DWORD dst_unused:UNUSED_PAD src0_sel:WORD_1
	ds_read2st64_b32 v[10:11], v10 offset0:2 offset1:35
	ds_read2st64_b32 v[12:13], v12 offset0:33 offset1:34
	s_waitcnt lgkmcnt(2)
	v_cvt_f32_f16_e32 v14, v4
	v_cvt_f32_f16_sdwa v15, v4 dst_sel:DWORD dst_unused:UNUSED_PAD src0_sel:WORD_1
	v_pk_fma_f32 v[2:3], v[6:7], v[8:9], v[2:3] op_sel_hi:[0,1,1]
	global_store_dwordx2 v1, v[2:3], s[2:3] offset:512
	v_lshlrev_b32_e32 v1, 7, v7
	s_waitcnt lgkmcnt(0)
	v_cvt_f32_f16_e32 v6, v12
	v_cvt_f32_f16_sdwa v7, v12 dst_sel:DWORD dst_unused:UNUSED_PAD src0_sel:WORD_1
	v_pk_fma_f32 v[2:3], v[10:11], v[14:15], 0 op_sel_hi:[0,1,0]
	v_mov_b32_e32 v4, v11
	v_cvt_f32_f16_e32 v8, v5
	v_cvt_f32_f16_sdwa v9, v5 dst_sel:DWORD dst_unused:UNUSED_PAD src0_sel:WORD_1
	v_pk_fma_f32 v[2:3], v[4:5], v[6:7], v[2:3] op_sel_hi:[0,1,1]
	v_add_u32_e32 v5, 22, v76
	;; [unrolled: 28-line block ×5, first 2 shown]
	v_lshlrev_b32_e32 v4, 1, v7
	v_and_b32_e32 v5, 15, v7
	v_add_lshl_u32 v1, v78, v1, 3
	v_and_or_b32 v4, v4, s5, v5
	global_store_dwordx2 v1, v[2:3], s[2:3]
	v_pk_fma_f32 v[2:3], v[10:11], v[8:9], 0 op_sel_hi:[0,1,0]
	v_mad_u32_u24 v10, v4, s4, 0
	v_add_u32_e32 v12, v10, v0
	ds_read2st64_b32 v[4:5], v12 offset1:1
	v_cvt_f32_f16_e32 v8, v13
	v_cvt_f32_f16_sdwa v9, v13 dst_sel:DWORD dst_unused:UNUSED_PAD src0_sel:WORD_1
	ds_read2st64_b32 v[10:11], v10 offset0:2 offset1:35
	ds_read2st64_b32 v[12:13], v12 offset0:33 offset1:34
	s_waitcnt lgkmcnt(2)
	v_cvt_f32_f16_e32 v14, v4
	v_cvt_f32_f16_sdwa v15, v4 dst_sel:DWORD dst_unused:UNUSED_PAD src0_sel:WORD_1
	v_pk_fma_f32 v[2:3], v[6:7], v[8:9], v[2:3] op_sel_hi:[0,1,1]
	global_store_dwordx2 v1, v[2:3], s[2:3] offset:512
	v_lshlrev_b32_e32 v1, 7, v7
	s_waitcnt lgkmcnt(0)
	v_cvt_f32_f16_e32 v6, v12
	v_cvt_f32_f16_sdwa v7, v12 dst_sel:DWORD dst_unused:UNUSED_PAD src0_sel:WORD_1
	v_cvt_f32_f16_e32 v8, v5
	v_cvt_f32_f16_sdwa v9, v5 dst_sel:DWORD dst_unused:UNUSED_PAD src0_sel:WORD_1
	v_pk_fma_f32 v[2:3], v[10:11], v[14:15], 0 op_sel_hi:[0,1,0]
	v_mov_b32_e32 v4, v11
	v_pk_fma_f32 v[2:3], v[4:5], v[6:7], v[2:3] op_sel_hi:[0,1,1]
	v_add_lshl_u32 v11, v78, v1, 3
	global_store_dwordx2 v11, v[2:3], s[2:3]
	v_pk_fma_f32 v[2:3], v[10:11], v[8:9], 0 op_sel_hi:[0,1,0]
	v_add_u32_e32 v10, 30, v76
	v_lshlrev_b32_e32 v1, 1, v10
	v_and_b32_e32 v5, 15, v10
	v_cvt_f32_f16_e32 v6, v13
	v_cvt_f32_f16_sdwa v7, v13 dst_sel:DWORD dst_unused:UNUSED_PAD src0_sel:WORD_1
	v_and_or_b32 v1, v1, s5, v5
	v_mad_u32_u24 v8, v1, s4, 0
	v_add_u32_e32 v5, v8, v0
	ds_read2st64_b32 v[0:1], v5 offset1:1
	v_pk_fma_f32 v[2:3], v[4:5], v[6:7], v[2:3] op_sel_hi:[0,1,1]
	ds_read2st64_b32 v[4:5], v5 offset0:33 offset1:34
	global_store_dwordx2 v11, v[2:3], s[2:3] offset:512
	ds_read2st64_b32 v[2:3], v8 offset0:2 offset1:35
	s_waitcnt lgkmcnt(2)
	v_cvt_f32_f16_e32 v6, v0
	v_cvt_f32_f16_sdwa v7, v0 dst_sel:DWORD dst_unused:UNUSED_PAD src0_sel:WORD_1
	s_waitcnt lgkmcnt(1)
	v_cvt_f32_f16_e32 v8, v4
	v_cvt_f32_f16_sdwa v9, v4 dst_sel:DWORD dst_unused:UNUSED_PAD src0_sel:WORD_1
	s_waitcnt lgkmcnt(0)
	v_mov_b32_e32 v0, v3
	v_pk_fma_f32 v[6:7], v[2:3], v[6:7], 0 op_sel_hi:[0,1,0]
	v_cvt_f32_f16_e32 v4, v5
	v_pk_fma_f32 v[6:7], v[0:1], v[8:9], v[6:7] op_sel_hi:[0,1,1]
	v_cvt_f32_f16_e32 v8, v1
	v_cvt_f32_f16_sdwa v9, v1 dst_sel:DWORD dst_unused:UNUSED_PAD src0_sel:WORD_1
	v_cvt_f32_f16_sdwa v5, v5 dst_sel:DWORD dst_unused:UNUSED_PAD src0_sel:WORD_1
	v_lshlrev_b32_e32 v10, 7, v10
	v_add_lshl_u32 v10, v78, v10, 3
	v_pk_fma_f32 v[2:3], v[2:3], v[8:9], 0 op_sel_hi:[0,1,0]
	v_pk_fma_f32 v[0:1], v[0:1], v[4:5], v[2:3] op_sel_hi:[0,1,1]
	global_store_dwordx2 v10, v[6:7], s[2:3]
	global_store_dwordx2 v10, v[0:1], s[2:3] offset:512
.LBB30_523:
	s_or_b64 exec, exec, s[0:1]
	s_barrier
	s_endpgm
	.section	.rodata,"a",@progbits
	.p2align	6, 0x0
	.amdhsa_kernel _ZL18flash_attn_ext_f16ILi256ELi256ELi16ELi2ELb1ELb0EEvPKcS1_S1_S1_S1_PKiPfP15HIP_vector_typeIfLj2EEffffjfiS5_IjLj3EEiiiiiiiiiiiliiliiiiil
		.amdhsa_group_segment_fixed_size 0
		.amdhsa_private_segment_fixed_size 0
		.amdhsa_kernarg_size 464
		.amdhsa_user_sgpr_count 6
		.amdhsa_user_sgpr_private_segment_buffer 1
		.amdhsa_user_sgpr_dispatch_ptr 0
		.amdhsa_user_sgpr_queue_ptr 0
		.amdhsa_user_sgpr_kernarg_segment_ptr 1
		.amdhsa_user_sgpr_dispatch_id 0
		.amdhsa_user_sgpr_flat_scratch_init 0
		.amdhsa_user_sgpr_kernarg_preload_length 0
		.amdhsa_user_sgpr_kernarg_preload_offset 0
		.amdhsa_user_sgpr_private_segment_size 0
		.amdhsa_uses_dynamic_stack 0
		.amdhsa_system_sgpr_private_segment_wavefront_offset 0
		.amdhsa_system_sgpr_workgroup_id_x 1
		.amdhsa_system_sgpr_workgroup_id_y 0
		.amdhsa_system_sgpr_workgroup_id_z 0
		.amdhsa_system_sgpr_workgroup_info 0
		.amdhsa_system_vgpr_workitem_id 1
		.amdhsa_next_free_vgpr 414
		.amdhsa_next_free_sgpr 96
		.amdhsa_accum_offset 256
		.amdhsa_reserve_vcc 1
		.amdhsa_reserve_flat_scratch 0
		.amdhsa_float_round_mode_32 0
		.amdhsa_float_round_mode_16_64 0
		.amdhsa_float_denorm_mode_32 3
		.amdhsa_float_denorm_mode_16_64 3
		.amdhsa_dx10_clamp 1
		.amdhsa_ieee_mode 1
		.amdhsa_fp16_overflow 0
		.amdhsa_tg_split 0
		.amdhsa_exception_fp_ieee_invalid_op 0
		.amdhsa_exception_fp_denorm_src 0
		.amdhsa_exception_fp_ieee_div_zero 0
		.amdhsa_exception_fp_ieee_overflow 0
		.amdhsa_exception_fp_ieee_underflow 0
		.amdhsa_exception_fp_ieee_inexact 0
		.amdhsa_exception_int_div_zero 0
	.end_amdhsa_kernel
	.section	.text._ZL18flash_attn_ext_f16ILi256ELi256ELi16ELi2ELb1ELb0EEvPKcS1_S1_S1_S1_PKiPfP15HIP_vector_typeIfLj2EEffffjfiS5_IjLj3EEiiiiiiiiiiiliiliiiiil,"axG",@progbits,_ZL18flash_attn_ext_f16ILi256ELi256ELi16ELi2ELb1ELb0EEvPKcS1_S1_S1_S1_PKiPfP15HIP_vector_typeIfLj2EEffffjfiS5_IjLj3EEiiiiiiiiiiiliiliiiiil,comdat
.Lfunc_end30:
	.size	_ZL18flash_attn_ext_f16ILi256ELi256ELi16ELi2ELb1ELb0EEvPKcS1_S1_S1_S1_PKiPfP15HIP_vector_typeIfLj2EEffffjfiS5_IjLj3EEiiiiiiiiiiiliiliiiiil, .Lfunc_end30-_ZL18flash_attn_ext_f16ILi256ELi256ELi16ELi2ELb1ELb0EEvPKcS1_S1_S1_S1_PKiPfP15HIP_vector_typeIfLj2EEffffjfiS5_IjLj3EEiiiiiiiiiiiliiliiiiil
                                        ; -- End function
	.section	.AMDGPU.csdata,"",@progbits
; Kernel info:
; codeLenInByte = 99372
; NumSgprs: 100
; NumVgprs: 256
; NumAgprs: 158
; TotalNumVgprs: 414
; ScratchSize: 0
; MemoryBound: 0
; FloatMode: 240
; IeeeMode: 1
; LDSByteSize: 0 bytes/workgroup (compile time only)
; SGPRBlocks: 12
; VGPRBlocks: 51
; NumSGPRsForWavesPerEU: 100
; NumVGPRsForWavesPerEU: 414
; AccumOffset: 256
; Occupancy: 1
; WaveLimiterHint : 1
; COMPUTE_PGM_RSRC2:SCRATCH_EN: 0
; COMPUTE_PGM_RSRC2:USER_SGPR: 6
; COMPUTE_PGM_RSRC2:TRAP_HANDLER: 0
; COMPUTE_PGM_RSRC2:TGID_X_EN: 1
; COMPUTE_PGM_RSRC2:TGID_Y_EN: 0
; COMPUTE_PGM_RSRC2:TGID_Z_EN: 0
; COMPUTE_PGM_RSRC2:TIDIG_COMP_CNT: 1
; COMPUTE_PGM_RSRC3_GFX90A:ACCUM_OFFSET: 63
; COMPUTE_PGM_RSRC3_GFX90A:TG_SPLIT: 0
	.section	.text._ZL33flash_attn_stream_k_fixup_uniformILi256ELi16ELi2EEvPfPK15HIP_vector_typeIfLj2EEiiiiiiS1_IjLj3EES5_S5_,"axG",@progbits,_ZL33flash_attn_stream_k_fixup_uniformILi256ELi16ELi2EEvPfPK15HIP_vector_typeIfLj2EEiiiiiiS1_IjLj3EES5_S5_,comdat
	.globl	_ZL33flash_attn_stream_k_fixup_uniformILi256ELi16ELi2EEvPfPK15HIP_vector_typeIfLj2EEiiiiiiS1_IjLj3EES5_S5_ ; -- Begin function _ZL33flash_attn_stream_k_fixup_uniformILi256ELi16ELi2EEvPfPK15HIP_vector_typeIfLj2EEiiiiiiS1_IjLj3EES5_S5_
	.p2align	8
	.type	_ZL33flash_attn_stream_k_fixup_uniformILi256ELi16ELi2EEvPfPK15HIP_vector_typeIfLj2EEiiiiiiS1_IjLj3EES5_S5_,@function
_ZL33flash_attn_stream_k_fixup_uniformILi256ELi16ELi2EEvPfPK15HIP_vector_typeIfLj2EEiiiiiiS1_IjLj3EES5_S5_: ; @_ZL33flash_attn_stream_k_fixup_uniformILi256ELi16ELi2EEvPfPK15HIP_vector_typeIfLj2EEiiiiiiS1_IjLj3EES5_S5_
; %bb.0:
	s_load_dwordx8 s[12:19], s[4:5], 0x1c
	s_load_dwordx2 s[10:11], s[4:5], 0x10
	s_load_dwordx4 s[0:3], s[4:5], 0x3c
	s_waitcnt lgkmcnt(0)
	s_mul_hi_u32 s9, s15, s6
	s_add_i32 s9, s6, s9
	s_lshr_b32 s9, s9, s16
	s_mul_i32 s15, s9, s17
	s_sub_i32 s15, s6, s15
	s_mul_hi_u32 s16, s15, s18
	s_add_i32 s16, s15, s16
	s_lshr_b32 s16, s16, s19
	s_mul_i32 s0, s16, s0
	s_sub_i32 s0, s15, s0
	;; [unrolled: 5-line block ×3, first 2 shown]
	s_lshl_b32 s0, s17, 4
	s_lshl_b32 s15, s1, 1
	s_add_i32 s0, s0, s7
	s_cmp_lt_i32 s0, s10
	s_cselect_b64 s[0:1], -1, 0
	s_add_i32 s2, s15, s8
	s_cmp_lt_i32 s2, s13
	s_cselect_b64 s[2:3], -1, 0
	s_and_b64 s[0:1], s[0:1], s[2:3]
	s_andn2_b64 vcc, exec, s[0:1]
	s_cbranch_vccnz .LBB31_6
; %bb.1:
	s_load_dwordx4 s[0:3], s[4:5], 0x0
	s_mul_i32 s4, s9, s10
	s_add_i32 s4, s4, s7
	s_mul_i32 s4, s4, s11
	s_mul_i32 s16, s16, s13
	s_add_i32 s4, s4, s8
	s_add_i32 s4, s4, s16
	s_mul_i32 s5, s11, s17
	s_add_i32 s4, s4, s15
	s_lshl_b32 s5, s5, 12
	s_lshl_b32 s4, s4, 8
	s_add_i32 s5, s5, s4
	v_or_b32_e32 v2, s5, v0
	v_ashrrev_i32_e32 v3, 31, v2
	v_lshlrev_b64 v[2:3], 2, v[2:3]
	s_waitcnt lgkmcnt(0)
	v_mov_b32_e32 v1, s1
	v_add_co_u32_e32 v2, vcc, s0, v2
	v_addc_co_u32_e32 v3, vcc, v1, v3, vcc
	global_load_dword v8, v[2:3], off
	s_mul_i32 s9, s6, s14
	s_lshl_b32 s4, s7, 1
	s_add_i32 s11, s9, s14
	s_add_i32 s0, s4, s8
	s_lshl_b32 s1, s11, 5
	s_add_i32 s0, s0, s1
	s_sub_i32 s0, s0, 32
	s_ashr_i32 s1, s0, 31
	s_lshl_b64 s[0:1], s[0:1], 3
	s_add_u32 s0, s2, s0
	s_addc_u32 s1, s3, s1
	s_load_dword s5, s[0:1], 0x4
	s_add_i32 s10, s11, -2
	s_cmp_lt_i32 s10, s9
	s_cbranch_scc1 .LBB31_4
; %bb.2:
	s_lshl_b32 s16, s12, 7
	s_ashr_i32 s17, s16, 31
	s_lshl_b64 s[16:17], s[16:17], 2
	s_add_u32 s10, s2, s16
	s_addc_u32 s13, s3, s17
	s_add_i32 s6, s6, 1
	s_load_dword s0, s[0:1], 0x0
	s_mul_i32 s1, s14, s6
	s_lshl_b32 s7, s7, 9
	s_lshl_b32 s14, s8, 8
	;; [unrolled: 1-line block ×3, first 2 shown]
	s_add_i32 s7, s14, s7
	s_lshl_b32 s1, s1, 5
	s_add_i32 s7, s7, s6
	s_add_i32 s1, s8, s1
	s_lshl_b32 s6, s12, 5
	s_add_i32 s1, s1, s6
	v_or_b32_e32 v0, s7, v0
	s_add_i32 s1, s1, s4
	s_add_i32 s11, s11, -1
	v_add_u32_e32 v0, 0xffffc000, v0
	s_sub_i32 s4, s1, 64
	s_waitcnt lgkmcnt(0)
	v_mov_b32_e32 v7, s5
	v_mov_b32_e32 v6, s0
	;; [unrolled: 1-line block ×3, first 2 shown]
	s_mov_b32 s6, 0x3fb8aa3b
	s_mov_b32 s7, 0xc2ce8ed0
	;; [unrolled: 1-line block ×3, first 2 shown]
	v_mov_b32_e32 v5, 0x7f800000
	s_mov_b32 s12, 0xc1a00000
.LBB31_3:                               ; =>This Inner Loop Header: Depth=1
	v_ashrrev_i32_e32 v1, 31, v0
	v_lshlrev_b64 v[10:11], 2, v[0:1]
	v_add_co_u32_e32 v10, vcc, s10, v10
	v_addc_co_u32_e32 v11, vcc, v4, v11, vcc
	global_load_dword v1, v[10:11], off
	s_ashr_i32 s5, s4, 31
	s_lshl_b64 s[0:1], s[4:5], 3
	s_add_u32 s0, s2, s0
	s_addc_u32 s1, s3, s1
	s_load_dwordx2 s[14:15], s[0:1], 0x0
	s_waitcnt vmcnt(1)
	v_mov_b32_e32 v9, v8
	v_max_f32_e32 v8, v6, v6
	v_mov_b32_e32 v10, v7
	s_add_i32 s11, s11, -1
	s_waitcnt lgkmcnt(0)
	v_max_f32_e64 v7, s14, s14
	v_max_f32_e32 v7, v8, v7
	v_sub_f32_e32 v11, s14, v7
	v_sub_f32_e32 v8, v6, v7
	v_mul_f32_e32 v12, 0x3fb8aa3b, v11
	v_mov_b32_e32 v6, v7
	v_mul_f32_e32 v7, 0x3fb8aa3b, v8
	v_fma_f32 v15, v11, s6, -v12
	v_rndne_f32_e32 v16, v12
	v_fma_f32 v13, v8, s6, -v7
	v_rndne_f32_e32 v14, v7
	v_fmac_f32_e32 v15, 0x32a5705f, v11
	v_sub_f32_e32 v12, v12, v16
	v_fmac_f32_e32 v13, 0x32a5705f, v8
	v_sub_f32_e32 v7, v7, v14
	v_add_f32_e32 v12, v12, v15
	v_cvt_i32_f32_e32 v16, v16
	v_add_f32_e32 v7, v7, v13
	v_exp_f32_e32 v12, v12
	v_cvt_i32_f32_e32 v14, v14
	v_exp_f32_e32 v7, v7
	v_cmp_ngt_f32_e32 vcc, s7, v11
	v_ldexp_f32 v12, v12, v16
	v_cmp_ngt_f32_e64 s[0:1], s7, v8
	v_ldexp_f32 v7, v7, v14
	v_cndmask_b32_e32 v12, 0, v12, vcc
	v_cmp_nlt_f32_e32 vcc, s8, v11
	v_cndmask_b32_e64 v7, 0, v7, s[0:1]
	v_cmp_nlt_f32_e64 s[0:1], s8, v8
	v_cndmask_b32_e32 v12, v5, v12, vcc
	v_cmp_le_f32_e32 vcc, s12, v11
	v_cndmask_b32_e64 v7, v5, v7, s[0:1]
	v_cmp_le_f32_e64 s[0:1], s12, v8
	v_cndmask_b32_e32 v8, 0, v12, vcc
	s_sub_i32 s4, s4, 32
	v_cndmask_b32_e64 v11, 0, v7, s[0:1]
	v_mul_f32_e32 v7, s15, v8
	v_add_u32_e32 v0, 0xffffe000, v0
	s_cmp_le_i32 s11, s9
	v_fmac_f32_e32 v7, v10, v11
	s_waitcnt vmcnt(0)
	v_mul_f32_e32 v8, v1, v8
	v_fmac_f32_e32 v8, v9, v11
	s_cbranch_scc0 .LBB31_3
	s_branch .LBB31_5
.LBB31_4:
	s_waitcnt lgkmcnt(0)
	v_mov_b32_e32 v7, s5
.LBB31_5:
	s_waitcnt vmcnt(0)
	v_div_scale_f32 v0, s[0:1], v7, v7, v8
	v_rcp_f32_e32 v1, v0
	v_div_scale_f32 v4, vcc, v8, v7, v8
	v_fma_f32 v5, -v0, v1, 1.0
	v_fmac_f32_e32 v1, v5, v1
	v_mul_f32_e32 v5, v4, v1
	v_fma_f32 v6, -v0, v5, v4
	v_fmac_f32_e32 v5, v6, v1
	v_fma_f32 v0, -v0, v5, v4
	v_div_fmas_f32 v0, v0, v1, v5
	v_div_fixup_f32 v0, v0, v7, v8
	global_store_dword v[2:3], v0, off
.LBB31_6:
	s_endpgm
	.section	.rodata,"a",@progbits
	.p2align	6, 0x0
	.amdhsa_kernel _ZL33flash_attn_stream_k_fixup_uniformILi256ELi16ELi2EEvPfPK15HIP_vector_typeIfLj2EEiiiiiiS1_IjLj3EES5_S5_
		.amdhsa_group_segment_fixed_size 0
		.amdhsa_private_segment_fixed_size 0
		.amdhsa_kernarg_size 76
		.amdhsa_user_sgpr_count 6
		.amdhsa_user_sgpr_private_segment_buffer 1
		.amdhsa_user_sgpr_dispatch_ptr 0
		.amdhsa_user_sgpr_queue_ptr 0
		.amdhsa_user_sgpr_kernarg_segment_ptr 1
		.amdhsa_user_sgpr_dispatch_id 0
		.amdhsa_user_sgpr_flat_scratch_init 0
		.amdhsa_user_sgpr_kernarg_preload_length 0
		.amdhsa_user_sgpr_kernarg_preload_offset 0
		.amdhsa_user_sgpr_private_segment_size 0
		.amdhsa_uses_dynamic_stack 0
		.amdhsa_system_sgpr_private_segment_wavefront_offset 0
		.amdhsa_system_sgpr_workgroup_id_x 1
		.amdhsa_system_sgpr_workgroup_id_y 1
		.amdhsa_system_sgpr_workgroup_id_z 1
		.amdhsa_system_sgpr_workgroup_info 0
		.amdhsa_system_vgpr_workitem_id 0
		.amdhsa_next_free_vgpr 17
		.amdhsa_next_free_sgpr 20
		.amdhsa_accum_offset 20
		.amdhsa_reserve_vcc 1
		.amdhsa_reserve_flat_scratch 0
		.amdhsa_float_round_mode_32 0
		.amdhsa_float_round_mode_16_64 0
		.amdhsa_float_denorm_mode_32 3
		.amdhsa_float_denorm_mode_16_64 3
		.amdhsa_dx10_clamp 1
		.amdhsa_ieee_mode 1
		.amdhsa_fp16_overflow 0
		.amdhsa_tg_split 0
		.amdhsa_exception_fp_ieee_invalid_op 0
		.amdhsa_exception_fp_denorm_src 0
		.amdhsa_exception_fp_ieee_div_zero 0
		.amdhsa_exception_fp_ieee_overflow 0
		.amdhsa_exception_fp_ieee_underflow 0
		.amdhsa_exception_fp_ieee_inexact 0
		.amdhsa_exception_int_div_zero 0
	.end_amdhsa_kernel
	.section	.text._ZL33flash_attn_stream_k_fixup_uniformILi256ELi16ELi2EEvPfPK15HIP_vector_typeIfLj2EEiiiiiiS1_IjLj3EES5_S5_,"axG",@progbits,_ZL33flash_attn_stream_k_fixup_uniformILi256ELi16ELi2EEvPfPK15HIP_vector_typeIfLj2EEiiiiiiS1_IjLj3EES5_S5_,comdat
.Lfunc_end31:
	.size	_ZL33flash_attn_stream_k_fixup_uniformILi256ELi16ELi2EEvPfPK15HIP_vector_typeIfLj2EEiiiiiiS1_IjLj3EES5_S5_, .Lfunc_end31-_ZL33flash_attn_stream_k_fixup_uniformILi256ELi16ELi2EEvPfPK15HIP_vector_typeIfLj2EEiiiiiiS1_IjLj3EES5_S5_
                                        ; -- End function
	.section	.AMDGPU.csdata,"",@progbits
; Kernel info:
; codeLenInByte = 856
; NumSgprs: 24
; NumVgprs: 17
; NumAgprs: 0
; TotalNumVgprs: 17
; ScratchSize: 0
; MemoryBound: 0
; FloatMode: 240
; IeeeMode: 1
; LDSByteSize: 0 bytes/workgroup (compile time only)
; SGPRBlocks: 2
; VGPRBlocks: 2
; NumSGPRsForWavesPerEU: 24
; NumVGPRsForWavesPerEU: 17
; AccumOffset: 20
; Occupancy: 8
; WaveLimiterHint : 0
; COMPUTE_PGM_RSRC2:SCRATCH_EN: 0
; COMPUTE_PGM_RSRC2:USER_SGPR: 6
; COMPUTE_PGM_RSRC2:TRAP_HANDLER: 0
; COMPUTE_PGM_RSRC2:TGID_X_EN: 1
; COMPUTE_PGM_RSRC2:TGID_Y_EN: 1
; COMPUTE_PGM_RSRC2:TGID_Z_EN: 1
; COMPUTE_PGM_RSRC2:TIDIG_COMP_CNT: 0
; COMPUTE_PGM_RSRC3_GFX90A:ACCUM_OFFSET: 4
; COMPUTE_PGM_RSRC3_GFX90A:TG_SPLIT: 0
	.section	.text._ZL33flash_attn_stream_k_fixup_generalILi256ELi16ELi2EEvPfPK15HIP_vector_typeIfLj2EEiiiiS1_IjLj3EES5_S5_S5_,"axG",@progbits,_ZL33flash_attn_stream_k_fixup_generalILi256ELi16ELi2EEvPfPK15HIP_vector_typeIfLj2EEiiiiS1_IjLj3EES5_S5_S5_,comdat
	.globl	_ZL33flash_attn_stream_k_fixup_generalILi256ELi16ELi2EEvPfPK15HIP_vector_typeIfLj2EEiiiiS1_IjLj3EES5_S5_S5_ ; -- Begin function _ZL33flash_attn_stream_k_fixup_generalILi256ELi16ELi2EEvPfPK15HIP_vector_typeIfLj2EEiiiiS1_IjLj3EES5_S5_S5_
	.p2align	8
	.type	_ZL33flash_attn_stream_k_fixup_generalILi256ELi16ELi2EEvPfPK15HIP_vector_typeIfLj2EEiiiiS1_IjLj3EES5_S5_S5_,@function
_ZL33flash_attn_stream_k_fixup_generalILi256ELi16ELi2EEvPfPK15HIP_vector_typeIfLj2EEiiiiS1_IjLj3EES5_S5_S5_: ; @_ZL33flash_attn_stream_k_fixup_generalILi256ELi16ELi2EEvPfPK15HIP_vector_typeIfLj2EEiiiiS1_IjLj3EES5_S5_S5_
; %bb.0:
	s_load_dwordx4 s[12:15], s[4:5], 0x10
	s_load_dword s9, s[4:5], 0x50
	s_mov_b32 s2, 0
	s_waitcnt lgkmcnt(0)
	s_mul_hi_i32 s3, s15, s6
	s_cmp_lg_u64 s[2:3], 0
	s_mul_i32 s2, s15, s6
	s_cbranch_scc0 .LBB32_21
; %bb.1:
	v_cvt_f32_u32_e32 v1, s9
	v_cvt_f32_ubyte0_e32 v2, 0
	s_sub_u32 s10, 0, s9
	s_subb_u32 s11, 0, 0
	v_madmk_f32 v1, v2, 0x4f800000, v1
	v_rcp_f32_e32 v1, v1
	v_mul_f32_e32 v1, 0x5f7ffffc, v1
	v_mul_f32_e32 v2, 0x2f800000, v1
	v_trunc_f32_e32 v2, v2
	v_madmk_f32 v1, v2, 0xcf800000, v1
	v_cvt_u32_f32_e32 v2, v2
	v_cvt_u32_f32_e32 v1, v1
	v_readfirstlane_b32 s16, v2
	v_readfirstlane_b32 s17, v1
	s_mul_i32 s18, s10, s16
	s_mul_hi_u32 s20, s10, s17
	s_mul_i32 s19, s11, s17
	s_add_i32 s18, s20, s18
	s_add_i32 s18, s18, s19
	s_mul_i32 s21, s10, s17
	s_mul_hi_u32 s19, s17, s18
	s_mul_i32 s20, s17, s18
	s_mul_hi_u32 s17, s17, s21
	s_add_u32 s17, s17, s20
	s_addc_u32 s19, 0, s19
	s_mul_hi_u32 s22, s16, s21
	s_mul_i32 s21, s16, s21
	s_add_u32 s17, s17, s21
	s_mul_hi_u32 s20, s16, s18
	s_addc_u32 s17, s19, s22
	s_addc_u32 s19, s20, 0
	s_mul_i32 s18, s16, s18
	s_add_u32 s17, s17, s18
	s_addc_u32 s18, 0, s19
	v_add_co_u32_e32 v1, vcc, s17, v1
	s_cmp_lg_u64 vcc, 0
	s_addc_u32 s16, s16, s18
	v_readfirstlane_b32 s18, v1
	s_mul_i32 s17, s10, s16
	s_mul_hi_u32 s19, s10, s18
	s_add_i32 s17, s19, s17
	s_mul_i32 s11, s11, s18
	s_add_i32 s17, s17, s11
	s_mul_i32 s10, s10, s18
	s_mul_hi_u32 s19, s16, s10
	s_mul_i32 s20, s16, s10
	s_mul_i32 s22, s18, s17
	s_mul_hi_u32 s10, s18, s10
	s_mul_hi_u32 s21, s18, s17
	s_add_u32 s10, s10, s22
	s_addc_u32 s18, 0, s21
	s_add_u32 s10, s10, s20
	s_mul_hi_u32 s11, s16, s17
	s_addc_u32 s10, s18, s19
	s_addc_u32 s11, s11, 0
	s_mul_i32 s17, s16, s17
	s_add_u32 s10, s10, s17
	s_addc_u32 s11, 0, s11
	v_add_co_u32_e32 v1, vcc, s10, v1
	s_cmp_lg_u64 vcc, 0
	s_addc_u32 s18, s16, s11
	s_ashr_i32 s10, s3, 31
	s_add_u32 s16, s2, s10
	s_mov_b32 s11, s10
	s_addc_u32 s17, s3, s10
	s_xor_b64 s[16:17], s[16:17], s[10:11]
	v_readfirstlane_b32 s20, v1
	s_mul_i32 s19, s16, s18
	s_mul_hi_u32 s21, s16, s20
	s_mul_hi_u32 s3, s16, s18
	s_add_u32 s19, s21, s19
	s_addc_u32 s3, 0, s3
	s_mul_hi_u32 s22, s17, s20
	s_mul_i32 s20, s17, s20
	s_add_u32 s19, s19, s20
	s_mul_hi_u32 s21, s17, s18
	s_addc_u32 s3, s3, s22
	s_addc_u32 s19, s21, 0
	s_mul_i32 s18, s17, s18
	s_add_u32 s3, s3, s18
	s_addc_u32 s18, 0, s19
	s_add_u32 s19, s3, 1
	s_addc_u32 s20, s18, 0
	s_add_u32 s21, s3, 2
	s_mul_i32 s23, s9, s18
	s_mul_hi_u32 s24, s9, s3
	s_addc_u32 s22, s18, 0
	s_add_i32 s24, s24, s23
	s_mul_i32 s23, s9, s3
	v_mov_b32_e32 v1, s23
	v_sub_co_u32_e32 v1, vcc, s16, v1
	s_cmp_lg_u64 vcc, 0
	s_subb_u32 s16, s17, s24
	v_subrev_co_u32_e32 v2, vcc, s9, v1
	s_cmp_lg_u64 vcc, 0
	s_subb_u32 s17, s16, 0
	v_readfirstlane_b32 s23, v2
	s_cmp_ge_u32 s23, s9
	s_cselect_b32 s23, -1, 0
	s_cmp_eq_u32 s17, 0
	s_cselect_b32 s17, s23, -1
	s_cmp_lg_u32 s17, 0
	s_cselect_b32 s17, s22, s20
	v_readfirstlane_b32 s20, v1
	s_cselect_b32 s19, s21, s19
	s_cmp_ge_u32 s20, s9
	s_cselect_b32 s20, -1, 0
	s_cmp_eq_u32 s16, 0
	s_cselect_b32 s16, s20, -1
	s_cmp_lg_u32 s16, 0
	s_cselect_b32 s17, s17, s18
	s_cselect_b32 s16, s19, s3
	s_xor_b64 s[16:17], s[16:17], s[10:11]
	s_sub_u32 s20, s16, s10
	s_load_dwordx4 s[16:19], s[4:5], 0x44
	s_cbranch_execnz .LBB32_3
.LBB32_2:
	v_cvt_f32_u32_e32 v1, s9
	s_sub_i32 s0, 0, s9
	v_rcp_iflag_f32_e32 v1, v1
	v_mul_f32_e32 v1, 0x4f7ffffe, v1
	v_cvt_u32_f32_e32 v1, v1
	v_readfirstlane_b32 s1, v1
	s_mul_i32 s0, s0, s1
	s_mul_hi_u32 s0, s1, s0
	s_add_i32 s1, s1, s0
	s_mul_hi_u32 s0, s2, s1
	s_mul_i32 s3, s0, s9
	s_sub_i32 s2, s2, s3
	s_add_i32 s1, s0, 1
	s_sub_i32 s3, s2, s9
	s_cmp_ge_u32 s2, s9
	s_cselect_b32 s0, s1, s0
	s_cselect_b32 s2, s3, s2
	s_add_i32 s1, s0, 1
	s_cmp_ge_u32 s2, s9
	s_cselect_b32 s20, s1, s0
.LBB32_3:
	s_add_i32 s0, s6, 1
	s_mul_hi_i32 s3, s15, s0
	s_mov_b32 s2, 0
	s_cmp_lg_u64 s[2:3], 0
	s_mul_i32 s2, s15, s0
	s_cbranch_scc0 .LBB32_22
; %bb.4:
	v_cvt_f32_u32_e32 v1, s9
	v_cvt_f32_ubyte0_e32 v2, 0
	s_sub_u32 s10, 0, s9
	s_subb_u32 s11, 0, 0
	v_madmk_f32 v1, v2, 0x4f800000, v1
	v_rcp_f32_e32 v1, v1
	v_mul_f32_e32 v1, 0x5f7ffffc, v1
	v_mul_f32_e32 v2, 0x2f800000, v1
	v_trunc_f32_e32 v2, v2
	v_madmk_f32 v1, v2, 0xcf800000, v1
	v_cvt_u32_f32_e32 v2, v2
	v_cvt_u32_f32_e32 v1, v1
	s_waitcnt lgkmcnt(0)
	v_readfirstlane_b32 s19, v2
	v_readfirstlane_b32 s21, v1
	s_mul_i32 s22, s10, s19
	s_mul_hi_u32 s24, s10, s21
	s_mul_i32 s23, s11, s21
	s_add_i32 s22, s24, s22
	s_add_i32 s22, s22, s23
	s_mul_i32 s25, s10, s21
	s_mul_hi_u32 s23, s21, s22
	s_mul_i32 s24, s21, s22
	s_mul_hi_u32 s21, s21, s25
	s_add_u32 s21, s21, s24
	s_addc_u32 s23, 0, s23
	s_mul_hi_u32 s26, s19, s25
	s_mul_i32 s25, s19, s25
	s_add_u32 s21, s21, s25
	s_mul_hi_u32 s24, s19, s22
	s_addc_u32 s21, s23, s26
	s_addc_u32 s23, s24, 0
	s_mul_i32 s22, s19, s22
	s_add_u32 s21, s21, s22
	s_addc_u32 s22, 0, s23
	v_add_co_u32_e32 v1, vcc, s21, v1
	s_cmp_lg_u64 vcc, 0
	s_addc_u32 s19, s19, s22
	v_readfirstlane_b32 s22, v1
	s_mul_i32 s21, s10, s19
	s_mul_hi_u32 s23, s10, s22
	s_add_i32 s21, s23, s21
	s_mul_i32 s11, s11, s22
	s_add_i32 s21, s21, s11
	s_mul_i32 s10, s10, s22
	s_mul_hi_u32 s23, s19, s10
	s_mul_i32 s24, s19, s10
	s_mul_i32 s26, s22, s21
	s_mul_hi_u32 s10, s22, s10
	s_mul_hi_u32 s25, s22, s21
	s_add_u32 s10, s10, s26
	s_addc_u32 s22, 0, s25
	s_add_u32 s10, s10, s24
	s_mul_hi_u32 s11, s19, s21
	s_addc_u32 s10, s22, s23
	s_addc_u32 s11, s11, 0
	s_mul_i32 s21, s19, s21
	s_add_u32 s10, s10, s21
	s_addc_u32 s11, 0, s11
	v_add_co_u32_e32 v1, vcc, s10, v1
	s_cmp_lg_u64 vcc, 0
	s_addc_u32 s19, s19, s11
	s_ashr_i32 s10, s3, 31
	s_add_u32 s22, s2, s10
	s_mov_b32 s11, s10
	s_addc_u32 s23, s3, s10
	s_xor_b64 s[22:23], s[22:23], s[10:11]
	v_readfirstlane_b32 s21, v1
	s_mul_i32 s11, s22, s19
	s_mul_hi_u32 s24, s22, s21
	s_mul_hi_u32 s3, s22, s19
	s_add_u32 s11, s24, s11
	s_addc_u32 s3, 0, s3
	s_mul_hi_u32 s25, s23, s21
	s_mul_i32 s21, s23, s21
	s_add_u32 s11, s11, s21
	s_mul_hi_u32 s24, s23, s19
	s_addc_u32 s3, s3, s25
	s_addc_u32 s11, s24, 0
	s_mul_i32 s19, s23, s19
	s_add_u32 s3, s3, s19
	s_addc_u32 s11, 0, s11
	s_mul_i32 s11, s9, s11
	s_mul_hi_u32 s24, s9, s3
	s_add_i32 s24, s24, s11
	s_mul_i32 s11, s9, s3
	v_mov_b32_e32 v1, s11
	s_add_u32 s19, s3, 1
	s_add_u32 s21, s3, 2
	v_sub_co_u32_e32 v1, vcc, s22, v1
	s_cmp_lg_u64 vcc, 0
	s_subb_u32 s11, s23, s24
	v_subrev_co_u32_e32 v2, vcc, s9, v1
	s_cmp_lg_u64 vcc, 0
	s_subb_u32 s22, s11, 0
	v_cmp_le_u32_e32 vcc, s9, v2
	s_cmp_eq_u32 s22, 0
	v_cndmask_b32_e64 v2, 0, -1, vcc
	s_cselect_b64 vcc, -1, 0
	v_cndmask_b32_e32 v2, -1, v2, vcc
	v_mov_b32_e32 v3, s19
	v_mov_b32_e32 v4, s21
	v_cmp_ne_u32_e32 vcc, 0, v2
	v_cndmask_b32_e32 v2, v3, v4, vcc
	v_cmp_le_u32_e32 vcc, s9, v1
	s_cmp_eq_u32 s11, 0
	v_cndmask_b32_e64 v1, 0, -1, vcc
	s_cselect_b64 vcc, -1, 0
	v_cndmask_b32_e32 v1, -1, v1, vcc
	v_mov_b32_e32 v3, s3
	v_cmp_ne_u32_e32 vcc, 0, v1
	v_cndmask_b32_e32 v1, v3, v2, vcc
	v_xor_b32_e32 v1, s10, v1
	v_subrev_co_u32_e32 v2, vcc, s10, v1
	s_cbranch_execnz .LBB32_6
.LBB32_5:
	v_cvt_f32_u32_e32 v1, s9
	s_sub_i32 s0, 0, s9
	s_mov_b32 s1, 0
	v_rcp_iflag_f32_e32 v1, v1
	v_mul_f32_e32 v1, 0x4f7ffffe, v1
	v_cvt_u32_f32_e32 v1, v1
	v_readfirstlane_b32 s3, v1
	s_mul_i32 s0, s0, s3
	s_mul_hi_u32 s0, s3, s0
	s_add_i32 s3, s3, s0
	s_mul_hi_u32 s0, s2, s3
	s_mul_i32 s10, s0, s9
	s_sub_i32 s2, s2, s10
	s_add_i32 s3, s0, 1
	s_sub_i32 s10, s2, s9
	s_cmp_ge_u32 s2, s9
	s_cselect_b32 s0, s3, s0
	s_cselect_b32 s2, s10, s2
	s_add_i32 s3, s0, 1
	s_cmp_ge_u32 s2, s9
	s_cselect_b32 s0, s3, s0
	v_pk_mov_b32 v[2:3], s[0:1], s[0:1] op_sel:[0,1]
.LBB32_6:
	s_waitcnt lgkmcnt(0)
	s_mul_hi_u32 s0, s20, s16
	s_add_i32 s0, s0, s20
	v_mul_hi_u32 v1, v2, s16
	s_lshr_b32 s19, s0, s17
	v_add_u32_e32 v1, v1, v2
	s_mul_i32 s0, s19, s18
	v_lshrrev_b32_e32 v1, s17, v1
	s_cmp_eq_u32 s0, s20
	v_cmp_eq_u32_e64 s[0:1], s19, v1
	v_mul_lo_u32 v1, v1, s18
	v_cmp_eq_u32_e32 vcc, s20, v2
	s_cselect_b64 s[10:11], -1, 0
	v_cmp_ne_u32_e64 s[2:3], v1, v2
	s_and_b64 s[0:1], s[0:1], s[2:3]
	s_or_b64 s[2:3], vcc, s[10:11]
	s_or_b64 s[0:1], s[2:3], s[0:1]
	s_and_b64 vcc, exec, s[0:1]
	s_cbranch_vccnz .LBB32_24
; %bb.7:
	s_load_dwordx8 s[24:31], s[4:5], 0x20
	s_load_dword s0, s[4:5], 0x40
	s_mov_b32 s10, 0
	s_waitcnt lgkmcnt(0)
	s_mul_hi_u32 s1, s20, s24
	s_add_i32 s1, s1, s20
	s_lshr_b32 s11, s1, s25
	s_mul_i32 s1, s11, s26
	s_sub_i32 s1, s20, s1
	s_mul_hi_u32 s2, s1, s27
	s_add_i32 s2, s1, s2
	s_lshr_b32 s24, s2, s28
	s_mul_i32 s2, s24, s29
	s_sub_i32 s1, s1, s2
	;; [unrolled: 5-line block ×3, first 2 shown]
	s_mul_hi_u32 s1, s0, s16
	s_add_i32 s0, s0, s1
	s_lshr_b32 s26, s0, s17
	s_lshl_b32 s0, s26, 4
	s_lshl_b32 s25, s2, 1
	s_add_i32 s0, s0, s7
	s_cmp_lt_i32 s0, s12
	s_cselect_b64 s[0:1], -1, 0
	s_add_i32 s2, s25, s8
	s_cmp_lt_i32 s2, s14
	s_cselect_b64 s[2:3], -1, 0
	s_and_b64 s[0:1], s[0:1], s[2:3]
	s_andn2_b64 vcc, exec, s[0:1]
	s_cbranch_vccnz .LBB32_24
; %bb.8:
	s_load_dwordx4 s[0:3], s[4:5], 0x0
	s_lshl_b32 s21, s7, 1
	s_lshl_b32 s4, s9, 7
	s_mov_b32 s5, s10
	s_add_i32 s21, s21, s8
	s_lshl_b64 s[4:5], s[4:5], 2
	s_waitcnt lgkmcnt(0)
	s_add_u32 s22, s2, s4
	s_mul_i32 s4, s11, s12
	s_addc_u32 s23, s3, s5
	s_add_i32 s4, s4, s7
	s_mul_i32 s4, s4, s13
	s_mul_i32 s24, s24, s14
	s_add_i32 s4, s4, s8
	s_add_i32 s4, s4, s24
	s_mul_i32 s5, s13, s26
	s_add_i32 s4, s4, s25
	s_lshl_b32 s5, s5, 12
	s_lshl_b32 s4, s4, 8
	s_add_i32 s5, s5, s4
	v_or_b32_e32 v2, s5, v0
	v_ashrrev_i32_e32 v3, 31, v2
	v_lshlrev_b64 v[2:3], 2, v[2:3]
	v_mov_b32_e32 v1, s1
	v_add_co_u32_e32 v2, vcc, s0, v2
	v_addc_co_u32_e32 v3, vcc, v1, v3, vcc
	global_load_dword v5, v[2:3], off
	v_lshl_or_b32 v4, s21, 8, v0
	v_cvt_f32_u32_e32 v0, s9
	v_cvt_f32_ubyte0_e32 v1, 0
	s_lshl_b32 s0, s6, 5
	s_add_i32 s0, s21, s0
	v_mac_f32_e32 v0, 0x4f800000, v1
	v_rcp_f32_e32 v0, v0
	v_cvt_f32_u32_e32 v1, s9
	s_ashr_i32 s1, s0, 31
	s_lshl_b64 s[0:1], s[0:1], 3
	v_mul_f32_e32 v0, 0x5f7ffffc, v0
	v_rcp_iflag_f32_e32 v1, v1
	s_add_u32 s0, s2, s0
	v_mul_f32_e32 v9, 0x2f800000, v0
	s_addc_u32 s1, s3, s1
	v_trunc_f32_e32 v10, v9
	s_load_dwordx2 s[0:1], s[0:1], 0x0
	v_mac_f32_e32 v0, 0xcf800000, v10
	v_cvt_u32_f32_e32 v9, v0
	v_mul_f32_e32 v0, 0x4f7ffffe, v1
	v_cvt_u32_f32_e32 v10, v10
	v_cvt_u32_f32_e32 v11, v0
	s_add_i32 s8, s6, -1
	s_waitcnt lgkmcnt(0)
	v_mov_b32_e32 v6, s1
	v_mov_b32_e32 v7, s0
	;; [unrolled: 1-line block ×3, first 2 shown]
	s_mov_b32 s6, 0x3fb8aa3b
	s_mov_b32 s7, 0xc2ce8ed0
	;; [unrolled: 1-line block ×4, first 2 shown]
	v_mov_b32_e32 v12, 0x7f800000
	s_mul_hi_i32 s11, s8, s15
	s_cmp_lg_u64 s[10:11], 0
	s_mul_i32 s4, s8, s15
	s_cbranch_scc0 .LBB32_15
.LBB32_9:
	s_sub_u32 s0, 0, s9
	v_readfirstlane_b32 s5, v9
	v_readfirstlane_b32 s24, v10
	s_subb_u32 s1, 0, 0
	s_mul_hi_u32 s20, s0, s5
	s_mul_i32 s25, s0, s24
	s_mul_i32 s14, s1, s5
	s_add_i32 s20, s20, s25
	s_add_i32 s20, s20, s14
	s_mul_i32 s26, s0, s5
	s_mul_hi_u32 s14, s5, s20
	s_mul_i32 s25, s5, s20
	s_mul_hi_u32 s5, s5, s26
	s_add_u32 s5, s5, s25
	s_addc_u32 s14, 0, s14
	s_mul_hi_u32 s27, s24, s26
	s_mul_i32 s26, s24, s26
	s_add_u32 s5, s5, s26
	s_mul_hi_u32 s25, s24, s20
	s_addc_u32 s5, s14, s27
	s_addc_u32 s14, s25, 0
	s_mul_i32 s20, s24, s20
	s_add_u32 s5, s5, s20
	s_addc_u32 s14, 0, s14
	v_add_co_u32_e32 v0, vcc, s5, v9
	s_cmp_lg_u64 vcc, 0
	s_addc_u32 s5, s24, s14
	v_readfirstlane_b32 s20, v0
	s_mul_i32 s14, s0, s5
	s_mul_hi_u32 s24, s0, s20
	s_add_i32 s14, s24, s14
	s_mul_i32 s1, s1, s20
	s_add_i32 s14, s14, s1
	s_mul_i32 s0, s0, s20
	s_mul_hi_u32 s24, s5, s0
	s_mul_i32 s25, s5, s0
	s_mul_i32 s27, s20, s14
	s_mul_hi_u32 s0, s20, s0
	s_mul_hi_u32 s26, s20, s14
	s_add_u32 s0, s0, s27
	s_addc_u32 s20, 0, s26
	s_add_u32 s0, s0, s25
	s_mul_hi_u32 s1, s5, s14
	s_addc_u32 s0, s20, s24
	s_addc_u32 s1, s1, 0
	s_mul_i32 s14, s5, s14
	s_add_u32 s0, s0, s14
	s_addc_u32 s1, 0, s1
	v_add_co_u32_e32 v0, vcc, s0, v0
	s_cmp_lg_u64 vcc, 0
	s_addc_u32 s5, s5, s1
	s_ashr_i32 s0, s11, 31
	s_add_u32 s24, s4, s0
	s_mov_b32 s1, s0
	s_addc_u32 s25, s11, s0
	s_xor_b64 s[24:25], s[24:25], s[0:1]
	v_readfirstlane_b32 s14, v0
	s_mul_i32 s11, s24, s5
	s_mul_hi_u32 s20, s24, s14
	s_mul_hi_u32 s1, s24, s5
	s_add_u32 s11, s20, s11
	s_addc_u32 s1, 0, s1
	s_mul_hi_u32 s26, s25, s14
	s_mul_i32 s14, s25, s14
	s_add_u32 s11, s11, s14
	s_mul_hi_u32 s20, s25, s5
	s_addc_u32 s1, s1, s26
	s_addc_u32 s11, s20, 0
	s_mul_i32 s5, s25, s5
	s_add_u32 s1, s1, s5
	s_addc_u32 s5, 0, s11
	s_mul_i32 s5, s9, s5
	s_mul_hi_u32 s20, s9, s1
	s_add_i32 s20, s20, s5
	s_mul_i32 s5, s9, s1
	v_mov_b32_e32 v0, s5
	s_add_u32 s11, s1, 1
	s_add_u32 s14, s1, 2
	v_sub_co_u32_e32 v0, vcc, s24, v0
	s_cmp_lg_u64 vcc, 0
	s_subb_u32 s5, s25, s20
	v_subrev_co_u32_e32 v1, vcc, s9, v0
	s_cmp_lg_u64 vcc, 0
	s_subb_u32 s20, s5, 0
	v_cmp_le_u32_e32 vcc, s9, v1
	s_cmp_eq_u32 s20, 0
	v_cndmask_b32_e64 v1, 0, -1, vcc
	s_cselect_b64 vcc, -1, 0
	v_cndmask_b32_e32 v1, -1, v1, vcc
	v_mov_b32_e32 v13, s11
	v_mov_b32_e32 v14, s14
	v_cmp_ne_u32_e32 vcc, 0, v1
	v_cndmask_b32_e32 v1, v13, v14, vcc
	v_cmp_le_u32_e32 vcc, s9, v0
	s_cmp_eq_u32 s5, 0
	v_cndmask_b32_e64 v0, 0, -1, vcc
	s_cselect_b64 vcc, -1, 0
	v_cndmask_b32_e32 v0, -1, v0, vcc
	v_mov_b32_e32 v13, s1
	v_cmp_ne_u32_e32 vcc, 0, v0
	v_cndmask_b32_e32 v0, v13, v1, vcc
	v_xor_b32_e32 v0, s0, v0
	v_subrev_co_u32_e32 v0, vcc, s0, v0
	s_cbranch_execnz .LBB32_11
.LBB32_10:
	s_sub_i32 s0, 0, s9
	v_mul_lo_u32 v0, s0, v11
	v_mul_hi_u32 v0, v11, v0
	v_add_u32_e32 v0, v11, v0
	v_mul_hi_u32 v0, s4, v0
	v_mul_lo_u32 v13, v0, s9
	v_sub_u32_e32 v13, s4, v13
	v_add_u32_e32 v1, 1, v0
	v_subrev_u32_e32 v14, s9, v13
	v_cmp_le_u32_e32 vcc, s9, v13
	v_cndmask_b32_e32 v13, v13, v14, vcc
	v_cndmask_b32_e32 v0, v0, v1, vcc
	v_add_u32_e32 v1, 1, v0
	v_cmp_le_u32_e32 vcc, s9, v13
	v_cndmask_b32_e32 v0, v0, v1, vcc
.LBB32_11:
	v_cmp_ne_u32_e32 vcc, v8, v0
	s_cbranch_vccz .LBB32_14
; %bb.12:
	s_add_i32 s0, s8, s9
	s_lshl_b32 s0, s0, 5
	v_mul_hi_u32 v1, v0, s16
	s_add_i32 s0, s0, s21
	s_mov_b32 s1, s10
	v_add_u32_e32 v1, v1, v0
	s_lshl_b64 s[0:1], s[0:1], 3
	v_lshrrev_b32_e32 v1, s17, v1
	s_add_u32 s4, s2, s0
	v_mul_lo_u32 v13, v1, s18
	s_addc_u32 s5, s3, s1
	v_cmp_eq_u32_e32 vcc, v13, v0
	v_cmp_gt_u32_e64 s[0:1], s19, v1
	s_or_b64 s[0:1], s[0:1], vcc
	s_and_b64 vcc, exec, s[0:1]
	s_cbranch_vccnz .LBB32_16
; %bb.13:
	s_add_i32 s11, s8, -1
	s_mov_b64 s[0:1], 0
	s_branch .LBB32_17
.LBB32_14:
                                        ; implicit-def: $sgpr0_sgpr1
                                        ; implicit-def: $vgpr14
                                        ; implicit-def: $vgpr1
                                        ; implicit-def: $vgpr13
                                        ; implicit-def: $sgpr11
                                        ; implicit-def: $vgpr0
	s_branch .LBB32_18
.LBB32_15:
                                        ; implicit-def: $vgpr0_vgpr1
	s_branch .LBB32_10
.LBB32_16:
	s_mov_b64 s[0:1], -1
	s_mov_b32 s11, s8
	v_mov_b32_e32 v0, v8
.LBB32_17:
	v_lshl_add_u32 v14, s8, 13, v4
	v_ashrrev_i32_e32 v15, 31, v14
	v_lshlrev_b64 v[14:15], 2, v[14:15]
	v_mov_b32_e32 v1, s23
	v_add_co_u32_e32 v14, vcc, s22, v14
	v_addc_co_u32_e32 v15, vcc, v1, v15, vcc
	global_load_dword v14, v[14:15], off
	s_load_dwordx2 s[4:5], s[4:5], 0x0
	v_max_f32_e32 v1, v7, v7
	s_waitcnt lgkmcnt(0)
	v_max_f32_e64 v13, s4, s4
	v_max_f32_e32 v1, v1, v13
	v_sub_f32_e32 v13, v7, v1
	v_sub_f32_e32 v15, s4, v1
	v_mul_f32_e32 v16, 0x3fb8aa3b, v13
	v_mul_f32_e32 v17, 0x3fb8aa3b, v15
	v_fma_f32 v18, v13, s6, -v16
	v_rndne_f32_e32 v19, v16
	v_fma_f32 v20, v15, s6, -v17
	v_rndne_f32_e32 v21, v17
	v_fmac_f32_e32 v18, 0x32a5705f, v13
	v_sub_f32_e32 v16, v16, v19
	v_fmac_f32_e32 v20, 0x32a5705f, v15
	v_sub_f32_e32 v17, v17, v21
	v_add_f32_e32 v16, v16, v18
	v_cvt_i32_f32_e32 v19, v19
	v_add_f32_e32 v17, v17, v20
	v_exp_f32_e32 v16, v16
	v_cvt_i32_f32_e32 v21, v21
	v_exp_f32_e32 v17, v17
	v_cmp_ngt_f32_e32 vcc, s7, v13
	v_ldexp_f32 v16, v16, v19
	v_cndmask_b32_e32 v16, 0, v16, vcc
	v_ldexp_f32 v17, v17, v21
	v_cmp_ngt_f32_e32 vcc, s7, v15
	v_cndmask_b32_e32 v17, 0, v17, vcc
	v_cmp_nlt_f32_e32 vcc, s12, v13
	v_cndmask_b32_e32 v16, v12, v16, vcc
	v_cmp_nlt_f32_e32 vcc, s12, v15
	v_cndmask_b32_e32 v17, v12, v17, vcc
	v_cmp_le_f32_e32 vcc, s13, v13
	v_cndmask_b32_e32 v16, 0, v16, vcc
	v_cmp_le_f32_e32 vcc, s13, v15
	v_cndmask_b32_e32 v15, 0, v17, vcc
	v_mul_f32_e32 v13, s5, v15
	v_fmac_f32_e32 v13, v6, v16
	s_waitcnt vmcnt(0)
	v_mul_f32_e32 v14, v14, v15
	v_fmac_f32_e32 v14, v5, v16
	s_cbranch_execnz .LBB32_19
.LBB32_18:
	s_add_i32 s11, s8, -1
	s_mov_b64 s[0:1], 0
	v_mov_b32_e32 v0, v8
	v_mov_b32_e32 v13, v6
	;; [unrolled: 1-line block ×3, first 2 shown]
	s_waitcnt vmcnt(0)
	v_mov_b32_e32 v14, v5
.LBB32_19:
	s_andn2_b64 vcc, exec, s[0:1]
	s_cbranch_vccz .LBB32_23
; %bb.20:
	v_mov_b32_e32 v8, v0
	s_mov_b32 s8, s11
	v_mov_b32_e32 v6, v13
	v_mov_b32_e32 v7, v1
	s_waitcnt vmcnt(0)
	v_mov_b32_e32 v5, v14
	s_mul_hi_i32 s11, s8, s15
	s_cmp_lg_u64 s[10:11], 0
	s_mul_i32 s4, s8, s15
	s_cbranch_scc1 .LBB32_9
	s_branch .LBB32_15
.LBB32_21:
                                        ; implicit-def: $sgpr20_sgpr21
	s_load_dwordx4 s[16:19], s[4:5], 0x44
	s_branch .LBB32_2
.LBB32_22:
                                        ; implicit-def: $vgpr2_vgpr3
	s_branch .LBB32_5
.LBB32_23:
	v_div_scale_f32 v0, s[0:1], v13, v13, v14
	v_rcp_f32_e32 v1, v0
	v_div_scale_f32 v4, vcc, v14, v13, v14
	s_waitcnt vmcnt(0)
	v_fma_f32 v5, -v0, v1, 1.0
	v_fmac_f32_e32 v1, v5, v1
	v_mul_f32_e32 v5, v4, v1
	v_fma_f32 v6, -v0, v5, v4
	v_fmac_f32_e32 v5, v6, v1
	v_fma_f32 v0, -v0, v5, v4
	v_div_fmas_f32 v0, v0, v1, v5
	v_div_fixup_f32 v0, v0, v13, v14
	global_store_dword v[2:3], v0, off
.LBB32_24:
	s_endpgm
	.section	.rodata,"a",@progbits
	.p2align	6, 0x0
	.amdhsa_kernel _ZL33flash_attn_stream_k_fixup_generalILi256ELi16ELi2EEvPfPK15HIP_vector_typeIfLj2EEiiiiS1_IjLj3EES5_S5_S5_
		.amdhsa_group_segment_fixed_size 0
		.amdhsa_private_segment_fixed_size 0
		.amdhsa_kernarg_size 336
		.amdhsa_user_sgpr_count 6
		.amdhsa_user_sgpr_private_segment_buffer 1
		.amdhsa_user_sgpr_dispatch_ptr 0
		.amdhsa_user_sgpr_queue_ptr 0
		.amdhsa_user_sgpr_kernarg_segment_ptr 1
		.amdhsa_user_sgpr_dispatch_id 0
		.amdhsa_user_sgpr_flat_scratch_init 0
		.amdhsa_user_sgpr_kernarg_preload_length 0
		.amdhsa_user_sgpr_kernarg_preload_offset 0
		.amdhsa_user_sgpr_private_segment_size 0
		.amdhsa_uses_dynamic_stack 0
		.amdhsa_system_sgpr_private_segment_wavefront_offset 0
		.amdhsa_system_sgpr_workgroup_id_x 1
		.amdhsa_system_sgpr_workgroup_id_y 1
		.amdhsa_system_sgpr_workgroup_id_z 1
		.amdhsa_system_sgpr_workgroup_info 0
		.amdhsa_system_vgpr_workitem_id 0
		.amdhsa_next_free_vgpr 22
		.amdhsa_next_free_sgpr 32
		.amdhsa_accum_offset 24
		.amdhsa_reserve_vcc 1
		.amdhsa_reserve_flat_scratch 0
		.amdhsa_float_round_mode_32 0
		.amdhsa_float_round_mode_16_64 0
		.amdhsa_float_denorm_mode_32 3
		.amdhsa_float_denorm_mode_16_64 3
		.amdhsa_dx10_clamp 1
		.amdhsa_ieee_mode 1
		.amdhsa_fp16_overflow 0
		.amdhsa_tg_split 0
		.amdhsa_exception_fp_ieee_invalid_op 0
		.amdhsa_exception_fp_denorm_src 0
		.amdhsa_exception_fp_ieee_div_zero 0
		.amdhsa_exception_fp_ieee_overflow 0
		.amdhsa_exception_fp_ieee_underflow 0
		.amdhsa_exception_fp_ieee_inexact 0
		.amdhsa_exception_int_div_zero 0
	.end_amdhsa_kernel
	.section	.text._ZL33flash_attn_stream_k_fixup_generalILi256ELi16ELi2EEvPfPK15HIP_vector_typeIfLj2EEiiiiS1_IjLj3EES5_S5_S5_,"axG",@progbits,_ZL33flash_attn_stream_k_fixup_generalILi256ELi16ELi2EEvPfPK15HIP_vector_typeIfLj2EEiiiiS1_IjLj3EES5_S5_S5_,comdat
.Lfunc_end32:
	.size	_ZL33flash_attn_stream_k_fixup_generalILi256ELi16ELi2EEvPfPK15HIP_vector_typeIfLj2EEiiiiS1_IjLj3EES5_S5_S5_, .Lfunc_end32-_ZL33flash_attn_stream_k_fixup_generalILi256ELi16ELi2EEvPfPK15HIP_vector_typeIfLj2EEiiiiS1_IjLj3EES5_S5_S5_
                                        ; -- End function
	.section	.AMDGPU.csdata,"",@progbits
; Kernel info:
; codeLenInByte = 2824
; NumSgprs: 36
; NumVgprs: 22
; NumAgprs: 0
; TotalNumVgprs: 22
; ScratchSize: 0
; MemoryBound: 0
; FloatMode: 240
; IeeeMode: 1
; LDSByteSize: 0 bytes/workgroup (compile time only)
; SGPRBlocks: 4
; VGPRBlocks: 2
; NumSGPRsForWavesPerEU: 36
; NumVGPRsForWavesPerEU: 22
; AccumOffset: 24
; Occupancy: 8
; WaveLimiterHint : 0
; COMPUTE_PGM_RSRC2:SCRATCH_EN: 0
; COMPUTE_PGM_RSRC2:USER_SGPR: 6
; COMPUTE_PGM_RSRC2:TRAP_HANDLER: 0
; COMPUTE_PGM_RSRC2:TGID_X_EN: 1
; COMPUTE_PGM_RSRC2:TGID_Y_EN: 1
; COMPUTE_PGM_RSRC2:TGID_Z_EN: 1
; COMPUTE_PGM_RSRC2:TIDIG_COMP_CNT: 0
; COMPUTE_PGM_RSRC3_GFX90A:ACCUM_OFFSET: 5
; COMPUTE_PGM_RSRC3_GFX90A:TG_SPLIT: 0
	.section	.text._ZL26flash_attn_combine_resultsILi256EEvPKfPK15HIP_vector_typeIfLj2EEPfi,"axG",@progbits,_ZL26flash_attn_combine_resultsILi256EEvPKfPK15HIP_vector_typeIfLj2EEPfi,comdat
	.globl	_ZL26flash_attn_combine_resultsILi256EEvPKfPK15HIP_vector_typeIfLj2EEPfi ; -- Begin function _ZL26flash_attn_combine_resultsILi256EEvPKfPK15HIP_vector_typeIfLj2EEPfi
	.p2align	8
	.type	_ZL26flash_attn_combine_resultsILi256EEvPKfPK15HIP_vector_typeIfLj2EEPfi,@function
_ZL26flash_attn_combine_resultsILi256EEvPKfPK15HIP_vector_typeIfLj2EEPfi: ; @_ZL26flash_attn_combine_resultsILi256EEvPKfPK15HIP_vector_typeIfLj2EEPfi
; %bb.0:
	s_load_dwordx2 s[10:11], s[4:5], 0x20
	s_load_dword s17, s[4:5], 0x18
	s_load_dwordx4 s[0:3], s[4:5], 0x0
	s_load_dwordx2 s[14:15], s[4:5], 0x10
	s_waitcnt lgkmcnt(0)
	s_mul_i32 s4, s10, s8
	s_add_i32 s4, s4, s6
	s_mul_i32 s16, s4, s11
	s_add_i32 s16, s16, s7
	s_lshl_b32 s18, s17, 1
	s_mul_i32 s4, s16, s17
	v_cmp_gt_i32_e32 vcc, s18, v0
	s_and_saveexec_b64 s[6:7], vcc
	s_cbranch_execz .LBB33_13
; %bb.1:
	v_xad_u32 v1, v0, -1, s18
	s_movk_i32 s8, 0xff
	s_ashr_i32 s5, s4, 31
	v_cmp_lt_u32_e32 vcc, s8, v1
	s_mov_b64 s[10:11], -1
	v_mov_b32_e32 v2, v0
	s_and_saveexec_b64 s[8:9], vcc
	s_cbranch_execz .LBB33_10
; %bb.2:
	v_lshrrev_b32_e32 v6, 8, v1
	s_lshl_b64 s[10:11], s[4:5], 3
	v_add_u32_e32 v2, -1, v6
	s_add_u32 s19, s2, s10
	v_or_b32_e32 v1, 0x100, v0
	v_lshrrev_b32_e32 v3, 1, v2
	s_addc_u32 s20, s3, s11
	v_add_u32_e32 v7, 1, v3
	v_cmp_lt_u32_e32 vcc, 13, v2
	v_mov_b32_e32 v4, 0
	v_pk_mov_b32 v[2:3], v[0:1], v[0:1] op_sel:[0,1]
	s_and_saveexec_b64 s[10:11], vcc
	s_cbranch_execz .LBB33_6
; %bb.3:
	v_and_b32_e32 v8, -8, v7
	s_mov_b32 s21, 0
	v_lshl_add_u32 v9, v0, 2, 0
	s_mov_b64 s[12:13], 0
	v_mov_b32_e32 v10, s20
	v_mov_b32_e32 v5, 0
	v_pk_mov_b32 v[2:3], v[0:1], v[0:1] op_sel:[0,1]
.LBB33_4:                               ; =>This Inner Loop Header: Depth=1
	v_mov_b32_e32 v4, v2
	v_lshlrev_b64 v[26:27], 2, v[4:5]
	v_add_u32_e32 v12, 0x200, v3
	v_mov_b32_e32 v13, v5
	v_add_co_u32_e32 v26, vcc, s19, v26
	v_lshlrev_b64 v[12:13], 2, v[12:13]
	v_addc_co_u32_e32 v27, vcc, v10, v27, vcc
	v_add_u32_e32 v14, 0x400, v3
	v_mov_b32_e32 v15, v5
	v_add_co_u32_e32 v12, vcc, s19, v12
	v_lshlrev_b64 v[14:15], 2, v[14:15]
	v_addc_co_u32_e32 v13, vcc, v10, v13, vcc
	;; [unrolled: 5-line block ×7, first 2 shown]
	v_mov_b32_e32 v4, v3
	v_add_co_u32_e32 v24, vcc, s19, v24
	v_lshlrev_b64 v[28:29], 2, v[4:5]
	v_addc_co_u32_e32 v25, vcc, v10, v25, vcc
	v_add_u32_e32 v4, 0x200, v2
	v_add_co_u32_e32 v28, vcc, s19, v28
	v_addc_co_u32_e32 v29, vcc, v10, v29, vcc
	global_load_dword v1, v[26:27], off
	v_lshlrev_b64 v[26:27], 2, v[4:5]
	v_add_u32_e32 v4, 0x400, v2
	v_add_co_u32_e32 v26, vcc, s19, v26
	v_addc_co_u32_e32 v27, vcc, v10, v27, vcc
	v_lshlrev_b64 v[30:31], 2, v[4:5]
	v_add_u32_e32 v4, 0x600, v2
	global_load_dword v11, v[28:29], off
	global_load_dword v32, v[26:27], off
	;; [unrolled: 1-line block ×3, first 2 shown]
	v_add_co_u32_e32 v12, vcc, s19, v30
	v_addc_co_u32_e32 v13, vcc, v10, v31, vcc
	v_lshlrev_b64 v[26:27], 2, v[4:5]
	v_add_u32_e32 v4, 0x800, v2
	v_add_co_u32_e32 v26, vcc, s19, v26
	v_addc_co_u32_e32 v27, vcc, v10, v27, vcc
	v_lshlrev_b64 v[28:29], 2, v[4:5]
	v_add_u32_e32 v4, 0xa00, v2
	global_load_dword v30, v[12:13], off
	global_load_dword v31, v[14:15], off
	;; [unrolled: 1-line block ×4, first 2 shown]
	v_add_co_u32_e32 v12, vcc, s19, v28
	v_addc_co_u32_e32 v13, vcc, v10, v29, vcc
	v_lshlrev_b64 v[14:15], 2, v[4:5]
	v_add_u32_e32 v4, 0xc00, v2
	v_add_co_u32_e32 v14, vcc, s19, v14
	v_addc_co_u32_e32 v15, vcc, v10, v15, vcc
	v_lshlrev_b64 v[16:17], 2, v[4:5]
	v_add_u32_e32 v4, 0xe00, v2
	global_load_dword v26, v[12:13], off
	global_load_dword v27, v[18:19], off
	;; [unrolled: 1-line block ×4, first 2 shown]
	v_add_co_u32_e32 v12, vcc, s19, v16
	v_addc_co_u32_e32 v13, vcc, v10, v17, vcc
	v_lshlrev_b64 v[14:15], 2, v[4:5]
	v_add_co_u32_e32 v14, vcc, s19, v14
	v_addc_co_u32_e32 v15, vcc, v10, v15, vcc
	global_load_dword v16, v[12:13], off
	global_load_dword v17, v[22:23], off
	;; [unrolled: 1-line block ×4, first 2 shown]
	v_add_u32_e32 v8, -8, v8
	s_add_i32 s21, s21, 16
	v_cmp_eq_u32_e32 vcc, 0, v8
	v_add_u32_e32 v3, 0x1000, v3
	v_mov_b32_e32 v4, s21
	s_or_b64 s[12:13], vcc, s[12:13]
	v_add_u32_e32 v2, 0x1000, v2
	s_waitcnt vmcnt(14)
	ds_write2st64_b32 v9, v1, v11 offset1:4
	s_waitcnt vmcnt(12)
	ds_write2st64_b32 v9, v32, v33 offset0:8 offset1:12
	s_waitcnt vmcnt(10)
	ds_write2st64_b32 v9, v30, v31 offset0:16 offset1:20
	;; [unrolled: 2-line block ×7, first 2 shown]
	v_add_u32_e32 v9, 0x4000, v9
	s_andn2_b64 exec, exec, s[12:13]
	s_cbranch_execnz .LBB33_4
; %bb.5:
	s_or_b64 exec, exec, s[12:13]
.LBB33_6:
	s_or_b64 exec, exec, s[10:11]
	v_and_b32_e32 v1, 7, v7
	v_cmp_ne_u32_e32 vcc, 0, v1
	s_and_saveexec_b64 s[10:11], vcc
	s_cbranch_execz .LBB33_9
; %bb.7:
	v_lshlrev_b32_e32 v5, 2, v0
	v_lshl_or_b32 v4, v4, 10, v5
	v_add_u32_e32 v7, 0, v4
	s_mov_b64 s[12:13], 0
	v_mov_b32_e32 v8, s20
	v_mov_b32_e32 v5, 0
.LBB33_8:                               ; =>This Inner Loop Header: Depth=1
	v_mov_b32_e32 v4, v2
	v_lshlrev_b64 v[10:11], 2, v[4:5]
	v_mov_b32_e32 v4, v3
	v_add_co_u32_e32 v10, vcc, s19, v10
	v_addc_co_u32_e32 v11, vcc, v8, v11, vcc
	v_lshlrev_b64 v[12:13], 2, v[4:5]
	v_add_co_u32_e32 v12, vcc, s19, v12
	v_addc_co_u32_e32 v13, vcc, v8, v13, vcc
	global_load_dword v4, v[10:11], off
	global_load_dword v9, v[12:13], off
	v_add_u32_e32 v1, -1, v1
	v_cmp_eq_u32_e32 vcc, 0, v1
	v_add_u32_e32 v2, 0x200, v2
	v_add_u32_e32 v3, 0x200, v3
	s_or_b64 s[12:13], vcc, s[12:13]
	s_waitcnt vmcnt(0)
	ds_write2st64_b32 v7, v4, v9 offset1:4
	v_add_u32_e32 v7, 0x800, v7
	s_andn2_b64 exec, exec, s[12:13]
	s_cbranch_execnz .LBB33_8
.LBB33_9:
	s_or_b64 exec, exec, s[10:11]
	v_add_u32_e32 v1, 1, v6
	v_and_b32_e32 v3, 0x1fffffe, v1
	v_cmp_ne_u32_e32 vcc, v1, v3
	v_lshl_or_b32 v2, v3, 8, v0
	s_orn2_b64 s[10:11], vcc, exec
.LBB33_10:
	s_or_b64 exec, exec, s[8:9]
	s_and_b64 exec, exec, s[10:11]
	s_cbranch_execz .LBB33_13
; %bb.11:
	s_lshl_b64 s[8:9], s[4:5], 3
	v_mov_b32_e32 v3, 0
	s_add_u32 s2, s2, s8
	v_lshlrev_b64 v[4:5], 2, v[2:3]
	s_addc_u32 s3, s3, s9
	v_mov_b32_e32 v1, s3
	v_add_co_u32_e32 v4, vcc, s2, v4
	v_addc_co_u32_e32 v5, vcc, v1, v5, vcc
	v_lshl_add_u32 v1, v2, 2, 0
	s_mov_b64 s[2:3], 0
.LBB33_12:                              ; =>This Inner Loop Header: Depth=1
	global_load_dword v3, v[4:5], off
	v_add_co_u32_e32 v4, vcc, 0x400, v4
	v_add_u32_e32 v2, 0x100, v2
	v_addc_co_u32_e32 v5, vcc, 0, v5, vcc
	v_cmp_le_i32_e32 vcc, s18, v2
	s_or_b64 s[2:3], vcc, s[2:3]
	s_waitcnt vmcnt(0)
	ds_write_b32 v1, v3
	v_add_u32_e32 v1, 0x400, v1
	s_andn2_b64 exec, exec, s[2:3]
	s_cbranch_execnz .LBB33_12
.LBB33_13:
	s_or_b64 exec, exec, s[6:7]
	v_mov_b32_e32 v1, 0
	s_waitcnt lgkmcnt(0)
	s_barrier
	ds_read_b32 v1, v1
	s_cmp_lt_i32 s17, 2
	s_cbranch_scc1 .LBB33_21
; %bb.14:
	s_add_i32 s2, s17, -1
	s_add_i32 s3, s17, -2
	s_cmp_lt_u32 s3, 7
	s_cbranch_scc1 .LBB33_18
; %bb.15:
	s_mov_b32 s6, 0
	s_add_i32 s3, 0, 8
	s_and_b32 s5, s2, -8
.LBB33_16:                              ; =>This Inner Loop Header: Depth=1
	v_mov_b32_e32 v8, s3
	ds_read2_b32 v[2:3], v8 offset1:2
	ds_read2_b32 v[4:5], v8 offset0:4 offset1:6
	ds_read2_b32 v[6:7], v8 offset0:8 offset1:10
	;; [unrolled: 1-line block ×3, first 2 shown]
	s_mov_b32 s7, s6
	s_waitcnt lgkmcnt(3)
	v_max3_f32 v1, v1, v2, v3
	s_waitcnt lgkmcnt(2)
	v_max3_f32 v1, v1, v4, v5
	s_add_i32 s3, s3, 64
	s_add_i32 s6, s6, 8
	s_waitcnt lgkmcnt(1)
	v_max3_f32 v1, v1, v6, v7
	s_cmp_eq_u32 s5, s6
	s_waitcnt lgkmcnt(0)
	v_max3_f32 v1, v1, v8, v9
	s_cbranch_scc0 .LBB33_16
; %bb.17:
	s_add_i32 s3, s7, 9
	s_and_b32 s2, s2, 7
	s_cmp_eq_u32 s2, 0
	s_cbranch_scc0 .LBB33_19
	s_branch .LBB33_21
.LBB33_18:
	s_mov_b32 s3, 1
	s_and_b32 s2, s2, 7
	s_cmp_eq_u32 s2, 0
	s_cbranch_scc1 .LBB33_21
.LBB33_19:
	s_lshl_b32 s3, s3, 3
	s_add_i32 s3, s3, 0
.LBB33_20:                              ; =>This Inner Loop Header: Depth=1
	v_mov_b32_e32 v2, s3
	ds_read_b32 v2, v2
	s_waitcnt lgkmcnt(1)
	v_max_f32_e32 v1, v1, v1
	s_add_i32 s3, s3, 8
	s_add_i32 s2, s2, -1
	s_cmp_lg_u32 s2, 0
	s_waitcnt lgkmcnt(0)
	v_max_f32_e32 v2, v2, v2
	v_max_f32_e32 v1, v1, v2
	s_cbranch_scc1 .LBB33_20
.LBB33_21:
	s_cmp_lt_i32 s17, 1
	s_cbranch_scc1 .LBB33_26
; %bb.22:
	s_lshl_b32 s2, s4, 8
	s_ashr_i32 s3, s2, 31
	s_lshl_b64 s[2:3], s[2:3], 2
	s_add_u32 s18, s0, s2
	s_addc_u32 s19, s1, s3
	s_cmp_lt_u32 s17, 8
	v_mov_b32_e32 v6, 0
	s_cbranch_scc1 .LBB33_27
; %bb.23:
	s_and_b32 s20, s17, 0x7ffffff8
	v_or_b32_e32 v2, 0x700, v0
	s_mov_b32 s21, 0
	v_mov_b32_e32 v5, 0
	s_mov_b32 s22, 0x3fb8aa3b
	s_mov_b32 s23, 0xc2ce8ed0
	;; [unrolled: 1-line block ×3, first 2 shown]
	v_mov_b32_e32 v8, 0x7f800000
	v_mov_b32_e32 v9, s19
	s_mov_b32 s25, 0
	v_mov_b32_e32 v7, 0
	v_mov_b32_e32 v6, 0
.LBB33_24:                              ; =>This Inner Loop Header: Depth=1
	v_add_u32_e32 v4, 0xfffff900, v2
	v_lshlrev_b64 v[26:27], 2, v[4:5]
	v_mov_b32_e32 v3, v5
	v_add_co_u32_e32 v26, vcc, s18, v26
	v_lshlrev_b64 v[28:29], 2, v[2:3]
	v_addc_co_u32_e32 v27, vcc, v9, v27, vcc
	v_add_u32_e32 v4, 0xfffffa00, v2
	v_add_co_u32_e32 v28, vcc, s18, v28
	v_mov_b32_e32 v22, s21
	v_lshlrev_b64 v[30:31], 2, v[4:5]
	v_addc_co_u32_e32 v29, vcc, v9, v29, vcc
	ds_read2_b64 v[10:13], v22 offset1:1
	ds_read2_b64 v[14:17], v22 offset0:2 offset1:3
	ds_read2_b64 v[18:21], v22 offset0:4 offset1:5
	;; [unrolled: 1-line block ×3, first 2 shown]
	v_add_u32_e32 v4, 0xfffffb00, v2
	global_load_dword v3, v[26:27], off
	v_add_co_u32_e32 v26, vcc, s18, v30
	v_addc_co_u32_e32 v27, vcc, v9, v31, vcc
	v_lshlrev_b64 v[30:31], 2, v[4:5]
	v_add_u32_e32 v4, 0xfffffc00, v2
	v_add_co_u32_e32 v30, vcc, s18, v30
	v_addc_co_u32_e32 v31, vcc, v9, v31, vcc
	v_lshlrev_b64 v[32:33], 2, v[4:5]
	v_add_u32_e32 v4, 0xfffffd00, v2
	global_load_dword v34, v[26:27], off
	global_load_dword v35, v[30:31], off
	v_add_co_u32_e32 v26, vcc, s18, v32
	v_addc_co_u32_e32 v27, vcc, v9, v33, vcc
	v_lshlrev_b64 v[30:31], 2, v[4:5]
	v_add_u32_e32 v4, 0xfffffe00, v2
	v_add_co_u32_e32 v30, vcc, s18, v30
	v_addc_co_u32_e32 v31, vcc, v9, v31, vcc
	v_lshlrev_b64 v[32:33], 2, v[4:5]
	global_load_dword v36, v[26:27], off
	v_add_u32_e32 v4, 0xffffff00, v2
	global_load_dword v28, v[28:29], off
	v_add_co_u32_e32 v26, vcc, s18, v32
	v_addc_co_u32_e32 v27, vcc, v9, v33, vcc
	global_load_dword v42, v[30:31], off
	s_waitcnt lgkmcnt(3)
	v_sub_f32_e32 v12, v12, v1
	global_load_dword v26, v[26:27], off
	v_lshlrev_b64 v[30:31], 2, v[4:5]
	v_add_co_u32_e32 v30, vcc, s18, v30
	v_addc_co_u32_e32 v31, vcc, v9, v31, vcc
	global_load_dword v30, v[30:31], off
	s_waitcnt lgkmcnt(2)
	v_sub_f32_e32 v14, v14, v1
	v_sub_f32_e32 v10, v10, v1
	v_mul_f32_e32 v38, 0x3fb8aa3b, v12
	v_mul_f32_e32 v39, 0x3fb8aa3b, v14
	s_waitcnt lgkmcnt(1)
	v_sub_f32_e32 v18, v18, v1
	s_waitcnt lgkmcnt(0)
	v_sub_f32_e32 v22, v22, v1
	v_mul_f32_e32 v37, 0x3fb8aa3b, v10
	v_fma_f32 v45, v12, s22, -v38
	v_rndne_f32_e32 v46, v38
	v_fma_f32 v47, v14, s22, -v39
	v_rndne_f32_e32 v48, v39
	v_sub_f32_e32 v16, v16, v1
	v_sub_f32_e32 v20, v20, v1
	v_mul_f32_e32 v41, 0x3fb8aa3b, v18
	v_mul_f32_e32 v32, 0x3fb8aa3b, v22
	v_fma_f32 v33, v10, s22, -v37
	v_rndne_f32_e32 v44, v37
	v_fmac_f32_e32 v45, 0x32a5705f, v12
	v_sub_f32_e32 v38, v38, v46
	v_fmac_f32_e32 v47, 0x32a5705f, v14
	v_sub_f32_e32 v39, v39, v48
	v_mul_f32_e32 v40, 0x3fb8aa3b, v16
	v_mul_f32_e32 v43, 0x3fb8aa3b, v20
	v_fma_f32 v27, v18, s22, -v41
	v_rndne_f32_e32 v31, v41
	v_fmac_f32_e32 v33, 0x32a5705f, v10
	v_sub_f32_e32 v37, v37, v44
	v_add_f32_e32 v38, v38, v45
	v_fma_f32 v45, v22, s22, -v32
	v_add_f32_e32 v39, v39, v47
	v_rndne_f32_e32 v47, v32
	v_fma_f32 v49, v16, s22, -v40
	v_rndne_f32_e32 v50, v40
	v_fma_f32 v29, v20, s22, -v43
	v_add_f32_e32 v33, v37, v33
	v_rndne_f32_e32 v37, v43
	v_fmac_f32_e32 v27, 0x32a5705f, v18
	v_sub_f32_e32 v41, v41, v31
	v_fmac_f32_e32 v45, 0x32a5705f, v22
	v_sub_f32_e32 v32, v32, v47
	;; [unrolled: 2-line block ×3, first 2 shown]
	v_add_f32_e32 v27, v41, v27
	v_cvt_i32_f32_e32 v44, v44
	v_fmac_f32_e32 v29, 0x32a5705f, v20
	v_sub_f32_e32 v43, v43, v37
	v_add_f32_e32 v32, v32, v45
	v_exp_f32_e32 v33, v33
	v_add_f32_e32 v40, v40, v49
	v_cvt_i32_f32_e32 v46, v46
	v_cvt_i32_f32_e32 v31, v31
	;; [unrolled: 1-line block ×3, first 2 shown]
	v_add_f32_e32 v29, v43, v29
	v_exp_f32_e32 v38, v38
	v_exp_f32_e32 v27, v27
	;; [unrolled: 1-line block ×3, first 2 shown]
	v_sub_f32_e32 v24, v24, v1
	v_cvt_i32_f32_e32 v48, v48
	v_cvt_i32_f32_e32 v50, v50
	;; [unrolled: 1-line block ×3, first 2 shown]
	v_exp_f32_e32 v39, v39
	v_exp_f32_e32 v40, v40
	;; [unrolled: 1-line block ×3, first 2 shown]
	v_mul_f32_e32 v4, 0x3fb8aa3b, v24
	v_fma_f32 v49, v24, s22, -v4
	v_rndne_f32_e32 v41, v4
	v_ldexp_f32 v33, v33, v44
	v_cmp_ngt_f32_e64 s[12:13], s23, v10
	v_fmac_f32_e32 v49, 0x32a5705f, v24
	v_sub_f32_e32 v4, v4, v41
	v_ldexp_f32 v38, v38, v46
	v_cmp_ngt_f32_e32 vcc, s23, v12
	v_ldexp_f32 v27, v27, v31
	v_ldexp_f32 v31, v32, v47
	v_cndmask_b32_e64 v32, 0, v33, s[12:13]
	v_cmp_nlt_f32_e64 s[12:13], s24, v10
	v_add_f32_e32 v4, v4, v49
	v_ldexp_f32 v39, v39, v48
	v_cmp_ngt_f32_e64 s[0:1], s23, v14
	v_ldexp_f32 v40, v40, v50
	v_cmp_ngt_f32_e64 s[2:3], s23, v16
	v_cmp_ngt_f32_e64 s[4:5], s23, v18
	v_ldexp_f32 v29, v29, v37
	v_cmp_ngt_f32_e64 s[6:7], s23, v20
	v_cmp_ngt_f32_e64 s[8:9], s23, v22
	v_cndmask_b32_e32 v33, 0, v38, vcc
	v_cmp_nlt_f32_e32 vcc, s24, v12
	v_cndmask_b32_e64 v10, v8, v32, s[12:13]
	v_cvt_i32_f32_e32 v41, v41
	v_exp_f32_e32 v4, v4
	v_cndmask_b32_e64 v12, 0, v39, s[0:1]
	v_cmp_nlt_f32_e64 s[0:1], s24, v14
	v_cndmask_b32_e64 v14, 0, v40, s[2:3]
	v_cmp_nlt_f32_e64 s[2:3], s24, v16
	;; [unrolled: 2-line block ×5, first 2 shown]
	v_cndmask_b32_e32 v22, v8, v33, vcc
	v_fmac_f32_e32 v7, v10, v11
	s_waitcnt vmcnt(7)
	v_fmac_f32_e32 v6, v3, v10
	v_cndmask_b32_e64 v12, v8, v12, s[0:1]
	v_fmac_f32_e32 v7, v22, v13
	s_waitcnt vmcnt(6)
	v_fmac_f32_e32 v6, v34, v22
	v_cndmask_b32_e64 v14, v8, v14, s[2:3]
	;; [unrolled: 4-line block ×3, first 2 shown]
	v_fmac_f32_e32 v7, v14, v17
	s_waitcnt vmcnt(4)
	v_fmac_f32_e32 v6, v36, v14
	v_ldexp_f32 v4, v4, v41
	v_cmp_ngt_f32_e64 s[10:11], s23, v24
	v_cndmask_b32_e64 v18, v8, v18, s[6:7]
	v_fmac_f32_e32 v7, v16, v19
	s_waitcnt vmcnt(2)
	v_fmac_f32_e32 v6, v42, v16
	v_cndmask_b32_e64 v4, 0, v4, s[10:11]
	v_cmp_nlt_f32_e64 s[10:11], s24, v24
	v_cndmask_b32_e64 v20, v8, v20, s[8:9]
	v_fmac_f32_e32 v7, v18, v21
	s_waitcnt vmcnt(1)
	v_fmac_f32_e32 v6, v26, v18
	s_add_i32 s25, s25, 8
	s_add_i32 s21, s21, 64
	v_cndmask_b32_e64 v4, v8, v4, s[10:11]
	v_fmac_f32_e32 v7, v20, v23
	s_waitcnt vmcnt(0)
	v_fmac_f32_e32 v6, v30, v20
	s_cmp_eq_u32 s20, s25
	v_add_u32_e32 v2, 0x800, v2
	v_fmac_f32_e32 v7, v4, v25
	v_fmac_f32_e32 v6, v28, v4
	s_cbranch_scc0 .LBB33_24
; %bb.25:
	s_and_b32 s0, s17, 7
	s_cmp_eq_u32 s0, 0
	s_cbranch_scc0 .LBB33_28
	s_branch .LBB33_30
.LBB33_26:
	s_waitcnt lgkmcnt(0)
	v_mov_b32_e32 v1, 0x7fc00000
	s_branch .LBB33_31
.LBB33_27:
	s_mov_b32 s20, 0
	v_mov_b32_e32 v7, 0
	s_and_b32 s0, s17, 7
	s_cmp_eq_u32 s0, 0
	s_cbranch_scc1 .LBB33_30
.LBB33_28:
	s_lshl_b32 s1, s20, 3
	v_lshl_or_b32 v2, s20, 8, v0
	s_add_i32 s1, s1, 0
	s_mov_b32 s2, 0x3fb8aa3b
	s_mov_b32 s3, 0xc2ce8ed0
	;; [unrolled: 1-line block ×3, first 2 shown]
	v_mov_b32_e32 v4, 0x7f800000
	v_mov_b32_e32 v3, 0
	;; [unrolled: 1-line block ×3, first 2 shown]
.LBB33_29:                              ; =>This Inner Loop Header: Depth=1
	v_lshlrev_b64 v[8:9], 2, v[2:3]
	v_add_co_u32_e32 v8, vcc, s18, v8
	v_addc_co_u32_e32 v9, vcc, v5, v9, vcc
	global_load_dword v10, v[8:9], off
	v_mov_b32_e32 v8, s1
	ds_read_b64 v[8:9], v8
	s_add_i32 s1, s1, 8
	s_add_i32 s0, s0, -1
	v_add_u32_e32 v2, 0x100, v2
	s_cmp_lg_u32 s0, 0
	s_waitcnt lgkmcnt(0)
	v_sub_f32_e32 v8, v8, v1
	v_mul_f32_e32 v11, 0x3fb8aa3b, v8
	v_fma_f32 v12, v8, s2, -v11
	v_rndne_f32_e32 v13, v11
	v_fmac_f32_e32 v12, 0x32a5705f, v8
	v_sub_f32_e32 v11, v11, v13
	v_add_f32_e32 v11, v11, v12
	v_cvt_i32_f32_e32 v13, v13
	v_exp_f32_e32 v11, v11
	v_cmp_ngt_f32_e32 vcc, s3, v8
	v_ldexp_f32 v11, v11, v13
	v_cndmask_b32_e32 v11, 0, v11, vcc
	v_cmp_nlt_f32_e32 vcc, s4, v8
	v_cndmask_b32_e32 v8, v4, v11, vcc
	v_fmac_f32_e32 v7, v8, v9
	s_waitcnt vmcnt(0)
	v_fmac_f32_e32 v6, v10, v8
	s_cbranch_scc1 .LBB33_29
.LBB33_30:
	s_waitcnt lgkmcnt(0)
	v_div_scale_f32 v1, s[0:1], v7, v7, v6
	v_rcp_f32_e32 v2, v1
	v_div_scale_f32 v3, vcc, v6, v7, v6
	v_fma_f32 v4, -v1, v2, 1.0
	v_fmac_f32_e32 v2, v4, v2
	v_mul_f32_e32 v4, v3, v2
	v_fma_f32 v5, -v1, v4, v3
	v_fmac_f32_e32 v4, v5, v2
	v_fma_f32 v1, -v1, v4, v3
	v_div_fmas_f32 v1, v1, v2, v4
	v_div_fixup_f32 v1, v1, v7, v6
.LBB33_31:
	s_lshl_b32 s0, s16, 8
	s_ashr_i32 s1, s0, 31
	s_lshl_b64 s[0:1], s[0:1], 2
	s_add_u32 s0, s14, s0
	s_addc_u32 s1, s15, s1
	v_lshlrev_b32_e32 v0, 2, v0
	global_store_dword v0, v1, s[0:1]
	s_endpgm
	.section	.rodata,"a",@progbits
	.p2align	6, 0x0
	.amdhsa_kernel _ZL26flash_attn_combine_resultsILi256EEvPKfPK15HIP_vector_typeIfLj2EEPfi
		.amdhsa_group_segment_fixed_size 0
		.amdhsa_private_segment_fixed_size 0
		.amdhsa_kernarg_size 288
		.amdhsa_user_sgpr_count 6
		.amdhsa_user_sgpr_private_segment_buffer 1
		.amdhsa_user_sgpr_dispatch_ptr 0
		.amdhsa_user_sgpr_queue_ptr 0
		.amdhsa_user_sgpr_kernarg_segment_ptr 1
		.amdhsa_user_sgpr_dispatch_id 0
		.amdhsa_user_sgpr_flat_scratch_init 0
		.amdhsa_user_sgpr_kernarg_preload_length 0
		.amdhsa_user_sgpr_kernarg_preload_offset 0
		.amdhsa_user_sgpr_private_segment_size 0
		.amdhsa_uses_dynamic_stack 0
		.amdhsa_system_sgpr_private_segment_wavefront_offset 0
		.amdhsa_system_sgpr_workgroup_id_x 1
		.amdhsa_system_sgpr_workgroup_id_y 1
		.amdhsa_system_sgpr_workgroup_id_z 1
		.amdhsa_system_sgpr_workgroup_info 0
		.amdhsa_system_vgpr_workitem_id 0
		.amdhsa_next_free_vgpr 51
		.amdhsa_next_free_sgpr 26
		.amdhsa_accum_offset 52
		.amdhsa_reserve_vcc 1
		.amdhsa_reserve_flat_scratch 0
		.amdhsa_float_round_mode_32 0
		.amdhsa_float_round_mode_16_64 0
		.amdhsa_float_denorm_mode_32 3
		.amdhsa_float_denorm_mode_16_64 3
		.amdhsa_dx10_clamp 1
		.amdhsa_ieee_mode 1
		.amdhsa_fp16_overflow 0
		.amdhsa_tg_split 0
		.amdhsa_exception_fp_ieee_invalid_op 0
		.amdhsa_exception_fp_denorm_src 0
		.amdhsa_exception_fp_ieee_div_zero 0
		.amdhsa_exception_fp_ieee_overflow 0
		.amdhsa_exception_fp_ieee_underflow 0
		.amdhsa_exception_fp_ieee_inexact 0
		.amdhsa_exception_int_div_zero 0
	.end_amdhsa_kernel
	.section	.text._ZL26flash_attn_combine_resultsILi256EEvPKfPK15HIP_vector_typeIfLj2EEPfi,"axG",@progbits,_ZL26flash_attn_combine_resultsILi256EEvPKfPK15HIP_vector_typeIfLj2EEPfi,comdat
.Lfunc_end33:
	.size	_ZL26flash_attn_combine_resultsILi256EEvPKfPK15HIP_vector_typeIfLj2EEPfi, .Lfunc_end33-_ZL26flash_attn_combine_resultsILi256EEvPKfPK15HIP_vector_typeIfLj2EEPfi
                                        ; -- End function
	.section	.AMDGPU.csdata,"",@progbits
; Kernel info:
; codeLenInByte = 3048
; NumSgprs: 30
; NumVgprs: 51
; NumAgprs: 0
; TotalNumVgprs: 51
; ScratchSize: 0
; MemoryBound: 0
; FloatMode: 240
; IeeeMode: 1
; LDSByteSize: 0 bytes/workgroup (compile time only)
; SGPRBlocks: 3
; VGPRBlocks: 6
; NumSGPRsForWavesPerEU: 30
; NumVGPRsForWavesPerEU: 51
; AccumOffset: 52
; Occupancy: 8
; WaveLimiterHint : 0
; COMPUTE_PGM_RSRC2:SCRATCH_EN: 0
; COMPUTE_PGM_RSRC2:USER_SGPR: 6
; COMPUTE_PGM_RSRC2:TRAP_HANDLER: 0
; COMPUTE_PGM_RSRC2:TGID_X_EN: 1
; COMPUTE_PGM_RSRC2:TGID_Y_EN: 1
; COMPUTE_PGM_RSRC2:TGID_Z_EN: 1
; COMPUTE_PGM_RSRC2:TIDIG_COMP_CNT: 0
; COMPUTE_PGM_RSRC3_GFX90A:ACCUM_OFFSET: 12
; COMPUTE_PGM_RSRC3_GFX90A:TG_SPLIT: 0
	.text
	.p2alignl 6, 3212836864
	.fill 256, 4, 3212836864
	.type	.str.1,@object                  ; @.str.1
	.section	.rodata.str1.1,"aMS",@progbits,1
.str.1:
	.asciz	"/root/src/amdgpu-assembly/repos/ggml-org__llama.cpp/ggml/src/ggml-cuda/template-instances/../fattn-mma-f16.cuh"
	.size	.str.1, 111

	.type	__FUNCTION__._ZL18flash_attn_ext_f16ILi64ELi64ELi16ELi2ELb1ELb0EEvPKcS1_S1_S1_S1_PKiPfP15HIP_vector_typeIfLj2EEffffjfiS5_IjLj3EEiiiiiiiiiiiliiliiiiil,@object ; @__FUNCTION__._ZL18flash_attn_ext_f16ILi64ELi64ELi16ELi2ELb1ELb0EEvPKcS1_S1_S1_S1_PKiPfP15HIP_vector_typeIfLj2EEffffjfiS5_IjLj3EEiiiiiiiiiiiliiliiiiil
__FUNCTION__._ZL18flash_attn_ext_f16ILi64ELi64ELi16ELi2ELb1ELb0EEvPKcS1_S1_S1_S1_PKiPfP15HIP_vector_typeIfLj2EEffffjfiS5_IjLj3EEiiiiiiiiiiiliiliiiiil:
	.asciz	"flash_attn_ext_f16"
	.size	__FUNCTION__._ZL18flash_attn_ext_f16ILi64ELi64ELi16ELi2ELb1ELb0EEvPKcS1_S1_S1_S1_PKiPfP15HIP_vector_typeIfLj2EEffffjfiS5_IjLj3EEiiiiiiiiiiiliiliiiiil, 19

	.type	.str.3,@object                  ; @.str.3
.str.3:
	.asciz	"%s:%d: ERROR: HIP kernel %s has no device code compatible with HIP arch %d.\n"
	.size	.str.3, 77

	.type	__hip_cuid_87efcd0e5ebb248c,@object ; @__hip_cuid_87efcd0e5ebb248c
	.section	.bss,"aw",@nobits
	.globl	__hip_cuid_87efcd0e5ebb248c
__hip_cuid_87efcd0e5ebb248c:
	.byte	0                               ; 0x0
	.size	__hip_cuid_87efcd0e5ebb248c, 1

	.ident	"AMD clang version 19.0.0git (https://github.com/RadeonOpenCompute/llvm-project roc-6.4.0 25133 c7fe45cf4b819c5991fe208aaa96edf142730f1d)"
	.section	".note.GNU-stack","",@progbits
	.addrsig
	.addrsig_sym __hip_cuid_87efcd0e5ebb248c
	.amdgpu_metadata
---
amdhsa.kernels:
  - .agpr_count:     0
    .args:
      - .address_space:  global
        .offset:         0
        .size:           8
        .value_kind:     global_buffer
      - .address_space:  global
        .offset:         8
        .size:           8
        .value_kind:     global_buffer
      - .address_space:  global
        .offset:         16
        .size:           8
        .value_kind:     global_buffer
      - .address_space:  global
        .offset:         24
        .size:           8
        .value_kind:     global_buffer
      - .address_space:  global
        .offset:         32
        .size:           8
        .value_kind:     global_buffer
      - .address_space:  global
        .offset:         40
        .size:           8
        .value_kind:     global_buffer
      - .address_space:  global
        .offset:         48
        .size:           8
        .value_kind:     global_buffer
      - .address_space:  global
        .offset:         56
        .size:           8
        .value_kind:     global_buffer
      - .offset:         64
        .size:           4
        .value_kind:     by_value
      - .offset:         68
        .size:           4
        .value_kind:     by_value
      - .offset:         72
        .size:           4
        .value_kind:     by_value
      - .offset:         76
        .size:           4
        .value_kind:     by_value
      - .offset:         80
        .size:           4
        .value_kind:     by_value
      - .offset:         84
        .size:           4
        .value_kind:     by_value
      - .offset:         88
        .size:           4
        .value_kind:     by_value
      - .offset:         92
        .size:           12
        .value_kind:     by_value
      - .offset:         104
        .size:           4
        .value_kind:     by_value
      - .offset:         108
        .size:           4
        .value_kind:     by_value
      - .offset:         112
        .size:           4
        .value_kind:     by_value
      - .offset:         116
        .size:           4
        .value_kind:     by_value
      - .offset:         120
        .size:           4
        .value_kind:     by_value
      - .offset:         124
        .size:           4
        .value_kind:     by_value
      - .offset:         128
        .size:           4
        .value_kind:     by_value
      - .offset:         132
        .size:           4
        .value_kind:     by_value
      - .offset:         136
        .size:           4
        .value_kind:     by_value
      - .offset:         140
        .size:           4
        .value_kind:     by_value
      - .offset:         144
        .size:           4
        .value_kind:     by_value
      - .offset:         152
        .size:           8
        .value_kind:     by_value
      - .offset:         160
        .size:           4
        .value_kind:     by_value
      - .offset:         164
        .size:           4
        .value_kind:     by_value
      - .offset:         168
        .size:           8
        .value_kind:     by_value
      - .offset:         176
        .size:           4
        .value_kind:     by_value
      - .offset:         180
        .size:           4
        .value_kind:     by_value
      - .offset:         184
        .size:           4
        .value_kind:     by_value
      - .offset:         188
        .size:           4
        .value_kind:     by_value
      - .offset:         192
        .size:           4
        .value_kind:     by_value
      - .offset:         200
        .size:           8
        .value_kind:     by_value
      - .offset:         208
        .size:           4
        .value_kind:     hidden_block_count_x
      - .offset:         212
        .size:           4
        .value_kind:     hidden_block_count_y
      - .offset:         216
        .size:           4
        .value_kind:     hidden_block_count_z
      - .offset:         220
        .size:           2
        .value_kind:     hidden_group_size_x
      - .offset:         222
        .size:           2
        .value_kind:     hidden_group_size_y
      - .offset:         224
        .size:           2
        .value_kind:     hidden_group_size_z
      - .offset:         226
        .size:           2
        .value_kind:     hidden_remainder_x
      - .offset:         228
        .size:           2
        .value_kind:     hidden_remainder_y
      - .offset:         230
        .size:           2
        .value_kind:     hidden_remainder_z
      - .offset:         248
        .size:           8
        .value_kind:     hidden_global_offset_x
      - .offset:         256
        .size:           8
        .value_kind:     hidden_global_offset_y
      - .offset:         264
        .size:           8
        .value_kind:     hidden_global_offset_z
      - .offset:         272
        .size:           2
        .value_kind:     hidden_grid_dims
      - .offset:         328
        .size:           4
        .value_kind:     hidden_dynamic_lds_size
    .group_segment_fixed_size: 0
    .kernarg_segment_align: 8
    .kernarg_segment_size: 464
    .language:       OpenCL C
    .language_version:
      - 2
      - 0
    .max_flat_workgroup_size: 256
    .name:           _ZL18flash_attn_ext_f16ILi64ELi64ELi16ELi2ELb0ELb0EEvPKcS1_S1_S1_S1_PKiPfP15HIP_vector_typeIfLj2EEffffjfiS5_IjLj3EEiiiiiiiiiiiliiliiiiil
    .private_segment_fixed_size: 0
    .sgpr_count:     100
    .sgpr_spill_count: 23
    .symbol:         _ZL18flash_attn_ext_f16ILi64ELi64ELi16ELi2ELb0ELb0EEvPKcS1_S1_S1_S1_PKiPfP15HIP_vector_typeIfLj2EEffffjfiS5_IjLj3EEiiiiiiiiiiiliiliiiiil.kd
    .uniform_work_group_size: 1
    .uses_dynamic_stack: false
    .vgpr_count:     161
    .vgpr_spill_count: 0
    .wavefront_size: 64
  - .agpr_count:     0
    .args:
      - .address_space:  global
        .offset:         0
        .size:           8
        .value_kind:     global_buffer
      - .address_space:  global
        .offset:         8
        .size:           8
        .value_kind:     global_buffer
      - .address_space:  global
        .offset:         16
        .size:           8
        .value_kind:     global_buffer
      - .address_space:  global
        .offset:         24
        .size:           8
        .value_kind:     global_buffer
      - .address_space:  global
        .offset:         32
        .size:           8
        .value_kind:     global_buffer
      - .address_space:  global
        .offset:         40
        .size:           8
        .value_kind:     global_buffer
      - .address_space:  global
        .offset:         48
        .size:           8
        .value_kind:     global_buffer
      - .address_space:  global
        .offset:         56
        .size:           8
        .value_kind:     global_buffer
      - .offset:         64
        .size:           4
        .value_kind:     by_value
      - .offset:         68
        .size:           4
        .value_kind:     by_value
      - .offset:         72
        .size:           4
        .value_kind:     by_value
      - .offset:         76
        .size:           4
        .value_kind:     by_value
      - .offset:         80
        .size:           4
        .value_kind:     by_value
      - .offset:         84
        .size:           4
        .value_kind:     by_value
      - .offset:         88
        .size:           4
        .value_kind:     by_value
      - .offset:         92
        .size:           12
        .value_kind:     by_value
      - .offset:         104
        .size:           4
        .value_kind:     by_value
      - .offset:         108
        .size:           4
        .value_kind:     by_value
      - .offset:         112
        .size:           4
        .value_kind:     by_value
      - .offset:         116
        .size:           4
        .value_kind:     by_value
      - .offset:         120
        .size:           4
        .value_kind:     by_value
      - .offset:         124
        .size:           4
        .value_kind:     by_value
      - .offset:         128
        .size:           4
        .value_kind:     by_value
      - .offset:         132
        .size:           4
        .value_kind:     by_value
      - .offset:         136
        .size:           4
        .value_kind:     by_value
      - .offset:         140
        .size:           4
        .value_kind:     by_value
      - .offset:         144
        .size:           4
        .value_kind:     by_value
      - .offset:         152
        .size:           8
        .value_kind:     by_value
      - .offset:         160
        .size:           4
        .value_kind:     by_value
      - .offset:         164
        .size:           4
        .value_kind:     by_value
      - .offset:         168
        .size:           8
        .value_kind:     by_value
      - .offset:         176
        .size:           4
        .value_kind:     by_value
      - .offset:         180
        .size:           4
        .value_kind:     by_value
      - .offset:         184
        .size:           4
        .value_kind:     by_value
      - .offset:         188
        .size:           4
        .value_kind:     by_value
      - .offset:         192
        .size:           4
        .value_kind:     by_value
      - .offset:         200
        .size:           8
        .value_kind:     by_value
      - .offset:         208
        .size:           4
        .value_kind:     hidden_block_count_x
      - .offset:         212
        .size:           4
        .value_kind:     hidden_block_count_y
      - .offset:         216
        .size:           4
        .value_kind:     hidden_block_count_z
      - .offset:         220
        .size:           2
        .value_kind:     hidden_group_size_x
      - .offset:         222
        .size:           2
        .value_kind:     hidden_group_size_y
      - .offset:         224
        .size:           2
        .value_kind:     hidden_group_size_z
      - .offset:         226
        .size:           2
        .value_kind:     hidden_remainder_x
      - .offset:         228
        .size:           2
        .value_kind:     hidden_remainder_y
      - .offset:         230
        .size:           2
        .value_kind:     hidden_remainder_z
      - .offset:         248
        .size:           8
        .value_kind:     hidden_global_offset_x
      - .offset:         256
        .size:           8
        .value_kind:     hidden_global_offset_y
      - .offset:         264
        .size:           8
        .value_kind:     hidden_global_offset_z
      - .offset:         272
        .size:           2
        .value_kind:     hidden_grid_dims
      - .offset:         288
        .size:           8
        .value_kind:     hidden_hostcall_buffer
    .group_segment_fixed_size: 0
    .kernarg_segment_align: 8
    .kernarg_segment_size: 464
    .language:       OpenCL C
    .language_version:
      - 2
      - 0
    .max_flat_workgroup_size: 256
    .name:           _ZL18flash_attn_ext_f16ILi64ELi64ELi16ELi2ELb1ELb0EEvPKcS1_S1_S1_S1_PKiPfP15HIP_vector_typeIfLj2EEffffjfiS5_IjLj3EEiiiiiiiiiiiliiliiiiil
    .private_segment_fixed_size: 16
    .sgpr_count:     40
    .sgpr_spill_count: 0
    .symbol:         _ZL18flash_attn_ext_f16ILi64ELi64ELi16ELi2ELb1ELb0EEvPKcS1_S1_S1_S1_PKiPfP15HIP_vector_typeIfLj2EEffffjfiS5_IjLj3EEiiiiiiiiiiiliiliiiiil.kd
    .uniform_work_group_size: 1
    .uses_dynamic_stack: false
    .vgpr_count:     39
    .vgpr_spill_count: 0
    .wavefront_size: 64
  - .agpr_count:     0
    .args:
      - .actual_access:  read_only
        .address_space:  global
        .offset:         0
        .size:           8
        .value_kind:     global_buffer
      - .actual_access:  write_only
        .address_space:  global
        .offset:         8
        .size:           8
        .value_kind:     global_buffer
      - .offset:         16
        .size:           4
        .value_kind:     by_value
      - .offset:         20
        .size:           4
        .value_kind:     by_value
      - .offset:         24
        .size:           4
        .value_kind:     by_value
      - .offset:         32
        .size:           4
        .value_kind:     hidden_block_count_x
      - .offset:         36
        .size:           4
        .value_kind:     hidden_block_count_y
      - .offset:         40
        .size:           4
        .value_kind:     hidden_block_count_z
      - .offset:         44
        .size:           2
        .value_kind:     hidden_group_size_x
      - .offset:         46
        .size:           2
        .value_kind:     hidden_group_size_y
      - .offset:         48
        .size:           2
        .value_kind:     hidden_group_size_z
      - .offset:         50
        .size:           2
        .value_kind:     hidden_remainder_x
      - .offset:         52
        .size:           2
        .value_kind:     hidden_remainder_y
      - .offset:         54
        .size:           2
        .value_kind:     hidden_remainder_z
      - .offset:         72
        .size:           8
        .value_kind:     hidden_global_offset_x
      - .offset:         80
        .size:           8
        .value_kind:     hidden_global_offset_y
      - .offset:         88
        .size:           8
        .value_kind:     hidden_global_offset_z
      - .offset:         96
        .size:           2
        .value_kind:     hidden_grid_dims
    .group_segment_fixed_size: 128
    .kernarg_segment_align: 8
    .kernarg_segment_size: 288
    .language:       OpenCL C
    .language_version:
      - 2
      - 0
    .max_flat_workgroup_size: 128
    .name:           _ZL25flash_attn_mask_to_KV_maxILi16EEvPK7__half2Piiii
    .private_segment_fixed_size: 0
    .sgpr_count:     86
    .sgpr_spill_count: 0
    .symbol:         _ZL25flash_attn_mask_to_KV_maxILi16EEvPK7__half2Piiii.kd
    .uniform_work_group_size: 1
    .uses_dynamic_stack: false
    .vgpr_count:     12
    .vgpr_spill_count: 0
    .wavefront_size: 64
  - .agpr_count:     0
    .args:
      - .address_space:  global
        .offset:         0
        .size:           8
        .value_kind:     global_buffer
      - .address_space:  global
        .offset:         8
        .size:           8
        .value_kind:     global_buffer
      - .offset:         16
        .size:           4
        .value_kind:     by_value
      - .offset:         20
        .size:           4
        .value_kind:     by_value
      - .offset:         24
        .size:           4
        .value_kind:     by_value
      - .offset:         28
        .size:           4
        .value_kind:     by_value
      - .offset:         32
        .size:           4
        .value_kind:     by_value
      - .offset:         36
        .size:           4
        .value_kind:     by_value
      - .offset:         40
        .size:           12
        .value_kind:     by_value
      - .offset:         52
        .size:           12
        .value_kind:     by_value
      - .offset:         64
        .size:           12
        .value_kind:     by_value
    .group_segment_fixed_size: 0
    .kernarg_segment_align: 8
    .kernarg_segment_size: 76
    .language:       OpenCL C
    .language_version:
      - 2
      - 0
    .max_flat_workgroup_size: 64
    .name:           _ZL33flash_attn_stream_k_fixup_uniformILi64ELi16ELi2EEvPfPK15HIP_vector_typeIfLj2EEiiiiiiS1_IjLj3EES5_S5_
    .private_segment_fixed_size: 0
    .sgpr_count:     24
    .sgpr_spill_count: 0
    .symbol:         _ZL33flash_attn_stream_k_fixup_uniformILi64ELi16ELi2EEvPfPK15HIP_vector_typeIfLj2EEiiiiiiS1_IjLj3EES5_S5_.kd
    .uniform_work_group_size: 1
    .uses_dynamic_stack: false
    .vgpr_count:     17
    .vgpr_spill_count: 0
    .wavefront_size: 64
  - .agpr_count:     0
    .args:
      - .address_space:  global
        .offset:         0
        .size:           8
        .value_kind:     global_buffer
      - .address_space:  global
        .offset:         8
        .size:           8
        .value_kind:     global_buffer
      - .offset:         16
        .size:           4
        .value_kind:     by_value
      - .offset:         20
        .size:           4
        .value_kind:     by_value
      - .offset:         24
        .size:           4
        .value_kind:     by_value
      - .offset:         28
        .size:           4
        .value_kind:     by_value
      - .offset:         32
        .size:           12
        .value_kind:     by_value
      - .offset:         44
        .size:           12
        .value_kind:     by_value
      - .offset:         56
        .size:           12
        .value_kind:     by_value
      - .offset:         68
        .size:           12
        .value_kind:     by_value
      - .offset:         80
        .size:           4
        .value_kind:     hidden_block_count_x
      - .offset:         84
        .size:           4
        .value_kind:     hidden_block_count_y
      - .offset:         88
        .size:           4
        .value_kind:     hidden_block_count_z
      - .offset:         92
        .size:           2
        .value_kind:     hidden_group_size_x
      - .offset:         94
        .size:           2
        .value_kind:     hidden_group_size_y
      - .offset:         96
        .size:           2
        .value_kind:     hidden_group_size_z
      - .offset:         98
        .size:           2
        .value_kind:     hidden_remainder_x
      - .offset:         100
        .size:           2
        .value_kind:     hidden_remainder_y
      - .offset:         102
        .size:           2
        .value_kind:     hidden_remainder_z
      - .offset:         120
        .size:           8
        .value_kind:     hidden_global_offset_x
      - .offset:         128
        .size:           8
        .value_kind:     hidden_global_offset_y
      - .offset:         136
        .size:           8
        .value_kind:     hidden_global_offset_z
      - .offset:         144
        .size:           2
        .value_kind:     hidden_grid_dims
    .group_segment_fixed_size: 0
    .kernarg_segment_align: 8
    .kernarg_segment_size: 336
    .language:       OpenCL C
    .language_version:
      - 2
      - 0
    .max_flat_workgroup_size: 64
    .name:           _ZL33flash_attn_stream_k_fixup_generalILi64ELi16ELi2EEvPfPK15HIP_vector_typeIfLj2EEiiiiS1_IjLj3EES5_S5_S5_
    .private_segment_fixed_size: 0
    .sgpr_count:     36
    .sgpr_spill_count: 0
    .symbol:         _ZL33flash_attn_stream_k_fixup_generalILi64ELi16ELi2EEvPfPK15HIP_vector_typeIfLj2EEiiiiS1_IjLj3EES5_S5_S5_.kd
    .uniform_work_group_size: 1
    .uses_dynamic_stack: false
    .vgpr_count:     22
    .vgpr_spill_count: 0
    .wavefront_size: 64
  - .agpr_count:     0
    .args:
      - .address_space:  global
        .offset:         0
        .size:           8
        .value_kind:     global_buffer
      - .address_space:  global
        .offset:         8
        .size:           8
        .value_kind:     global_buffer
      - .address_space:  global
        .offset:         16
        .size:           8
        .value_kind:     global_buffer
      - .offset:         24
        .size:           4
        .value_kind:     by_value
      - .offset:         32
        .size:           4
        .value_kind:     hidden_block_count_x
      - .offset:         36
        .size:           4
        .value_kind:     hidden_block_count_y
      - .offset:         40
        .size:           4
        .value_kind:     hidden_block_count_z
      - .offset:         44
        .size:           2
        .value_kind:     hidden_group_size_x
      - .offset:         46
        .size:           2
        .value_kind:     hidden_group_size_y
      - .offset:         48
        .size:           2
        .value_kind:     hidden_group_size_z
      - .offset:         50
        .size:           2
        .value_kind:     hidden_remainder_x
      - .offset:         52
        .size:           2
        .value_kind:     hidden_remainder_y
      - .offset:         54
        .size:           2
        .value_kind:     hidden_remainder_z
      - .offset:         72
        .size:           8
        .value_kind:     hidden_global_offset_x
      - .offset:         80
        .size:           8
        .value_kind:     hidden_global_offset_y
      - .offset:         88
        .size:           8
        .value_kind:     hidden_global_offset_z
      - .offset:         96
        .size:           2
        .value_kind:     hidden_grid_dims
      - .offset:         152
        .size:           4
        .value_kind:     hidden_dynamic_lds_size
    .group_segment_fixed_size: 0
    .kernarg_segment_align: 8
    .kernarg_segment_size: 288
    .language:       OpenCL C
    .language_version:
      - 2
      - 0
    .max_flat_workgroup_size: 64
    .name:           _ZL26flash_attn_combine_resultsILi64EEvPKfPK15HIP_vector_typeIfLj2EEPfi
    .private_segment_fixed_size: 0
    .sgpr_count:     30
    .sgpr_spill_count: 0
    .symbol:         _ZL26flash_attn_combine_resultsILi64EEvPKfPK15HIP_vector_typeIfLj2EEPfi.kd
    .uniform_work_group_size: 1
    .uses_dynamic_stack: false
    .vgpr_count:     51
    .vgpr_spill_count: 0
    .wavefront_size: 64
  - .agpr_count:     0
    .args:
      - .address_space:  global
        .offset:         0
        .size:           8
        .value_kind:     global_buffer
      - .address_space:  global
        .offset:         8
        .size:           8
        .value_kind:     global_buffer
      - .address_space:  global
        .offset:         16
        .size:           8
        .value_kind:     global_buffer
      - .address_space:  global
        .offset:         24
        .size:           8
        .value_kind:     global_buffer
      - .address_space:  global
        .offset:         32
        .size:           8
        .value_kind:     global_buffer
      - .address_space:  global
        .offset:         40
        .size:           8
        .value_kind:     global_buffer
      - .address_space:  global
        .offset:         48
        .size:           8
        .value_kind:     global_buffer
      - .address_space:  global
        .offset:         56
        .size:           8
        .value_kind:     global_buffer
      - .offset:         64
        .size:           4
        .value_kind:     by_value
      - .offset:         68
        .size:           4
        .value_kind:     by_value
      - .offset:         72
        .size:           4
        .value_kind:     by_value
      - .offset:         76
        .size:           4
        .value_kind:     by_value
      - .offset:         80
        .size:           4
        .value_kind:     by_value
      - .offset:         84
        .size:           4
        .value_kind:     by_value
      - .offset:         88
        .size:           4
        .value_kind:     by_value
      - .offset:         92
        .size:           12
        .value_kind:     by_value
      - .offset:         104
        .size:           4
        .value_kind:     by_value
      - .offset:         108
        .size:           4
        .value_kind:     by_value
      - .offset:         112
        .size:           4
        .value_kind:     by_value
      - .offset:         116
        .size:           4
        .value_kind:     by_value
      - .offset:         120
        .size:           4
        .value_kind:     by_value
      - .offset:         124
        .size:           4
        .value_kind:     by_value
      - .offset:         128
        .size:           4
        .value_kind:     by_value
      - .offset:         132
        .size:           4
        .value_kind:     by_value
      - .offset:         136
        .size:           4
        .value_kind:     by_value
      - .offset:         140
        .size:           4
        .value_kind:     by_value
      - .offset:         144
        .size:           4
        .value_kind:     by_value
      - .offset:         152
        .size:           8
        .value_kind:     by_value
      - .offset:         160
        .size:           4
        .value_kind:     by_value
      - .offset:         164
        .size:           4
        .value_kind:     by_value
      - .offset:         168
        .size:           8
        .value_kind:     by_value
      - .offset:         176
        .size:           4
        .value_kind:     by_value
      - .offset:         180
        .size:           4
        .value_kind:     by_value
      - .offset:         184
        .size:           4
        .value_kind:     by_value
      - .offset:         188
        .size:           4
        .value_kind:     by_value
      - .offset:         192
        .size:           4
        .value_kind:     by_value
      - .offset:         200
        .size:           8
        .value_kind:     by_value
      - .offset:         208
        .size:           4
        .value_kind:     hidden_block_count_x
      - .offset:         212
        .size:           4
        .value_kind:     hidden_block_count_y
      - .offset:         216
        .size:           4
        .value_kind:     hidden_block_count_z
      - .offset:         220
        .size:           2
        .value_kind:     hidden_group_size_x
      - .offset:         222
        .size:           2
        .value_kind:     hidden_group_size_y
      - .offset:         224
        .size:           2
        .value_kind:     hidden_group_size_z
      - .offset:         226
        .size:           2
        .value_kind:     hidden_remainder_x
      - .offset:         228
        .size:           2
        .value_kind:     hidden_remainder_y
      - .offset:         230
        .size:           2
        .value_kind:     hidden_remainder_z
      - .offset:         248
        .size:           8
        .value_kind:     hidden_global_offset_x
      - .offset:         256
        .size:           8
        .value_kind:     hidden_global_offset_y
      - .offset:         264
        .size:           8
        .value_kind:     hidden_global_offset_z
      - .offset:         272
        .size:           2
        .value_kind:     hidden_grid_dims
      - .offset:         328
        .size:           4
        .value_kind:     hidden_dynamic_lds_size
    .group_segment_fixed_size: 0
    .kernarg_segment_align: 8
    .kernarg_segment_size: 464
    .language:       OpenCL C
    .language_version:
      - 2
      - 0
    .max_flat_workgroup_size: 256
    .name:           _ZL18flash_attn_ext_f16ILi80ELi80ELi16ELi2ELb0ELb0EEvPKcS1_S1_S1_S1_PKiPfP15HIP_vector_typeIfLj2EEffffjfiS5_IjLj3EEiiiiiiiiiiiliiliiiiil
    .private_segment_fixed_size: 0
    .sgpr_count:     100
    .sgpr_spill_count: 32
    .symbol:         _ZL18flash_attn_ext_f16ILi80ELi80ELi16ELi2ELb0ELb0EEvPKcS1_S1_S1_S1_PKiPfP15HIP_vector_typeIfLj2EEffffjfiS5_IjLj3EEiiiiiiiiiiiliiliiiiil.kd
    .uniform_work_group_size: 1
    .uses_dynamic_stack: false
    .vgpr_count:     189
    .vgpr_spill_count: 0
    .wavefront_size: 64
  - .agpr_count:     0
    .args:
      - .address_space:  global
        .offset:         0
        .size:           8
        .value_kind:     global_buffer
      - .address_space:  global
        .offset:         8
        .size:           8
        .value_kind:     global_buffer
      - .address_space:  global
        .offset:         16
        .size:           8
        .value_kind:     global_buffer
      - .address_space:  global
        .offset:         24
        .size:           8
        .value_kind:     global_buffer
      - .address_space:  global
        .offset:         32
        .size:           8
        .value_kind:     global_buffer
      - .address_space:  global
        .offset:         40
        .size:           8
        .value_kind:     global_buffer
      - .address_space:  global
        .offset:         48
        .size:           8
        .value_kind:     global_buffer
      - .address_space:  global
        .offset:         56
        .size:           8
        .value_kind:     global_buffer
      - .offset:         64
        .size:           4
        .value_kind:     by_value
      - .offset:         68
        .size:           4
        .value_kind:     by_value
      - .offset:         72
        .size:           4
        .value_kind:     by_value
      - .offset:         76
        .size:           4
        .value_kind:     by_value
      - .offset:         80
        .size:           4
        .value_kind:     by_value
      - .offset:         84
        .size:           4
        .value_kind:     by_value
      - .offset:         88
        .size:           4
        .value_kind:     by_value
      - .offset:         92
        .size:           12
        .value_kind:     by_value
      - .offset:         104
        .size:           4
        .value_kind:     by_value
      - .offset:         108
        .size:           4
        .value_kind:     by_value
      - .offset:         112
        .size:           4
        .value_kind:     by_value
      - .offset:         116
        .size:           4
        .value_kind:     by_value
      - .offset:         120
        .size:           4
        .value_kind:     by_value
      - .offset:         124
        .size:           4
        .value_kind:     by_value
      - .offset:         128
        .size:           4
        .value_kind:     by_value
      - .offset:         132
        .size:           4
        .value_kind:     by_value
      - .offset:         136
        .size:           4
        .value_kind:     by_value
      - .offset:         140
        .size:           4
        .value_kind:     by_value
      - .offset:         144
        .size:           4
        .value_kind:     by_value
      - .offset:         152
        .size:           8
        .value_kind:     by_value
      - .offset:         160
        .size:           4
        .value_kind:     by_value
      - .offset:         164
        .size:           4
        .value_kind:     by_value
      - .offset:         168
        .size:           8
        .value_kind:     by_value
      - .offset:         176
        .size:           4
        .value_kind:     by_value
      - .offset:         180
        .size:           4
        .value_kind:     by_value
      - .offset:         184
        .size:           4
        .value_kind:     by_value
      - .offset:         188
        .size:           4
        .value_kind:     by_value
      - .offset:         192
        .size:           4
        .value_kind:     by_value
      - .offset:         200
        .size:           8
        .value_kind:     by_value
      - .offset:         208
        .size:           4
        .value_kind:     hidden_block_count_x
      - .offset:         212
        .size:           4
        .value_kind:     hidden_block_count_y
      - .offset:         216
        .size:           4
        .value_kind:     hidden_block_count_z
      - .offset:         220
        .size:           2
        .value_kind:     hidden_group_size_x
      - .offset:         222
        .size:           2
        .value_kind:     hidden_group_size_y
      - .offset:         224
        .size:           2
        .value_kind:     hidden_group_size_z
      - .offset:         226
        .size:           2
        .value_kind:     hidden_remainder_x
      - .offset:         228
        .size:           2
        .value_kind:     hidden_remainder_y
      - .offset:         230
        .size:           2
        .value_kind:     hidden_remainder_z
      - .offset:         248
        .size:           8
        .value_kind:     hidden_global_offset_x
      - .offset:         256
        .size:           8
        .value_kind:     hidden_global_offset_y
      - .offset:         264
        .size:           8
        .value_kind:     hidden_global_offset_z
      - .offset:         272
        .size:           2
        .value_kind:     hidden_grid_dims
      - .offset:         288
        .size:           8
        .value_kind:     hidden_hostcall_buffer
    .group_segment_fixed_size: 0
    .kernarg_segment_align: 8
    .kernarg_segment_size: 464
    .language:       OpenCL C
    .language_version:
      - 2
      - 0
    .max_flat_workgroup_size: 256
    .name:           _ZL18flash_attn_ext_f16ILi80ELi80ELi16ELi2ELb1ELb0EEvPKcS1_S1_S1_S1_PKiPfP15HIP_vector_typeIfLj2EEffffjfiS5_IjLj3EEiiiiiiiiiiiliiliiiiil
    .private_segment_fixed_size: 16
    .sgpr_count:     40
    .sgpr_spill_count: 0
    .symbol:         _ZL18flash_attn_ext_f16ILi80ELi80ELi16ELi2ELb1ELb0EEvPKcS1_S1_S1_S1_PKiPfP15HIP_vector_typeIfLj2EEffffjfiS5_IjLj3EEiiiiiiiiiiiliiliiiiil.kd
    .uniform_work_group_size: 1
    .uses_dynamic_stack: false
    .vgpr_count:     39
    .vgpr_spill_count: 0
    .wavefront_size: 64
  - .agpr_count:     0
    .args:
      - .address_space:  global
        .offset:         0
        .size:           8
        .value_kind:     global_buffer
      - .address_space:  global
        .offset:         8
        .size:           8
        .value_kind:     global_buffer
      - .offset:         16
        .size:           4
        .value_kind:     by_value
      - .offset:         20
        .size:           4
        .value_kind:     by_value
      - .offset:         24
        .size:           4
        .value_kind:     by_value
      - .offset:         28
        .size:           4
        .value_kind:     by_value
      - .offset:         32
        .size:           4
        .value_kind:     by_value
      - .offset:         36
        .size:           4
        .value_kind:     by_value
      - .offset:         40
        .size:           12
        .value_kind:     by_value
      - .offset:         52
        .size:           12
        .value_kind:     by_value
      - .offset:         64
        .size:           12
        .value_kind:     by_value
    .group_segment_fixed_size: 0
    .kernarg_segment_align: 8
    .kernarg_segment_size: 76
    .language:       OpenCL C
    .language_version:
      - 2
      - 0
    .max_flat_workgroup_size: 80
    .name:           _ZL33flash_attn_stream_k_fixup_uniformILi80ELi16ELi2EEvPfPK15HIP_vector_typeIfLj2EEiiiiiiS1_IjLj3EES5_S5_
    .private_segment_fixed_size: 0
    .sgpr_count:     24
    .sgpr_spill_count: 0
    .symbol:         _ZL33flash_attn_stream_k_fixup_uniformILi80ELi16ELi2EEvPfPK15HIP_vector_typeIfLj2EEiiiiiiS1_IjLj3EES5_S5_.kd
    .uniform_work_group_size: 1
    .uses_dynamic_stack: false
    .vgpr_count:     17
    .vgpr_spill_count: 0
    .wavefront_size: 64
  - .agpr_count:     0
    .args:
      - .address_space:  global
        .offset:         0
        .size:           8
        .value_kind:     global_buffer
      - .address_space:  global
        .offset:         8
        .size:           8
        .value_kind:     global_buffer
      - .offset:         16
        .size:           4
        .value_kind:     by_value
      - .offset:         20
        .size:           4
        .value_kind:     by_value
      - .offset:         24
        .size:           4
        .value_kind:     by_value
      - .offset:         28
        .size:           4
        .value_kind:     by_value
      - .offset:         32
        .size:           12
        .value_kind:     by_value
      - .offset:         44
        .size:           12
        .value_kind:     by_value
      - .offset:         56
        .size:           12
        .value_kind:     by_value
      - .offset:         68
        .size:           12
        .value_kind:     by_value
      - .offset:         80
        .size:           4
        .value_kind:     hidden_block_count_x
      - .offset:         84
        .size:           4
        .value_kind:     hidden_block_count_y
      - .offset:         88
        .size:           4
        .value_kind:     hidden_block_count_z
      - .offset:         92
        .size:           2
        .value_kind:     hidden_group_size_x
      - .offset:         94
        .size:           2
        .value_kind:     hidden_group_size_y
      - .offset:         96
        .size:           2
        .value_kind:     hidden_group_size_z
      - .offset:         98
        .size:           2
        .value_kind:     hidden_remainder_x
      - .offset:         100
        .size:           2
        .value_kind:     hidden_remainder_y
      - .offset:         102
        .size:           2
        .value_kind:     hidden_remainder_z
      - .offset:         120
        .size:           8
        .value_kind:     hidden_global_offset_x
      - .offset:         128
        .size:           8
        .value_kind:     hidden_global_offset_y
      - .offset:         136
        .size:           8
        .value_kind:     hidden_global_offset_z
      - .offset:         144
        .size:           2
        .value_kind:     hidden_grid_dims
    .group_segment_fixed_size: 0
    .kernarg_segment_align: 8
    .kernarg_segment_size: 336
    .language:       OpenCL C
    .language_version:
      - 2
      - 0
    .max_flat_workgroup_size: 80
    .name:           _ZL33flash_attn_stream_k_fixup_generalILi80ELi16ELi2EEvPfPK15HIP_vector_typeIfLj2EEiiiiS1_IjLj3EES5_S5_S5_
    .private_segment_fixed_size: 0
    .sgpr_count:     36
    .sgpr_spill_count: 0
    .symbol:         _ZL33flash_attn_stream_k_fixup_generalILi80ELi16ELi2EEvPfPK15HIP_vector_typeIfLj2EEiiiiS1_IjLj3EES5_S5_S5_.kd
    .uniform_work_group_size: 1
    .uses_dynamic_stack: false
    .vgpr_count:     22
    .vgpr_spill_count: 0
    .wavefront_size: 64
  - .agpr_count:     0
    .args:
      - .address_space:  global
        .offset:         0
        .size:           8
        .value_kind:     global_buffer
      - .address_space:  global
        .offset:         8
        .size:           8
        .value_kind:     global_buffer
      - .address_space:  global
        .offset:         16
        .size:           8
        .value_kind:     global_buffer
      - .offset:         24
        .size:           4
        .value_kind:     by_value
      - .offset:         32
        .size:           4
        .value_kind:     hidden_block_count_x
      - .offset:         36
        .size:           4
        .value_kind:     hidden_block_count_y
      - .offset:         40
        .size:           4
        .value_kind:     hidden_block_count_z
      - .offset:         44
        .size:           2
        .value_kind:     hidden_group_size_x
      - .offset:         46
        .size:           2
        .value_kind:     hidden_group_size_y
      - .offset:         48
        .size:           2
        .value_kind:     hidden_group_size_z
      - .offset:         50
        .size:           2
        .value_kind:     hidden_remainder_x
      - .offset:         52
        .size:           2
        .value_kind:     hidden_remainder_y
      - .offset:         54
        .size:           2
        .value_kind:     hidden_remainder_z
      - .offset:         72
        .size:           8
        .value_kind:     hidden_global_offset_x
      - .offset:         80
        .size:           8
        .value_kind:     hidden_global_offset_y
      - .offset:         88
        .size:           8
        .value_kind:     hidden_global_offset_z
      - .offset:         96
        .size:           2
        .value_kind:     hidden_grid_dims
      - .offset:         152
        .size:           4
        .value_kind:     hidden_dynamic_lds_size
    .group_segment_fixed_size: 0
    .kernarg_segment_align: 8
    .kernarg_segment_size: 288
    .language:       OpenCL C
    .language_version:
      - 2
      - 0
    .max_flat_workgroup_size: 80
    .name:           _ZL26flash_attn_combine_resultsILi80EEvPKfPK15HIP_vector_typeIfLj2EEPfi
    .private_segment_fixed_size: 0
    .sgpr_count:     33
    .sgpr_spill_count: 0
    .symbol:         _ZL26flash_attn_combine_resultsILi80EEvPKfPK15HIP_vector_typeIfLj2EEPfi.kd
    .uniform_work_group_size: 1
    .uses_dynamic_stack: false
    .vgpr_count:     51
    .vgpr_spill_count: 0
    .wavefront_size: 64
  - .agpr_count:     0
    .args:
      - .address_space:  global
        .offset:         0
        .size:           8
        .value_kind:     global_buffer
      - .address_space:  global
        .offset:         8
        .size:           8
        .value_kind:     global_buffer
      - .address_space:  global
        .offset:         16
        .size:           8
        .value_kind:     global_buffer
      - .address_space:  global
        .offset:         24
        .size:           8
        .value_kind:     global_buffer
      - .address_space:  global
        .offset:         32
        .size:           8
        .value_kind:     global_buffer
      - .address_space:  global
        .offset:         40
        .size:           8
        .value_kind:     global_buffer
      - .address_space:  global
        .offset:         48
        .size:           8
        .value_kind:     global_buffer
      - .address_space:  global
        .offset:         56
        .size:           8
        .value_kind:     global_buffer
      - .offset:         64
        .size:           4
        .value_kind:     by_value
      - .offset:         68
        .size:           4
        .value_kind:     by_value
      - .offset:         72
        .size:           4
        .value_kind:     by_value
      - .offset:         76
        .size:           4
        .value_kind:     by_value
      - .offset:         80
        .size:           4
        .value_kind:     by_value
      - .offset:         84
        .size:           4
        .value_kind:     by_value
      - .offset:         88
        .size:           4
        .value_kind:     by_value
      - .offset:         92
        .size:           12
        .value_kind:     by_value
      - .offset:         104
        .size:           4
        .value_kind:     by_value
      - .offset:         108
        .size:           4
        .value_kind:     by_value
      - .offset:         112
        .size:           4
        .value_kind:     by_value
      - .offset:         116
        .size:           4
        .value_kind:     by_value
      - .offset:         120
        .size:           4
        .value_kind:     by_value
      - .offset:         124
        .size:           4
        .value_kind:     by_value
      - .offset:         128
        .size:           4
        .value_kind:     by_value
      - .offset:         132
        .size:           4
        .value_kind:     by_value
      - .offset:         136
        .size:           4
        .value_kind:     by_value
      - .offset:         140
        .size:           4
        .value_kind:     by_value
      - .offset:         144
        .size:           4
        .value_kind:     by_value
      - .offset:         152
        .size:           8
        .value_kind:     by_value
      - .offset:         160
        .size:           4
        .value_kind:     by_value
      - .offset:         164
        .size:           4
        .value_kind:     by_value
      - .offset:         168
        .size:           8
        .value_kind:     by_value
      - .offset:         176
        .size:           4
        .value_kind:     by_value
      - .offset:         180
        .size:           4
        .value_kind:     by_value
      - .offset:         184
        .size:           4
        .value_kind:     by_value
      - .offset:         188
        .size:           4
        .value_kind:     by_value
      - .offset:         192
        .size:           4
        .value_kind:     by_value
      - .offset:         200
        .size:           8
        .value_kind:     by_value
      - .offset:         208
        .size:           4
        .value_kind:     hidden_block_count_x
      - .offset:         212
        .size:           4
        .value_kind:     hidden_block_count_y
      - .offset:         216
        .size:           4
        .value_kind:     hidden_block_count_z
      - .offset:         220
        .size:           2
        .value_kind:     hidden_group_size_x
      - .offset:         222
        .size:           2
        .value_kind:     hidden_group_size_y
      - .offset:         224
        .size:           2
        .value_kind:     hidden_group_size_z
      - .offset:         226
        .size:           2
        .value_kind:     hidden_remainder_x
      - .offset:         228
        .size:           2
        .value_kind:     hidden_remainder_y
      - .offset:         230
        .size:           2
        .value_kind:     hidden_remainder_z
      - .offset:         248
        .size:           8
        .value_kind:     hidden_global_offset_x
      - .offset:         256
        .size:           8
        .value_kind:     hidden_global_offset_y
      - .offset:         264
        .size:           8
        .value_kind:     hidden_global_offset_z
      - .offset:         272
        .size:           2
        .value_kind:     hidden_grid_dims
      - .offset:         328
        .size:           4
        .value_kind:     hidden_dynamic_lds_size
    .group_segment_fixed_size: 0
    .kernarg_segment_align: 8
    .kernarg_segment_size: 464
    .language:       OpenCL C
    .language_version:
      - 2
      - 0
    .max_flat_workgroup_size: 256
    .name:           _ZL18flash_attn_ext_f16ILi96ELi96ELi16ELi2ELb0ELb0EEvPKcS1_S1_S1_S1_PKiPfP15HIP_vector_typeIfLj2EEffffjfiS5_IjLj3EEiiiiiiiiiiiliiliiiiil
    .private_segment_fixed_size: 0
    .sgpr_count:     100
    .sgpr_spill_count: 30
    .symbol:         _ZL18flash_attn_ext_f16ILi96ELi96ELi16ELi2ELb0ELb0EEvPKcS1_S1_S1_S1_PKiPfP15HIP_vector_typeIfLj2EEffffjfiS5_IjLj3EEiiiiiiiiiiiliiliiiiil.kd
    .uniform_work_group_size: 1
    .uses_dynamic_stack: false
    .vgpr_count:     211
    .vgpr_spill_count: 0
    .wavefront_size: 64
  - .agpr_count:     0
    .args:
      - .address_space:  global
        .offset:         0
        .size:           8
        .value_kind:     global_buffer
      - .address_space:  global
        .offset:         8
        .size:           8
        .value_kind:     global_buffer
      - .address_space:  global
        .offset:         16
        .size:           8
        .value_kind:     global_buffer
      - .address_space:  global
        .offset:         24
        .size:           8
        .value_kind:     global_buffer
      - .address_space:  global
        .offset:         32
        .size:           8
        .value_kind:     global_buffer
      - .address_space:  global
        .offset:         40
        .size:           8
        .value_kind:     global_buffer
      - .address_space:  global
        .offset:         48
        .size:           8
        .value_kind:     global_buffer
      - .address_space:  global
        .offset:         56
        .size:           8
        .value_kind:     global_buffer
      - .offset:         64
        .size:           4
        .value_kind:     by_value
      - .offset:         68
        .size:           4
        .value_kind:     by_value
      - .offset:         72
        .size:           4
        .value_kind:     by_value
      - .offset:         76
        .size:           4
        .value_kind:     by_value
      - .offset:         80
        .size:           4
        .value_kind:     by_value
      - .offset:         84
        .size:           4
        .value_kind:     by_value
      - .offset:         88
        .size:           4
        .value_kind:     by_value
      - .offset:         92
        .size:           12
        .value_kind:     by_value
      - .offset:         104
        .size:           4
        .value_kind:     by_value
      - .offset:         108
        .size:           4
        .value_kind:     by_value
      - .offset:         112
        .size:           4
        .value_kind:     by_value
      - .offset:         116
        .size:           4
        .value_kind:     by_value
      - .offset:         120
        .size:           4
        .value_kind:     by_value
      - .offset:         124
        .size:           4
        .value_kind:     by_value
      - .offset:         128
        .size:           4
        .value_kind:     by_value
      - .offset:         132
        .size:           4
        .value_kind:     by_value
      - .offset:         136
        .size:           4
        .value_kind:     by_value
      - .offset:         140
        .size:           4
        .value_kind:     by_value
      - .offset:         144
        .size:           4
        .value_kind:     by_value
      - .offset:         152
        .size:           8
        .value_kind:     by_value
      - .offset:         160
        .size:           4
        .value_kind:     by_value
      - .offset:         164
        .size:           4
        .value_kind:     by_value
      - .offset:         168
        .size:           8
        .value_kind:     by_value
      - .offset:         176
        .size:           4
        .value_kind:     by_value
      - .offset:         180
        .size:           4
        .value_kind:     by_value
      - .offset:         184
        .size:           4
        .value_kind:     by_value
      - .offset:         188
        .size:           4
        .value_kind:     by_value
      - .offset:         192
        .size:           4
        .value_kind:     by_value
      - .offset:         200
        .size:           8
        .value_kind:     by_value
      - .offset:         208
        .size:           4
        .value_kind:     hidden_block_count_x
      - .offset:         212
        .size:           4
        .value_kind:     hidden_block_count_y
      - .offset:         216
        .size:           4
        .value_kind:     hidden_block_count_z
      - .offset:         220
        .size:           2
        .value_kind:     hidden_group_size_x
      - .offset:         222
        .size:           2
        .value_kind:     hidden_group_size_y
      - .offset:         224
        .size:           2
        .value_kind:     hidden_group_size_z
      - .offset:         226
        .size:           2
        .value_kind:     hidden_remainder_x
      - .offset:         228
        .size:           2
        .value_kind:     hidden_remainder_y
      - .offset:         230
        .size:           2
        .value_kind:     hidden_remainder_z
      - .offset:         248
        .size:           8
        .value_kind:     hidden_global_offset_x
      - .offset:         256
        .size:           8
        .value_kind:     hidden_global_offset_y
      - .offset:         264
        .size:           8
        .value_kind:     hidden_global_offset_z
      - .offset:         272
        .size:           2
        .value_kind:     hidden_grid_dims
      - .offset:         288
        .size:           8
        .value_kind:     hidden_hostcall_buffer
    .group_segment_fixed_size: 0
    .kernarg_segment_align: 8
    .kernarg_segment_size: 464
    .language:       OpenCL C
    .language_version:
      - 2
      - 0
    .max_flat_workgroup_size: 256
    .name:           _ZL18flash_attn_ext_f16ILi96ELi96ELi16ELi2ELb1ELb0EEvPKcS1_S1_S1_S1_PKiPfP15HIP_vector_typeIfLj2EEffffjfiS5_IjLj3EEiiiiiiiiiiiliiliiiiil
    .private_segment_fixed_size: 16
    .sgpr_count:     40
    .sgpr_spill_count: 0
    .symbol:         _ZL18flash_attn_ext_f16ILi96ELi96ELi16ELi2ELb1ELb0EEvPKcS1_S1_S1_S1_PKiPfP15HIP_vector_typeIfLj2EEffffjfiS5_IjLj3EEiiiiiiiiiiiliiliiiiil.kd
    .uniform_work_group_size: 1
    .uses_dynamic_stack: false
    .vgpr_count:     39
    .vgpr_spill_count: 0
    .wavefront_size: 64
  - .agpr_count:     0
    .args:
      - .address_space:  global
        .offset:         0
        .size:           8
        .value_kind:     global_buffer
      - .address_space:  global
        .offset:         8
        .size:           8
        .value_kind:     global_buffer
      - .offset:         16
        .size:           4
        .value_kind:     by_value
      - .offset:         20
        .size:           4
        .value_kind:     by_value
      - .offset:         24
        .size:           4
        .value_kind:     by_value
      - .offset:         28
        .size:           4
        .value_kind:     by_value
      - .offset:         32
        .size:           4
        .value_kind:     by_value
      - .offset:         36
        .size:           4
        .value_kind:     by_value
      - .offset:         40
        .size:           12
        .value_kind:     by_value
      - .offset:         52
        .size:           12
        .value_kind:     by_value
      - .offset:         64
        .size:           12
        .value_kind:     by_value
    .group_segment_fixed_size: 0
    .kernarg_segment_align: 8
    .kernarg_segment_size: 76
    .language:       OpenCL C
    .language_version:
      - 2
      - 0
    .max_flat_workgroup_size: 96
    .name:           _ZL33flash_attn_stream_k_fixup_uniformILi96ELi16ELi2EEvPfPK15HIP_vector_typeIfLj2EEiiiiiiS1_IjLj3EES5_S5_
    .private_segment_fixed_size: 0
    .sgpr_count:     24
    .sgpr_spill_count: 0
    .symbol:         _ZL33flash_attn_stream_k_fixup_uniformILi96ELi16ELi2EEvPfPK15HIP_vector_typeIfLj2EEiiiiiiS1_IjLj3EES5_S5_.kd
    .uniform_work_group_size: 1
    .uses_dynamic_stack: false
    .vgpr_count:     17
    .vgpr_spill_count: 0
    .wavefront_size: 64
  - .agpr_count:     0
    .args:
      - .address_space:  global
        .offset:         0
        .size:           8
        .value_kind:     global_buffer
      - .address_space:  global
        .offset:         8
        .size:           8
        .value_kind:     global_buffer
      - .offset:         16
        .size:           4
        .value_kind:     by_value
      - .offset:         20
        .size:           4
        .value_kind:     by_value
      - .offset:         24
        .size:           4
        .value_kind:     by_value
      - .offset:         28
        .size:           4
        .value_kind:     by_value
      - .offset:         32
        .size:           12
        .value_kind:     by_value
      - .offset:         44
        .size:           12
        .value_kind:     by_value
      - .offset:         56
        .size:           12
        .value_kind:     by_value
      - .offset:         68
        .size:           12
        .value_kind:     by_value
      - .offset:         80
        .size:           4
        .value_kind:     hidden_block_count_x
      - .offset:         84
        .size:           4
        .value_kind:     hidden_block_count_y
      - .offset:         88
        .size:           4
        .value_kind:     hidden_block_count_z
      - .offset:         92
        .size:           2
        .value_kind:     hidden_group_size_x
      - .offset:         94
        .size:           2
        .value_kind:     hidden_group_size_y
      - .offset:         96
        .size:           2
        .value_kind:     hidden_group_size_z
      - .offset:         98
        .size:           2
        .value_kind:     hidden_remainder_x
      - .offset:         100
        .size:           2
        .value_kind:     hidden_remainder_y
      - .offset:         102
        .size:           2
        .value_kind:     hidden_remainder_z
      - .offset:         120
        .size:           8
        .value_kind:     hidden_global_offset_x
      - .offset:         128
        .size:           8
        .value_kind:     hidden_global_offset_y
      - .offset:         136
        .size:           8
        .value_kind:     hidden_global_offset_z
      - .offset:         144
        .size:           2
        .value_kind:     hidden_grid_dims
    .group_segment_fixed_size: 0
    .kernarg_segment_align: 8
    .kernarg_segment_size: 336
    .language:       OpenCL C
    .language_version:
      - 2
      - 0
    .max_flat_workgroup_size: 96
    .name:           _ZL33flash_attn_stream_k_fixup_generalILi96ELi16ELi2EEvPfPK15HIP_vector_typeIfLj2EEiiiiS1_IjLj3EES5_S5_S5_
    .private_segment_fixed_size: 0
    .sgpr_count:     36
    .sgpr_spill_count: 0
    .symbol:         _ZL33flash_attn_stream_k_fixup_generalILi96ELi16ELi2EEvPfPK15HIP_vector_typeIfLj2EEiiiiS1_IjLj3EES5_S5_S5_.kd
    .uniform_work_group_size: 1
    .uses_dynamic_stack: false
    .vgpr_count:     22
    .vgpr_spill_count: 0
    .wavefront_size: 64
  - .agpr_count:     0
    .args:
      - .address_space:  global
        .offset:         0
        .size:           8
        .value_kind:     global_buffer
      - .address_space:  global
        .offset:         8
        .size:           8
        .value_kind:     global_buffer
      - .address_space:  global
        .offset:         16
        .size:           8
        .value_kind:     global_buffer
      - .offset:         24
        .size:           4
        .value_kind:     by_value
      - .offset:         32
        .size:           4
        .value_kind:     hidden_block_count_x
      - .offset:         36
        .size:           4
        .value_kind:     hidden_block_count_y
      - .offset:         40
        .size:           4
        .value_kind:     hidden_block_count_z
      - .offset:         44
        .size:           2
        .value_kind:     hidden_group_size_x
      - .offset:         46
        .size:           2
        .value_kind:     hidden_group_size_y
      - .offset:         48
        .size:           2
        .value_kind:     hidden_group_size_z
      - .offset:         50
        .size:           2
        .value_kind:     hidden_remainder_x
      - .offset:         52
        .size:           2
        .value_kind:     hidden_remainder_y
      - .offset:         54
        .size:           2
        .value_kind:     hidden_remainder_z
      - .offset:         72
        .size:           8
        .value_kind:     hidden_global_offset_x
      - .offset:         80
        .size:           8
        .value_kind:     hidden_global_offset_y
      - .offset:         88
        .size:           8
        .value_kind:     hidden_global_offset_z
      - .offset:         96
        .size:           2
        .value_kind:     hidden_grid_dims
      - .offset:         152
        .size:           4
        .value_kind:     hidden_dynamic_lds_size
    .group_segment_fixed_size: 0
    .kernarg_segment_align: 8
    .kernarg_segment_size: 288
    .language:       OpenCL C
    .language_version:
      - 2
      - 0
    .max_flat_workgroup_size: 96
    .name:           _ZL26flash_attn_combine_resultsILi96EEvPKfPK15HIP_vector_typeIfLj2EEPfi
    .private_segment_fixed_size: 0
    .sgpr_count:     33
    .sgpr_spill_count: 0
    .symbol:         _ZL26flash_attn_combine_resultsILi96EEvPKfPK15HIP_vector_typeIfLj2EEPfi.kd
    .uniform_work_group_size: 1
    .uses_dynamic_stack: false
    .vgpr_count:     51
    .vgpr_spill_count: 0
    .wavefront_size: 64
  - .agpr_count:     0
    .args:
      - .address_space:  global
        .offset:         0
        .size:           8
        .value_kind:     global_buffer
      - .address_space:  global
        .offset:         8
        .size:           8
        .value_kind:     global_buffer
      - .address_space:  global
        .offset:         16
        .size:           8
        .value_kind:     global_buffer
      - .address_space:  global
        .offset:         24
        .size:           8
        .value_kind:     global_buffer
      - .address_space:  global
        .offset:         32
        .size:           8
        .value_kind:     global_buffer
      - .address_space:  global
        .offset:         40
        .size:           8
        .value_kind:     global_buffer
      - .address_space:  global
        .offset:         48
        .size:           8
        .value_kind:     global_buffer
      - .address_space:  global
        .offset:         56
        .size:           8
        .value_kind:     global_buffer
      - .offset:         64
        .size:           4
        .value_kind:     by_value
      - .offset:         68
        .size:           4
        .value_kind:     by_value
      - .offset:         72
        .size:           4
        .value_kind:     by_value
      - .offset:         76
        .size:           4
        .value_kind:     by_value
      - .offset:         80
        .size:           4
        .value_kind:     by_value
      - .offset:         84
        .size:           4
        .value_kind:     by_value
      - .offset:         88
        .size:           4
        .value_kind:     by_value
      - .offset:         92
        .size:           12
        .value_kind:     by_value
      - .offset:         104
        .size:           4
        .value_kind:     by_value
      - .offset:         108
        .size:           4
        .value_kind:     by_value
      - .offset:         112
        .size:           4
        .value_kind:     by_value
      - .offset:         116
        .size:           4
        .value_kind:     by_value
      - .offset:         120
        .size:           4
        .value_kind:     by_value
      - .offset:         124
        .size:           4
        .value_kind:     by_value
      - .offset:         128
        .size:           4
        .value_kind:     by_value
      - .offset:         132
        .size:           4
        .value_kind:     by_value
      - .offset:         136
        .size:           4
        .value_kind:     by_value
      - .offset:         140
        .size:           4
        .value_kind:     by_value
      - .offset:         144
        .size:           4
        .value_kind:     by_value
      - .offset:         152
        .size:           8
        .value_kind:     by_value
      - .offset:         160
        .size:           4
        .value_kind:     by_value
      - .offset:         164
        .size:           4
        .value_kind:     by_value
      - .offset:         168
        .size:           8
        .value_kind:     by_value
      - .offset:         176
        .size:           4
        .value_kind:     by_value
      - .offset:         180
        .size:           4
        .value_kind:     by_value
      - .offset:         184
        .size:           4
        .value_kind:     by_value
      - .offset:         188
        .size:           4
        .value_kind:     by_value
      - .offset:         192
        .size:           4
        .value_kind:     by_value
      - .offset:         200
        .size:           8
        .value_kind:     by_value
      - .offset:         208
        .size:           4
        .value_kind:     hidden_block_count_x
      - .offset:         212
        .size:           4
        .value_kind:     hidden_block_count_y
      - .offset:         216
        .size:           4
        .value_kind:     hidden_block_count_z
      - .offset:         220
        .size:           2
        .value_kind:     hidden_group_size_x
      - .offset:         222
        .size:           2
        .value_kind:     hidden_group_size_y
      - .offset:         224
        .size:           2
        .value_kind:     hidden_group_size_z
      - .offset:         226
        .size:           2
        .value_kind:     hidden_remainder_x
      - .offset:         228
        .size:           2
        .value_kind:     hidden_remainder_y
      - .offset:         230
        .size:           2
        .value_kind:     hidden_remainder_z
      - .offset:         248
        .size:           8
        .value_kind:     hidden_global_offset_x
      - .offset:         256
        .size:           8
        .value_kind:     hidden_global_offset_y
      - .offset:         264
        .size:           8
        .value_kind:     hidden_global_offset_z
      - .offset:         272
        .size:           2
        .value_kind:     hidden_grid_dims
      - .offset:         328
        .size:           4
        .value_kind:     hidden_dynamic_lds_size
    .group_segment_fixed_size: 0
    .kernarg_segment_align: 8
    .kernarg_segment_size: 464
    .language:       OpenCL C
    .language_version:
      - 2
      - 0
    .max_flat_workgroup_size: 256
    .name:           _ZL18flash_attn_ext_f16ILi112ELi112ELi16ELi2ELb0ELb0EEvPKcS1_S1_S1_S1_PKiPfP15HIP_vector_typeIfLj2EEffffjfiS5_IjLj3EEiiiiiiiiiiiliiliiiiil
    .private_segment_fixed_size: 0
    .sgpr_count:     100
    .sgpr_spill_count: 34
    .symbol:         _ZL18flash_attn_ext_f16ILi112ELi112ELi16ELi2ELb0ELb0EEvPKcS1_S1_S1_S1_PKiPfP15HIP_vector_typeIfLj2EEffffjfiS5_IjLj3EEiiiiiiiiiiiliiliiiiil.kd
    .uniform_work_group_size: 1
    .uses_dynamic_stack: false
    .vgpr_count:     235
    .vgpr_spill_count: 0
    .wavefront_size: 64
  - .agpr_count:     0
    .args:
      - .address_space:  global
        .offset:         0
        .size:           8
        .value_kind:     global_buffer
      - .address_space:  global
        .offset:         8
        .size:           8
        .value_kind:     global_buffer
      - .address_space:  global
        .offset:         16
        .size:           8
        .value_kind:     global_buffer
      - .address_space:  global
        .offset:         24
        .size:           8
        .value_kind:     global_buffer
      - .address_space:  global
        .offset:         32
        .size:           8
        .value_kind:     global_buffer
      - .address_space:  global
        .offset:         40
        .size:           8
        .value_kind:     global_buffer
      - .address_space:  global
        .offset:         48
        .size:           8
        .value_kind:     global_buffer
      - .address_space:  global
        .offset:         56
        .size:           8
        .value_kind:     global_buffer
      - .offset:         64
        .size:           4
        .value_kind:     by_value
      - .offset:         68
        .size:           4
        .value_kind:     by_value
      - .offset:         72
        .size:           4
        .value_kind:     by_value
      - .offset:         76
        .size:           4
        .value_kind:     by_value
      - .offset:         80
        .size:           4
        .value_kind:     by_value
      - .offset:         84
        .size:           4
        .value_kind:     by_value
      - .offset:         88
        .size:           4
        .value_kind:     by_value
      - .offset:         92
        .size:           12
        .value_kind:     by_value
      - .offset:         104
        .size:           4
        .value_kind:     by_value
      - .offset:         108
        .size:           4
        .value_kind:     by_value
      - .offset:         112
        .size:           4
        .value_kind:     by_value
      - .offset:         116
        .size:           4
        .value_kind:     by_value
      - .offset:         120
        .size:           4
        .value_kind:     by_value
      - .offset:         124
        .size:           4
        .value_kind:     by_value
      - .offset:         128
        .size:           4
        .value_kind:     by_value
      - .offset:         132
        .size:           4
        .value_kind:     by_value
      - .offset:         136
        .size:           4
        .value_kind:     by_value
      - .offset:         140
        .size:           4
        .value_kind:     by_value
      - .offset:         144
        .size:           4
        .value_kind:     by_value
      - .offset:         152
        .size:           8
        .value_kind:     by_value
      - .offset:         160
        .size:           4
        .value_kind:     by_value
      - .offset:         164
        .size:           4
        .value_kind:     by_value
      - .offset:         168
        .size:           8
        .value_kind:     by_value
      - .offset:         176
        .size:           4
        .value_kind:     by_value
      - .offset:         180
        .size:           4
        .value_kind:     by_value
      - .offset:         184
        .size:           4
        .value_kind:     by_value
      - .offset:         188
        .size:           4
        .value_kind:     by_value
      - .offset:         192
        .size:           4
        .value_kind:     by_value
      - .offset:         200
        .size:           8
        .value_kind:     by_value
      - .offset:         208
        .size:           4
        .value_kind:     hidden_block_count_x
      - .offset:         212
        .size:           4
        .value_kind:     hidden_block_count_y
      - .offset:         216
        .size:           4
        .value_kind:     hidden_block_count_z
      - .offset:         220
        .size:           2
        .value_kind:     hidden_group_size_x
      - .offset:         222
        .size:           2
        .value_kind:     hidden_group_size_y
      - .offset:         224
        .size:           2
        .value_kind:     hidden_group_size_z
      - .offset:         226
        .size:           2
        .value_kind:     hidden_remainder_x
      - .offset:         228
        .size:           2
        .value_kind:     hidden_remainder_y
      - .offset:         230
        .size:           2
        .value_kind:     hidden_remainder_z
      - .offset:         248
        .size:           8
        .value_kind:     hidden_global_offset_x
      - .offset:         256
        .size:           8
        .value_kind:     hidden_global_offset_y
      - .offset:         264
        .size:           8
        .value_kind:     hidden_global_offset_z
      - .offset:         272
        .size:           2
        .value_kind:     hidden_grid_dims
      - .offset:         288
        .size:           8
        .value_kind:     hidden_hostcall_buffer
    .group_segment_fixed_size: 0
    .kernarg_segment_align: 8
    .kernarg_segment_size: 464
    .language:       OpenCL C
    .language_version:
      - 2
      - 0
    .max_flat_workgroup_size: 256
    .name:           _ZL18flash_attn_ext_f16ILi112ELi112ELi16ELi2ELb1ELb0EEvPKcS1_S1_S1_S1_PKiPfP15HIP_vector_typeIfLj2EEffffjfiS5_IjLj3EEiiiiiiiiiiiliiliiiiil
    .private_segment_fixed_size: 16
    .sgpr_count:     40
    .sgpr_spill_count: 0
    .symbol:         _ZL18flash_attn_ext_f16ILi112ELi112ELi16ELi2ELb1ELb0EEvPKcS1_S1_S1_S1_PKiPfP15HIP_vector_typeIfLj2EEffffjfiS5_IjLj3EEiiiiiiiiiiiliiliiiiil.kd
    .uniform_work_group_size: 1
    .uses_dynamic_stack: false
    .vgpr_count:     39
    .vgpr_spill_count: 0
    .wavefront_size: 64
  - .agpr_count:     0
    .args:
      - .address_space:  global
        .offset:         0
        .size:           8
        .value_kind:     global_buffer
      - .address_space:  global
        .offset:         8
        .size:           8
        .value_kind:     global_buffer
      - .offset:         16
        .size:           4
        .value_kind:     by_value
      - .offset:         20
        .size:           4
        .value_kind:     by_value
      - .offset:         24
        .size:           4
        .value_kind:     by_value
      - .offset:         28
        .size:           4
        .value_kind:     by_value
      - .offset:         32
        .size:           4
        .value_kind:     by_value
      - .offset:         36
        .size:           4
        .value_kind:     by_value
      - .offset:         40
        .size:           12
        .value_kind:     by_value
      - .offset:         52
        .size:           12
        .value_kind:     by_value
      - .offset:         64
        .size:           12
        .value_kind:     by_value
    .group_segment_fixed_size: 0
    .kernarg_segment_align: 8
    .kernarg_segment_size: 76
    .language:       OpenCL C
    .language_version:
      - 2
      - 0
    .max_flat_workgroup_size: 112
    .name:           _ZL33flash_attn_stream_k_fixup_uniformILi112ELi16ELi2EEvPfPK15HIP_vector_typeIfLj2EEiiiiiiS1_IjLj3EES5_S5_
    .private_segment_fixed_size: 0
    .sgpr_count:     24
    .sgpr_spill_count: 0
    .symbol:         _ZL33flash_attn_stream_k_fixup_uniformILi112ELi16ELi2EEvPfPK15HIP_vector_typeIfLj2EEiiiiiiS1_IjLj3EES5_S5_.kd
    .uniform_work_group_size: 1
    .uses_dynamic_stack: false
    .vgpr_count:     17
    .vgpr_spill_count: 0
    .wavefront_size: 64
  - .agpr_count:     0
    .args:
      - .address_space:  global
        .offset:         0
        .size:           8
        .value_kind:     global_buffer
      - .address_space:  global
        .offset:         8
        .size:           8
        .value_kind:     global_buffer
      - .offset:         16
        .size:           4
        .value_kind:     by_value
      - .offset:         20
        .size:           4
        .value_kind:     by_value
      - .offset:         24
        .size:           4
        .value_kind:     by_value
      - .offset:         28
        .size:           4
        .value_kind:     by_value
      - .offset:         32
        .size:           12
        .value_kind:     by_value
      - .offset:         44
        .size:           12
        .value_kind:     by_value
      - .offset:         56
        .size:           12
        .value_kind:     by_value
      - .offset:         68
        .size:           12
        .value_kind:     by_value
      - .offset:         80
        .size:           4
        .value_kind:     hidden_block_count_x
      - .offset:         84
        .size:           4
        .value_kind:     hidden_block_count_y
      - .offset:         88
        .size:           4
        .value_kind:     hidden_block_count_z
      - .offset:         92
        .size:           2
        .value_kind:     hidden_group_size_x
      - .offset:         94
        .size:           2
        .value_kind:     hidden_group_size_y
      - .offset:         96
        .size:           2
        .value_kind:     hidden_group_size_z
      - .offset:         98
        .size:           2
        .value_kind:     hidden_remainder_x
      - .offset:         100
        .size:           2
        .value_kind:     hidden_remainder_y
      - .offset:         102
        .size:           2
        .value_kind:     hidden_remainder_z
      - .offset:         120
        .size:           8
        .value_kind:     hidden_global_offset_x
      - .offset:         128
        .size:           8
        .value_kind:     hidden_global_offset_y
      - .offset:         136
        .size:           8
        .value_kind:     hidden_global_offset_z
      - .offset:         144
        .size:           2
        .value_kind:     hidden_grid_dims
    .group_segment_fixed_size: 0
    .kernarg_segment_align: 8
    .kernarg_segment_size: 336
    .language:       OpenCL C
    .language_version:
      - 2
      - 0
    .max_flat_workgroup_size: 112
    .name:           _ZL33flash_attn_stream_k_fixup_generalILi112ELi16ELi2EEvPfPK15HIP_vector_typeIfLj2EEiiiiS1_IjLj3EES5_S5_S5_
    .private_segment_fixed_size: 0
    .sgpr_count:     36
    .sgpr_spill_count: 0
    .symbol:         _ZL33flash_attn_stream_k_fixup_generalILi112ELi16ELi2EEvPfPK15HIP_vector_typeIfLj2EEiiiiS1_IjLj3EES5_S5_S5_.kd
    .uniform_work_group_size: 1
    .uses_dynamic_stack: false
    .vgpr_count:     22
    .vgpr_spill_count: 0
    .wavefront_size: 64
  - .agpr_count:     0
    .args:
      - .address_space:  global
        .offset:         0
        .size:           8
        .value_kind:     global_buffer
      - .address_space:  global
        .offset:         8
        .size:           8
        .value_kind:     global_buffer
      - .address_space:  global
        .offset:         16
        .size:           8
        .value_kind:     global_buffer
      - .offset:         24
        .size:           4
        .value_kind:     by_value
      - .offset:         32
        .size:           4
        .value_kind:     hidden_block_count_x
      - .offset:         36
        .size:           4
        .value_kind:     hidden_block_count_y
      - .offset:         40
        .size:           4
        .value_kind:     hidden_block_count_z
      - .offset:         44
        .size:           2
        .value_kind:     hidden_group_size_x
      - .offset:         46
        .size:           2
        .value_kind:     hidden_group_size_y
      - .offset:         48
        .size:           2
        .value_kind:     hidden_group_size_z
      - .offset:         50
        .size:           2
        .value_kind:     hidden_remainder_x
      - .offset:         52
        .size:           2
        .value_kind:     hidden_remainder_y
      - .offset:         54
        .size:           2
        .value_kind:     hidden_remainder_z
      - .offset:         72
        .size:           8
        .value_kind:     hidden_global_offset_x
      - .offset:         80
        .size:           8
        .value_kind:     hidden_global_offset_y
      - .offset:         88
        .size:           8
        .value_kind:     hidden_global_offset_z
      - .offset:         96
        .size:           2
        .value_kind:     hidden_grid_dims
      - .offset:         152
        .size:           4
        .value_kind:     hidden_dynamic_lds_size
    .group_segment_fixed_size: 0
    .kernarg_segment_align: 8
    .kernarg_segment_size: 288
    .language:       OpenCL C
    .language_version:
      - 2
      - 0
    .max_flat_workgroup_size: 112
    .name:           _ZL26flash_attn_combine_resultsILi112EEvPKfPK15HIP_vector_typeIfLj2EEPfi
    .private_segment_fixed_size: 0
    .sgpr_count:     33
    .sgpr_spill_count: 0
    .symbol:         _ZL26flash_attn_combine_resultsILi112EEvPKfPK15HIP_vector_typeIfLj2EEPfi.kd
    .uniform_work_group_size: 1
    .uses_dynamic_stack: false
    .vgpr_count:     51
    .vgpr_spill_count: 0
    .wavefront_size: 64
  - .agpr_count:     0
    .args:
      - .address_space:  global
        .offset:         0
        .size:           8
        .value_kind:     global_buffer
      - .address_space:  global
        .offset:         8
        .size:           8
        .value_kind:     global_buffer
      - .address_space:  global
        .offset:         16
        .size:           8
        .value_kind:     global_buffer
      - .address_space:  global
        .offset:         24
        .size:           8
        .value_kind:     global_buffer
      - .address_space:  global
        .offset:         32
        .size:           8
        .value_kind:     global_buffer
      - .address_space:  global
        .offset:         40
        .size:           8
        .value_kind:     global_buffer
      - .address_space:  global
        .offset:         48
        .size:           8
        .value_kind:     global_buffer
      - .address_space:  global
        .offset:         56
        .size:           8
        .value_kind:     global_buffer
      - .offset:         64
        .size:           4
        .value_kind:     by_value
      - .offset:         68
        .size:           4
        .value_kind:     by_value
      - .offset:         72
        .size:           4
        .value_kind:     by_value
      - .offset:         76
        .size:           4
        .value_kind:     by_value
      - .offset:         80
        .size:           4
        .value_kind:     by_value
      - .offset:         84
        .size:           4
        .value_kind:     by_value
      - .offset:         88
        .size:           4
        .value_kind:     by_value
      - .offset:         92
        .size:           12
        .value_kind:     by_value
      - .offset:         104
        .size:           4
        .value_kind:     by_value
      - .offset:         108
        .size:           4
        .value_kind:     by_value
      - .offset:         112
        .size:           4
        .value_kind:     by_value
      - .offset:         116
        .size:           4
        .value_kind:     by_value
      - .offset:         120
        .size:           4
        .value_kind:     by_value
      - .offset:         124
        .size:           4
        .value_kind:     by_value
      - .offset:         128
        .size:           4
        .value_kind:     by_value
      - .offset:         132
        .size:           4
        .value_kind:     by_value
      - .offset:         136
        .size:           4
        .value_kind:     by_value
      - .offset:         140
        .size:           4
        .value_kind:     by_value
      - .offset:         144
        .size:           4
        .value_kind:     by_value
      - .offset:         152
        .size:           8
        .value_kind:     by_value
      - .offset:         160
        .size:           4
        .value_kind:     by_value
      - .offset:         164
        .size:           4
        .value_kind:     by_value
      - .offset:         168
        .size:           8
        .value_kind:     by_value
      - .offset:         176
        .size:           4
        .value_kind:     by_value
      - .offset:         180
        .size:           4
        .value_kind:     by_value
      - .offset:         184
        .size:           4
        .value_kind:     by_value
      - .offset:         188
        .size:           4
        .value_kind:     by_value
      - .offset:         192
        .size:           4
        .value_kind:     by_value
      - .offset:         200
        .size:           8
        .value_kind:     by_value
      - .offset:         208
        .size:           4
        .value_kind:     hidden_block_count_x
      - .offset:         212
        .size:           4
        .value_kind:     hidden_block_count_y
      - .offset:         216
        .size:           4
        .value_kind:     hidden_block_count_z
      - .offset:         220
        .size:           2
        .value_kind:     hidden_group_size_x
      - .offset:         222
        .size:           2
        .value_kind:     hidden_group_size_y
      - .offset:         224
        .size:           2
        .value_kind:     hidden_group_size_z
      - .offset:         226
        .size:           2
        .value_kind:     hidden_remainder_x
      - .offset:         228
        .size:           2
        .value_kind:     hidden_remainder_y
      - .offset:         230
        .size:           2
        .value_kind:     hidden_remainder_z
      - .offset:         248
        .size:           8
        .value_kind:     hidden_global_offset_x
      - .offset:         256
        .size:           8
        .value_kind:     hidden_global_offset_y
      - .offset:         264
        .size:           8
        .value_kind:     hidden_global_offset_z
      - .offset:         272
        .size:           2
        .value_kind:     hidden_grid_dims
      - .offset:         328
        .size:           4
        .value_kind:     hidden_dynamic_lds_size
    .group_segment_fixed_size: 0
    .kernarg_segment_align: 8
    .kernarg_segment_size: 464
    .language:       OpenCL C
    .language_version:
      - 2
      - 0
    .max_flat_workgroup_size: 256
    .name:           _ZL18flash_attn_ext_f16ILi128ELi128ELi16ELi2ELb0ELb0EEvPKcS1_S1_S1_S1_PKiPfP15HIP_vector_typeIfLj2EEffffjfiS5_IjLj3EEiiiiiiiiiiiliiliiiiil
    .private_segment_fixed_size: 0
    .sgpr_count:     100
    .sgpr_spill_count: 23
    .symbol:         _ZL18flash_attn_ext_f16ILi128ELi128ELi16ELi2ELb0ELb0EEvPKcS1_S1_S1_S1_PKiPfP15HIP_vector_typeIfLj2EEffffjfiS5_IjLj3EEiiiiiiiiiiiliiliiiiil.kd
    .uniform_work_group_size: 1
    .uses_dynamic_stack: false
    .vgpr_count:     256
    .vgpr_spill_count: 0
    .wavefront_size: 64
  - .agpr_count:     0
    .args:
      - .address_space:  global
        .offset:         0
        .size:           8
        .value_kind:     global_buffer
      - .address_space:  global
        .offset:         8
        .size:           8
        .value_kind:     global_buffer
      - .address_space:  global
        .offset:         16
        .size:           8
        .value_kind:     global_buffer
      - .address_space:  global
        .offset:         24
        .size:           8
        .value_kind:     global_buffer
      - .address_space:  global
        .offset:         32
        .size:           8
        .value_kind:     global_buffer
      - .address_space:  global
        .offset:         40
        .size:           8
        .value_kind:     global_buffer
      - .address_space:  global
        .offset:         48
        .size:           8
        .value_kind:     global_buffer
      - .address_space:  global
        .offset:         56
        .size:           8
        .value_kind:     global_buffer
      - .offset:         64
        .size:           4
        .value_kind:     by_value
      - .offset:         68
        .size:           4
        .value_kind:     by_value
      - .offset:         72
        .size:           4
        .value_kind:     by_value
      - .offset:         76
        .size:           4
        .value_kind:     by_value
      - .offset:         80
        .size:           4
        .value_kind:     by_value
      - .offset:         84
        .size:           4
        .value_kind:     by_value
      - .offset:         88
        .size:           4
        .value_kind:     by_value
      - .offset:         92
        .size:           12
        .value_kind:     by_value
      - .offset:         104
        .size:           4
        .value_kind:     by_value
      - .offset:         108
        .size:           4
        .value_kind:     by_value
      - .offset:         112
        .size:           4
        .value_kind:     by_value
      - .offset:         116
        .size:           4
        .value_kind:     by_value
      - .offset:         120
        .size:           4
        .value_kind:     by_value
      - .offset:         124
        .size:           4
        .value_kind:     by_value
      - .offset:         128
        .size:           4
        .value_kind:     by_value
      - .offset:         132
        .size:           4
        .value_kind:     by_value
      - .offset:         136
        .size:           4
        .value_kind:     by_value
      - .offset:         140
        .size:           4
        .value_kind:     by_value
      - .offset:         144
        .size:           4
        .value_kind:     by_value
      - .offset:         152
        .size:           8
        .value_kind:     by_value
      - .offset:         160
        .size:           4
        .value_kind:     by_value
      - .offset:         164
        .size:           4
        .value_kind:     by_value
      - .offset:         168
        .size:           8
        .value_kind:     by_value
      - .offset:         176
        .size:           4
        .value_kind:     by_value
      - .offset:         180
        .size:           4
        .value_kind:     by_value
      - .offset:         184
        .size:           4
        .value_kind:     by_value
      - .offset:         188
        .size:           4
        .value_kind:     by_value
      - .offset:         192
        .size:           4
        .value_kind:     by_value
      - .offset:         200
        .size:           8
        .value_kind:     by_value
      - .offset:         208
        .size:           4
        .value_kind:     hidden_block_count_x
      - .offset:         212
        .size:           4
        .value_kind:     hidden_block_count_y
      - .offset:         216
        .size:           4
        .value_kind:     hidden_block_count_z
      - .offset:         220
        .size:           2
        .value_kind:     hidden_group_size_x
      - .offset:         222
        .size:           2
        .value_kind:     hidden_group_size_y
      - .offset:         224
        .size:           2
        .value_kind:     hidden_group_size_z
      - .offset:         226
        .size:           2
        .value_kind:     hidden_remainder_x
      - .offset:         228
        .size:           2
        .value_kind:     hidden_remainder_y
      - .offset:         230
        .size:           2
        .value_kind:     hidden_remainder_z
      - .offset:         248
        .size:           8
        .value_kind:     hidden_global_offset_x
      - .offset:         256
        .size:           8
        .value_kind:     hidden_global_offset_y
      - .offset:         264
        .size:           8
        .value_kind:     hidden_global_offset_z
      - .offset:         272
        .size:           2
        .value_kind:     hidden_grid_dims
      - .offset:         328
        .size:           4
        .value_kind:     hidden_dynamic_lds_size
    .group_segment_fixed_size: 0
    .kernarg_segment_align: 8
    .kernarg_segment_size: 464
    .language:       OpenCL C
    .language_version:
      - 2
      - 0
    .max_flat_workgroup_size: 256
    .name:           _ZL18flash_attn_ext_f16ILi128ELi128ELi16ELi2ELb1ELb0EEvPKcS1_S1_S1_S1_PKiPfP15HIP_vector_typeIfLj2EEffffjfiS5_IjLj3EEiiiiiiiiiiiliiliiiiil
    .private_segment_fixed_size: 8
    .sgpr_count:     104
    .sgpr_spill_count: 27
    .symbol:         _ZL18flash_attn_ext_f16ILi128ELi128ELi16ELi2ELb1ELb0EEvPKcS1_S1_S1_S1_PKiPfP15HIP_vector_typeIfLj2EEffffjfiS5_IjLj3EEiiiiiiiiiiiliiliiiiil.kd
    .uniform_work_group_size: 1
    .uses_dynamic_stack: false
    .vgpr_count:     256
    .vgpr_spill_count: 1
    .wavefront_size: 64
  - .agpr_count:     0
    .args:
      - .address_space:  global
        .offset:         0
        .size:           8
        .value_kind:     global_buffer
      - .address_space:  global
        .offset:         8
        .size:           8
        .value_kind:     global_buffer
      - .offset:         16
        .size:           4
        .value_kind:     by_value
      - .offset:         20
        .size:           4
        .value_kind:     by_value
      - .offset:         24
        .size:           4
        .value_kind:     by_value
      - .offset:         28
        .size:           4
        .value_kind:     by_value
      - .offset:         32
        .size:           4
        .value_kind:     by_value
      - .offset:         36
        .size:           4
        .value_kind:     by_value
      - .offset:         40
        .size:           12
        .value_kind:     by_value
      - .offset:         52
        .size:           12
        .value_kind:     by_value
      - .offset:         64
        .size:           12
        .value_kind:     by_value
    .group_segment_fixed_size: 0
    .kernarg_segment_align: 8
    .kernarg_segment_size: 76
    .language:       OpenCL C
    .language_version:
      - 2
      - 0
    .max_flat_workgroup_size: 128
    .name:           _ZL33flash_attn_stream_k_fixup_uniformILi128ELi16ELi2EEvPfPK15HIP_vector_typeIfLj2EEiiiiiiS1_IjLj3EES5_S5_
    .private_segment_fixed_size: 0
    .sgpr_count:     24
    .sgpr_spill_count: 0
    .symbol:         _ZL33flash_attn_stream_k_fixup_uniformILi128ELi16ELi2EEvPfPK15HIP_vector_typeIfLj2EEiiiiiiS1_IjLj3EES5_S5_.kd
    .uniform_work_group_size: 1
    .uses_dynamic_stack: false
    .vgpr_count:     17
    .vgpr_spill_count: 0
    .wavefront_size: 64
  - .agpr_count:     0
    .args:
      - .address_space:  global
        .offset:         0
        .size:           8
        .value_kind:     global_buffer
      - .address_space:  global
        .offset:         8
        .size:           8
        .value_kind:     global_buffer
      - .offset:         16
        .size:           4
        .value_kind:     by_value
      - .offset:         20
        .size:           4
        .value_kind:     by_value
      - .offset:         24
        .size:           4
        .value_kind:     by_value
      - .offset:         28
        .size:           4
        .value_kind:     by_value
      - .offset:         32
        .size:           12
        .value_kind:     by_value
      - .offset:         44
        .size:           12
        .value_kind:     by_value
      - .offset:         56
        .size:           12
        .value_kind:     by_value
      - .offset:         68
        .size:           12
        .value_kind:     by_value
      - .offset:         80
        .size:           4
        .value_kind:     hidden_block_count_x
      - .offset:         84
        .size:           4
        .value_kind:     hidden_block_count_y
      - .offset:         88
        .size:           4
        .value_kind:     hidden_block_count_z
      - .offset:         92
        .size:           2
        .value_kind:     hidden_group_size_x
      - .offset:         94
        .size:           2
        .value_kind:     hidden_group_size_y
      - .offset:         96
        .size:           2
        .value_kind:     hidden_group_size_z
      - .offset:         98
        .size:           2
        .value_kind:     hidden_remainder_x
      - .offset:         100
        .size:           2
        .value_kind:     hidden_remainder_y
      - .offset:         102
        .size:           2
        .value_kind:     hidden_remainder_z
      - .offset:         120
        .size:           8
        .value_kind:     hidden_global_offset_x
      - .offset:         128
        .size:           8
        .value_kind:     hidden_global_offset_y
      - .offset:         136
        .size:           8
        .value_kind:     hidden_global_offset_z
      - .offset:         144
        .size:           2
        .value_kind:     hidden_grid_dims
    .group_segment_fixed_size: 0
    .kernarg_segment_align: 8
    .kernarg_segment_size: 336
    .language:       OpenCL C
    .language_version:
      - 2
      - 0
    .max_flat_workgroup_size: 128
    .name:           _ZL33flash_attn_stream_k_fixup_generalILi128ELi16ELi2EEvPfPK15HIP_vector_typeIfLj2EEiiiiS1_IjLj3EES5_S5_S5_
    .private_segment_fixed_size: 0
    .sgpr_count:     36
    .sgpr_spill_count: 0
    .symbol:         _ZL33flash_attn_stream_k_fixup_generalILi128ELi16ELi2EEvPfPK15HIP_vector_typeIfLj2EEiiiiS1_IjLj3EES5_S5_S5_.kd
    .uniform_work_group_size: 1
    .uses_dynamic_stack: false
    .vgpr_count:     22
    .vgpr_spill_count: 0
    .wavefront_size: 64
  - .agpr_count:     0
    .args:
      - .address_space:  global
        .offset:         0
        .size:           8
        .value_kind:     global_buffer
      - .address_space:  global
        .offset:         8
        .size:           8
        .value_kind:     global_buffer
      - .address_space:  global
        .offset:         16
        .size:           8
        .value_kind:     global_buffer
      - .offset:         24
        .size:           4
        .value_kind:     by_value
      - .offset:         32
        .size:           4
        .value_kind:     hidden_block_count_x
      - .offset:         36
        .size:           4
        .value_kind:     hidden_block_count_y
      - .offset:         40
        .size:           4
        .value_kind:     hidden_block_count_z
      - .offset:         44
        .size:           2
        .value_kind:     hidden_group_size_x
      - .offset:         46
        .size:           2
        .value_kind:     hidden_group_size_y
      - .offset:         48
        .size:           2
        .value_kind:     hidden_group_size_z
      - .offset:         50
        .size:           2
        .value_kind:     hidden_remainder_x
      - .offset:         52
        .size:           2
        .value_kind:     hidden_remainder_y
      - .offset:         54
        .size:           2
        .value_kind:     hidden_remainder_z
      - .offset:         72
        .size:           8
        .value_kind:     hidden_global_offset_x
      - .offset:         80
        .size:           8
        .value_kind:     hidden_global_offset_y
      - .offset:         88
        .size:           8
        .value_kind:     hidden_global_offset_z
      - .offset:         96
        .size:           2
        .value_kind:     hidden_grid_dims
      - .offset:         152
        .size:           4
        .value_kind:     hidden_dynamic_lds_size
    .group_segment_fixed_size: 0
    .kernarg_segment_align: 8
    .kernarg_segment_size: 288
    .language:       OpenCL C
    .language_version:
      - 2
      - 0
    .max_flat_workgroup_size: 128
    .name:           _ZL26flash_attn_combine_resultsILi128EEvPKfPK15HIP_vector_typeIfLj2EEPfi
    .private_segment_fixed_size: 0
    .sgpr_count:     30
    .sgpr_spill_count: 0
    .symbol:         _ZL26flash_attn_combine_resultsILi128EEvPKfPK15HIP_vector_typeIfLj2EEPfi.kd
    .uniform_work_group_size: 1
    .uses_dynamic_stack: false
    .vgpr_count:     51
    .vgpr_spill_count: 0
    .wavefront_size: 64
  - .agpr_count:     164
    .args:
      - .address_space:  global
        .offset:         0
        .size:           8
        .value_kind:     global_buffer
      - .address_space:  global
        .offset:         8
        .size:           8
        .value_kind:     global_buffer
      - .address_space:  global
        .offset:         16
        .size:           8
        .value_kind:     global_buffer
      - .address_space:  global
        .offset:         24
        .size:           8
        .value_kind:     global_buffer
      - .address_space:  global
        .offset:         32
        .size:           8
        .value_kind:     global_buffer
      - .address_space:  global
        .offset:         40
        .size:           8
        .value_kind:     global_buffer
      - .address_space:  global
        .offset:         48
        .size:           8
        .value_kind:     global_buffer
      - .address_space:  global
        .offset:         56
        .size:           8
        .value_kind:     global_buffer
      - .offset:         64
        .size:           4
        .value_kind:     by_value
      - .offset:         68
        .size:           4
        .value_kind:     by_value
      - .offset:         72
        .size:           4
        .value_kind:     by_value
      - .offset:         76
        .size:           4
        .value_kind:     by_value
      - .offset:         80
        .size:           4
        .value_kind:     by_value
      - .offset:         84
        .size:           4
        .value_kind:     by_value
      - .offset:         88
        .size:           4
        .value_kind:     by_value
      - .offset:         92
        .size:           12
        .value_kind:     by_value
      - .offset:         104
        .size:           4
        .value_kind:     by_value
      - .offset:         108
        .size:           4
        .value_kind:     by_value
      - .offset:         112
        .size:           4
        .value_kind:     by_value
      - .offset:         116
        .size:           4
        .value_kind:     by_value
      - .offset:         120
        .size:           4
        .value_kind:     by_value
      - .offset:         124
        .size:           4
        .value_kind:     by_value
      - .offset:         128
        .size:           4
        .value_kind:     by_value
      - .offset:         132
        .size:           4
        .value_kind:     by_value
      - .offset:         136
        .size:           4
        .value_kind:     by_value
      - .offset:         140
        .size:           4
        .value_kind:     by_value
      - .offset:         144
        .size:           4
        .value_kind:     by_value
      - .offset:         152
        .size:           8
        .value_kind:     by_value
      - .offset:         160
        .size:           4
        .value_kind:     by_value
      - .offset:         164
        .size:           4
        .value_kind:     by_value
      - .offset:         168
        .size:           8
        .value_kind:     by_value
      - .offset:         176
        .size:           4
        .value_kind:     by_value
      - .offset:         180
        .size:           4
        .value_kind:     by_value
      - .offset:         184
        .size:           4
        .value_kind:     by_value
      - .offset:         188
        .size:           4
        .value_kind:     by_value
      - .offset:         192
        .size:           4
        .value_kind:     by_value
      - .offset:         200
        .size:           8
        .value_kind:     by_value
      - .offset:         208
        .size:           4
        .value_kind:     hidden_block_count_x
      - .offset:         212
        .size:           4
        .value_kind:     hidden_block_count_y
      - .offset:         216
        .size:           4
        .value_kind:     hidden_block_count_z
      - .offset:         220
        .size:           2
        .value_kind:     hidden_group_size_x
      - .offset:         222
        .size:           2
        .value_kind:     hidden_group_size_y
      - .offset:         224
        .size:           2
        .value_kind:     hidden_group_size_z
      - .offset:         226
        .size:           2
        .value_kind:     hidden_remainder_x
      - .offset:         228
        .size:           2
        .value_kind:     hidden_remainder_y
      - .offset:         230
        .size:           2
        .value_kind:     hidden_remainder_z
      - .offset:         248
        .size:           8
        .value_kind:     hidden_global_offset_x
      - .offset:         256
        .size:           8
        .value_kind:     hidden_global_offset_y
      - .offset:         264
        .size:           8
        .value_kind:     hidden_global_offset_z
      - .offset:         272
        .size:           2
        .value_kind:     hidden_grid_dims
      - .offset:         328
        .size:           4
        .value_kind:     hidden_dynamic_lds_size
    .group_segment_fixed_size: 0
    .kernarg_segment_align: 8
    .kernarg_segment_size: 464
    .language:       OpenCL C
    .language_version:
      - 2
      - 0
    .max_flat_workgroup_size: 256
    .name:           _ZL18flash_attn_ext_f16ILi256ELi256ELi16ELi2ELb0ELb0EEvPKcS1_S1_S1_S1_PKiPfP15HIP_vector_typeIfLj2EEffffjfiS5_IjLj3EEiiiiiiiiiiiliiliiiiil
    .private_segment_fixed_size: 0
    .sgpr_count:     100
    .sgpr_spill_count: 22
    .symbol:         _ZL18flash_attn_ext_f16ILi256ELi256ELi16ELi2ELb0ELb0EEvPKcS1_S1_S1_S1_PKiPfP15HIP_vector_typeIfLj2EEffffjfiS5_IjLj3EEiiiiiiiiiiiliiliiiiil.kd
    .uniform_work_group_size: 1
    .uses_dynamic_stack: false
    .vgpr_count:     420
    .vgpr_spill_count: 0
    .wavefront_size: 64
  - .agpr_count:     158
    .args:
      - .address_space:  global
        .offset:         0
        .size:           8
        .value_kind:     global_buffer
      - .address_space:  global
        .offset:         8
        .size:           8
        .value_kind:     global_buffer
      - .address_space:  global
        .offset:         16
        .size:           8
        .value_kind:     global_buffer
      - .address_space:  global
        .offset:         24
        .size:           8
        .value_kind:     global_buffer
      - .address_space:  global
        .offset:         32
        .size:           8
        .value_kind:     global_buffer
      - .address_space:  global
        .offset:         40
        .size:           8
        .value_kind:     global_buffer
      - .address_space:  global
        .offset:         48
        .size:           8
        .value_kind:     global_buffer
      - .address_space:  global
        .offset:         56
        .size:           8
        .value_kind:     global_buffer
      - .offset:         64
        .size:           4
        .value_kind:     by_value
      - .offset:         68
        .size:           4
        .value_kind:     by_value
      - .offset:         72
        .size:           4
        .value_kind:     by_value
      - .offset:         76
        .size:           4
        .value_kind:     by_value
      - .offset:         80
        .size:           4
        .value_kind:     by_value
      - .offset:         84
        .size:           4
        .value_kind:     by_value
      - .offset:         88
        .size:           4
        .value_kind:     by_value
      - .offset:         92
        .size:           12
        .value_kind:     by_value
      - .offset:         104
        .size:           4
        .value_kind:     by_value
      - .offset:         108
        .size:           4
        .value_kind:     by_value
      - .offset:         112
        .size:           4
        .value_kind:     by_value
      - .offset:         116
        .size:           4
        .value_kind:     by_value
      - .offset:         120
        .size:           4
        .value_kind:     by_value
      - .offset:         124
        .size:           4
        .value_kind:     by_value
      - .offset:         128
        .size:           4
        .value_kind:     by_value
      - .offset:         132
        .size:           4
        .value_kind:     by_value
      - .offset:         136
        .size:           4
        .value_kind:     by_value
      - .offset:         140
        .size:           4
        .value_kind:     by_value
      - .offset:         144
        .size:           4
        .value_kind:     by_value
      - .offset:         152
        .size:           8
        .value_kind:     by_value
      - .offset:         160
        .size:           4
        .value_kind:     by_value
      - .offset:         164
        .size:           4
        .value_kind:     by_value
      - .offset:         168
        .size:           8
        .value_kind:     by_value
      - .offset:         176
        .size:           4
        .value_kind:     by_value
      - .offset:         180
        .size:           4
        .value_kind:     by_value
      - .offset:         184
        .size:           4
        .value_kind:     by_value
      - .offset:         188
        .size:           4
        .value_kind:     by_value
      - .offset:         192
        .size:           4
        .value_kind:     by_value
      - .offset:         200
        .size:           8
        .value_kind:     by_value
      - .offset:         208
        .size:           4
        .value_kind:     hidden_block_count_x
      - .offset:         212
        .size:           4
        .value_kind:     hidden_block_count_y
      - .offset:         216
        .size:           4
        .value_kind:     hidden_block_count_z
      - .offset:         220
        .size:           2
        .value_kind:     hidden_group_size_x
      - .offset:         222
        .size:           2
        .value_kind:     hidden_group_size_y
      - .offset:         224
        .size:           2
        .value_kind:     hidden_group_size_z
      - .offset:         226
        .size:           2
        .value_kind:     hidden_remainder_x
      - .offset:         228
        .size:           2
        .value_kind:     hidden_remainder_y
      - .offset:         230
        .size:           2
        .value_kind:     hidden_remainder_z
      - .offset:         248
        .size:           8
        .value_kind:     hidden_global_offset_x
      - .offset:         256
        .size:           8
        .value_kind:     hidden_global_offset_y
      - .offset:         264
        .size:           8
        .value_kind:     hidden_global_offset_z
      - .offset:         272
        .size:           2
        .value_kind:     hidden_grid_dims
      - .offset:         328
        .size:           4
        .value_kind:     hidden_dynamic_lds_size
    .group_segment_fixed_size: 0
    .kernarg_segment_align: 8
    .kernarg_segment_size: 464
    .language:       OpenCL C
    .language_version:
      - 2
      - 0
    .max_flat_workgroup_size: 256
    .name:           _ZL18flash_attn_ext_f16ILi256ELi256ELi16ELi2ELb1ELb0EEvPKcS1_S1_S1_S1_PKiPfP15HIP_vector_typeIfLj2EEffffjfiS5_IjLj3EEiiiiiiiiiiiliiliiiiil
    .private_segment_fixed_size: 0
    .sgpr_count:     100
    .sgpr_spill_count: 27
    .symbol:         _ZL18flash_attn_ext_f16ILi256ELi256ELi16ELi2ELb1ELb0EEvPKcS1_S1_S1_S1_PKiPfP15HIP_vector_typeIfLj2EEffffjfiS5_IjLj3EEiiiiiiiiiiiliiliiiiil.kd
    .uniform_work_group_size: 1
    .uses_dynamic_stack: false
    .vgpr_count:     414
    .vgpr_spill_count: 0
    .wavefront_size: 64
  - .agpr_count:     0
    .args:
      - .address_space:  global
        .offset:         0
        .size:           8
        .value_kind:     global_buffer
      - .address_space:  global
        .offset:         8
        .size:           8
        .value_kind:     global_buffer
      - .offset:         16
        .size:           4
        .value_kind:     by_value
      - .offset:         20
        .size:           4
        .value_kind:     by_value
      - .offset:         24
        .size:           4
        .value_kind:     by_value
      - .offset:         28
        .size:           4
        .value_kind:     by_value
      - .offset:         32
        .size:           4
        .value_kind:     by_value
      - .offset:         36
        .size:           4
        .value_kind:     by_value
      - .offset:         40
        .size:           12
        .value_kind:     by_value
      - .offset:         52
        .size:           12
        .value_kind:     by_value
      - .offset:         64
        .size:           12
        .value_kind:     by_value
    .group_segment_fixed_size: 0
    .kernarg_segment_align: 8
    .kernarg_segment_size: 76
    .language:       OpenCL C
    .language_version:
      - 2
      - 0
    .max_flat_workgroup_size: 256
    .name:           _ZL33flash_attn_stream_k_fixup_uniformILi256ELi16ELi2EEvPfPK15HIP_vector_typeIfLj2EEiiiiiiS1_IjLj3EES5_S5_
    .private_segment_fixed_size: 0
    .sgpr_count:     24
    .sgpr_spill_count: 0
    .symbol:         _ZL33flash_attn_stream_k_fixup_uniformILi256ELi16ELi2EEvPfPK15HIP_vector_typeIfLj2EEiiiiiiS1_IjLj3EES5_S5_.kd
    .uniform_work_group_size: 1
    .uses_dynamic_stack: false
    .vgpr_count:     17
    .vgpr_spill_count: 0
    .wavefront_size: 64
  - .agpr_count:     0
    .args:
      - .address_space:  global
        .offset:         0
        .size:           8
        .value_kind:     global_buffer
      - .address_space:  global
        .offset:         8
        .size:           8
        .value_kind:     global_buffer
      - .offset:         16
        .size:           4
        .value_kind:     by_value
      - .offset:         20
        .size:           4
        .value_kind:     by_value
      - .offset:         24
        .size:           4
        .value_kind:     by_value
      - .offset:         28
        .size:           4
        .value_kind:     by_value
      - .offset:         32
        .size:           12
        .value_kind:     by_value
      - .offset:         44
        .size:           12
        .value_kind:     by_value
      - .offset:         56
        .size:           12
        .value_kind:     by_value
      - .offset:         68
        .size:           12
        .value_kind:     by_value
      - .offset:         80
        .size:           4
        .value_kind:     hidden_block_count_x
      - .offset:         84
        .size:           4
        .value_kind:     hidden_block_count_y
      - .offset:         88
        .size:           4
        .value_kind:     hidden_block_count_z
      - .offset:         92
        .size:           2
        .value_kind:     hidden_group_size_x
      - .offset:         94
        .size:           2
        .value_kind:     hidden_group_size_y
      - .offset:         96
        .size:           2
        .value_kind:     hidden_group_size_z
      - .offset:         98
        .size:           2
        .value_kind:     hidden_remainder_x
      - .offset:         100
        .size:           2
        .value_kind:     hidden_remainder_y
      - .offset:         102
        .size:           2
        .value_kind:     hidden_remainder_z
      - .offset:         120
        .size:           8
        .value_kind:     hidden_global_offset_x
      - .offset:         128
        .size:           8
        .value_kind:     hidden_global_offset_y
      - .offset:         136
        .size:           8
        .value_kind:     hidden_global_offset_z
      - .offset:         144
        .size:           2
        .value_kind:     hidden_grid_dims
    .group_segment_fixed_size: 0
    .kernarg_segment_align: 8
    .kernarg_segment_size: 336
    .language:       OpenCL C
    .language_version:
      - 2
      - 0
    .max_flat_workgroup_size: 256
    .name:           _ZL33flash_attn_stream_k_fixup_generalILi256ELi16ELi2EEvPfPK15HIP_vector_typeIfLj2EEiiiiS1_IjLj3EES5_S5_S5_
    .private_segment_fixed_size: 0
    .sgpr_count:     36
    .sgpr_spill_count: 0
    .symbol:         _ZL33flash_attn_stream_k_fixup_generalILi256ELi16ELi2EEvPfPK15HIP_vector_typeIfLj2EEiiiiS1_IjLj3EES5_S5_S5_.kd
    .uniform_work_group_size: 1
    .uses_dynamic_stack: false
    .vgpr_count:     22
    .vgpr_spill_count: 0
    .wavefront_size: 64
  - .agpr_count:     0
    .args:
      - .address_space:  global
        .offset:         0
        .size:           8
        .value_kind:     global_buffer
      - .address_space:  global
        .offset:         8
        .size:           8
        .value_kind:     global_buffer
      - .address_space:  global
        .offset:         16
        .size:           8
        .value_kind:     global_buffer
      - .offset:         24
        .size:           4
        .value_kind:     by_value
      - .offset:         32
        .size:           4
        .value_kind:     hidden_block_count_x
      - .offset:         36
        .size:           4
        .value_kind:     hidden_block_count_y
      - .offset:         40
        .size:           4
        .value_kind:     hidden_block_count_z
      - .offset:         44
        .size:           2
        .value_kind:     hidden_group_size_x
      - .offset:         46
        .size:           2
        .value_kind:     hidden_group_size_y
      - .offset:         48
        .size:           2
        .value_kind:     hidden_group_size_z
      - .offset:         50
        .size:           2
        .value_kind:     hidden_remainder_x
      - .offset:         52
        .size:           2
        .value_kind:     hidden_remainder_y
      - .offset:         54
        .size:           2
        .value_kind:     hidden_remainder_z
      - .offset:         72
        .size:           8
        .value_kind:     hidden_global_offset_x
      - .offset:         80
        .size:           8
        .value_kind:     hidden_global_offset_y
      - .offset:         88
        .size:           8
        .value_kind:     hidden_global_offset_z
      - .offset:         96
        .size:           2
        .value_kind:     hidden_grid_dims
      - .offset:         152
        .size:           4
        .value_kind:     hidden_dynamic_lds_size
    .group_segment_fixed_size: 0
    .kernarg_segment_align: 8
    .kernarg_segment_size: 288
    .language:       OpenCL C
    .language_version:
      - 2
      - 0
    .max_flat_workgroup_size: 256
    .name:           _ZL26flash_attn_combine_resultsILi256EEvPKfPK15HIP_vector_typeIfLj2EEPfi
    .private_segment_fixed_size: 0
    .sgpr_count:     30
    .sgpr_spill_count: 0
    .symbol:         _ZL26flash_attn_combine_resultsILi256EEvPKfPK15HIP_vector_typeIfLj2EEPfi.kd
    .uniform_work_group_size: 1
    .uses_dynamic_stack: false
    .vgpr_count:     51
    .vgpr_spill_count: 0
    .wavefront_size: 64
amdhsa.target:   amdgcn-amd-amdhsa--gfx90a
amdhsa.version:
  - 1
  - 2
...

	.end_amdgpu_metadata
